;; amdgpu-corpus repo=ROCm/vllm kind=compiled arch=gfx950 opt=O3
	.amdgcn_target "amdgcn-amd-amdhsa--gfx950"
	.amdhsa_code_object_version 6
	.section	.text._ZL16dequantize_blockILi32ELi2EXadL_ZL15dequantize_q4_0PKviiR7__half2EEfEvS1_PT2_i,"axG",@progbits,_ZL16dequantize_blockILi32ELi2EXadL_ZL15dequantize_q4_0PKviiR7__half2EEfEvS1_PT2_i,comdat
	.globl	_ZL16dequantize_blockILi32ELi2EXadL_ZL15dequantize_q4_0PKviiR7__half2EEfEvS1_PT2_i ; -- Begin function _ZL16dequantize_blockILi32ELi2EXadL_ZL15dequantize_q4_0PKviiR7__half2EEfEvS1_PT2_i
	.p2align	8
	.type	_ZL16dequantize_blockILi32ELi2EXadL_ZL15dequantize_q4_0PKviiR7__half2EEfEvS1_PT2_i,@function
_ZL16dequantize_blockILi32ELi2EXadL_ZL15dequantize_q4_0PKviiR7__half2EEfEvS1_PT2_i: ; @_ZL16dequantize_blockILi32ELi2EXadL_ZL15dequantize_q4_0PKviiR7__half2EEfEvS1_PT2_i
; %bb.0:
	s_load_dword s3, s[0:1], 0x24
	s_load_dword s4, s[0:1], 0x10
	s_waitcnt lgkmcnt(0)
	s_and_b32 s3, s3, 0xffff
	s_mul_i32 s2, s2, s3
	v_add_lshl_u32 v0, s2, v0, 1
	v_cmp_gt_i32_e32 vcc, s4, v0
	s_and_saveexec_b64 s[2:3], vcc
	s_cbranch_execz .LBB0_2
; %bb.1:
	v_ashrrev_i32_e32 v1, 31, v0
	s_load_dwordx4 s[0:3], s[0:1], 0x0
	v_lshrrev_b32_e32 v1, 27, v1
	v_add_u32_e32 v1, v0, v1
	v_and_b32_e32 v6, 0xffffffe0, v1
	v_sub_u32_e32 v0, v0, v6
	v_ashrrev_i32_e32 v2, 5, v1
	v_ashrrev_i32_e32 v0, 1, v0
	s_waitcnt lgkmcnt(0)
	v_mad_i64_i32 v[2:3], s[0:1], v2, 18, s[0:1]
	v_ashrrev_i32_e32 v1, 31, v0
	v_lshl_add_u64 v[4:5], v[2:3], 0, v[0:1]
	global_load_ushort v1, v[2:3], off
	global_load_ubyte v7, v[4:5], off offset:2
	s_mov_b32 s0, 0xc800
	v_add_u32_e32 v0, v6, v0
	s_waitcnt vmcnt(1)
	v_lshl_or_b32 v1, v1, 16, v1
	s_waitcnt vmcnt(0)
	v_and_b32_e32 v2, 15, v7
	v_lshrrev_b32_e32 v3, 4, v7
	v_cvt_f32_ubyte0_e32 v2, v2
	v_cvt_f32_ubyte0_e32 v3, v3
	v_cvt_pk_f16_f32 v2, v2, v3
	v_pk_add_f16 v2, v2, s0 op_sel_hi:[1,0]
	s_nop 0
	v_pk_mul_f16 v1, v2, v1
	s_nop 0
	v_cvt_f32_f16_e32 v2, v1
	v_cvt_f32_f16_sdwa v3, v1 dst_sel:DWORD dst_unused:UNUSED_PAD src0_sel:WORD_1
	v_ashrrev_i32_e32 v1, 31, v0
	v_lshl_add_u64 v[0:1], v[0:1], 2, s[2:3]
	global_store_dword v[0:1], v2, off
	global_store_dword v[0:1], v3, off offset:64
.LBB0_2:
	s_endpgm
	.section	.rodata,"a",@progbits
	.p2align	6, 0x0
	.amdhsa_kernel _ZL16dequantize_blockILi32ELi2EXadL_ZL15dequantize_q4_0PKviiR7__half2EEfEvS1_PT2_i
		.amdhsa_group_segment_fixed_size 0
		.amdhsa_private_segment_fixed_size 0
		.amdhsa_kernarg_size 280
		.amdhsa_user_sgpr_count 2
		.amdhsa_user_sgpr_dispatch_ptr 0
		.amdhsa_user_sgpr_queue_ptr 0
		.amdhsa_user_sgpr_kernarg_segment_ptr 1
		.amdhsa_user_sgpr_dispatch_id 0
		.amdhsa_user_sgpr_kernarg_preload_length 0
		.amdhsa_user_sgpr_kernarg_preload_offset 0
		.amdhsa_user_sgpr_private_segment_size 0
		.amdhsa_uses_dynamic_stack 0
		.amdhsa_enable_private_segment 0
		.amdhsa_system_sgpr_workgroup_id_x 1
		.amdhsa_system_sgpr_workgroup_id_y 0
		.amdhsa_system_sgpr_workgroup_id_z 0
		.amdhsa_system_sgpr_workgroup_info 0
		.amdhsa_system_vgpr_workitem_id 0
		.amdhsa_next_free_vgpr 8
		.amdhsa_next_free_sgpr 5
		.amdhsa_accum_offset 8
		.amdhsa_reserve_vcc 1
		.amdhsa_float_round_mode_32 0
		.amdhsa_float_round_mode_16_64 0
		.amdhsa_float_denorm_mode_32 3
		.amdhsa_float_denorm_mode_16_64 3
		.amdhsa_dx10_clamp 1
		.amdhsa_ieee_mode 1
		.amdhsa_fp16_overflow 0
		.amdhsa_tg_split 0
		.amdhsa_exception_fp_ieee_invalid_op 0
		.amdhsa_exception_fp_denorm_src 0
		.amdhsa_exception_fp_ieee_div_zero 0
		.amdhsa_exception_fp_ieee_overflow 0
		.amdhsa_exception_fp_ieee_underflow 0
		.amdhsa_exception_fp_ieee_inexact 0
		.amdhsa_exception_int_div_zero 0
	.end_amdhsa_kernel
	.section	.text._ZL16dequantize_blockILi32ELi2EXadL_ZL15dequantize_q4_0PKviiR7__half2EEfEvS1_PT2_i,"axG",@progbits,_ZL16dequantize_blockILi32ELi2EXadL_ZL15dequantize_q4_0PKviiR7__half2EEfEvS1_PT2_i,comdat
.Lfunc_end0:
	.size	_ZL16dequantize_blockILi32ELi2EXadL_ZL15dequantize_q4_0PKviiR7__half2EEfEvS1_PT2_i, .Lfunc_end0-_ZL16dequantize_blockILi32ELi2EXadL_ZL15dequantize_q4_0PKviiR7__half2EEfEvS1_PT2_i
                                        ; -- End function
	.set _ZL16dequantize_blockILi32ELi2EXadL_ZL15dequantize_q4_0PKviiR7__half2EEfEvS1_PT2_i.num_vgpr, 8
	.set _ZL16dequantize_blockILi32ELi2EXadL_ZL15dequantize_q4_0PKviiR7__half2EEfEvS1_PT2_i.num_agpr, 0
	.set _ZL16dequantize_blockILi32ELi2EXadL_ZL15dequantize_q4_0PKviiR7__half2EEfEvS1_PT2_i.numbered_sgpr, 5
	.set _ZL16dequantize_blockILi32ELi2EXadL_ZL15dequantize_q4_0PKviiR7__half2EEfEvS1_PT2_i.num_named_barrier, 0
	.set _ZL16dequantize_blockILi32ELi2EXadL_ZL15dequantize_q4_0PKviiR7__half2EEfEvS1_PT2_i.private_seg_size, 0
	.set _ZL16dequantize_blockILi32ELi2EXadL_ZL15dequantize_q4_0PKviiR7__half2EEfEvS1_PT2_i.uses_vcc, 1
	.set _ZL16dequantize_blockILi32ELi2EXadL_ZL15dequantize_q4_0PKviiR7__half2EEfEvS1_PT2_i.uses_flat_scratch, 0
	.set _ZL16dequantize_blockILi32ELi2EXadL_ZL15dequantize_q4_0PKviiR7__half2EEfEvS1_PT2_i.has_dyn_sized_stack, 0
	.set _ZL16dequantize_blockILi32ELi2EXadL_ZL15dequantize_q4_0PKviiR7__half2EEfEvS1_PT2_i.has_recursion, 0
	.set _ZL16dequantize_blockILi32ELi2EXadL_ZL15dequantize_q4_0PKviiR7__half2EEfEvS1_PT2_i.has_indirect_call, 0
	.section	.AMDGPU.csdata,"",@progbits
; Kernel info:
; codeLenInByte = 252
; TotalNumSgprs: 11
; NumVgprs: 8
; NumAgprs: 0
; TotalNumVgprs: 8
; ScratchSize: 0
; MemoryBound: 0
; FloatMode: 240
; IeeeMode: 1
; LDSByteSize: 0 bytes/workgroup (compile time only)
; SGPRBlocks: 1
; VGPRBlocks: 0
; NumSGPRsForWavesPerEU: 11
; NumVGPRsForWavesPerEU: 8
; AccumOffset: 8
; Occupancy: 8
; WaveLimiterHint : 0
; COMPUTE_PGM_RSRC2:SCRATCH_EN: 0
; COMPUTE_PGM_RSRC2:USER_SGPR: 2
; COMPUTE_PGM_RSRC2:TRAP_HANDLER: 0
; COMPUTE_PGM_RSRC2:TGID_X_EN: 1
; COMPUTE_PGM_RSRC2:TGID_Y_EN: 0
; COMPUTE_PGM_RSRC2:TGID_Z_EN: 0
; COMPUTE_PGM_RSRC2:TIDIG_COMP_CNT: 0
; COMPUTE_PGM_RSRC3_GFX90A:ACCUM_OFFSET: 1
; COMPUTE_PGM_RSRC3_GFX90A:TG_SPLIT: 0
	.section	.text._ZL16dequantize_blockILi32ELi2EXadL_ZL15dequantize_q4_1PKviiR7__half2EEfEvS1_PT2_i,"axG",@progbits,_ZL16dequantize_blockILi32ELi2EXadL_ZL15dequantize_q4_1PKviiR7__half2EEfEvS1_PT2_i,comdat
	.globl	_ZL16dequantize_blockILi32ELi2EXadL_ZL15dequantize_q4_1PKviiR7__half2EEfEvS1_PT2_i ; -- Begin function _ZL16dequantize_blockILi32ELi2EXadL_ZL15dequantize_q4_1PKviiR7__half2EEfEvS1_PT2_i
	.p2align	8
	.type	_ZL16dequantize_blockILi32ELi2EXadL_ZL15dequantize_q4_1PKviiR7__half2EEfEvS1_PT2_i,@function
_ZL16dequantize_blockILi32ELi2EXadL_ZL15dequantize_q4_1PKviiR7__half2EEfEvS1_PT2_i: ; @_ZL16dequantize_blockILi32ELi2EXadL_ZL15dequantize_q4_1PKviiR7__half2EEfEvS1_PT2_i
; %bb.0:
	s_load_dword s3, s[0:1], 0x24
	s_load_dword s4, s[0:1], 0x10
	s_waitcnt lgkmcnt(0)
	s_and_b32 s3, s3, 0xffff
	s_mul_i32 s2, s2, s3
	v_add_lshl_u32 v0, s2, v0, 1
	v_cmp_gt_i32_e32 vcc, s4, v0
	s_and_saveexec_b64 s[2:3], vcc
	s_cbranch_execz .LBB1_2
; %bb.1:
	v_ashrrev_i32_e32 v1, 31, v0
	s_load_dwordx4 s[0:3], s[0:1], 0x0
	v_lshrrev_b32_e32 v1, 27, v1
	v_add_u32_e32 v1, v0, v1
	v_and_b32_e32 v4, 0xffffffe0, v1
	v_sub_u32_e32 v0, v0, v4
	v_ashrrev_i32_e32 v2, 5, v1
	v_ashrrev_i32_e32 v0, 1, v0
	s_waitcnt lgkmcnt(0)
	v_mad_i64_i32 v[2:3], s[0:1], v2, 20, s[0:1]
	v_ashrrev_i32_e32 v1, 31, v0
	global_load_dword v5, v[2:3], off
	v_lshl_add_u64 v[2:3], v[2:3], 0, v[0:1]
	global_load_ubyte v1, v[2:3], off offset:4
	v_add_u32_e32 v0, v4, v0
	s_mov_b32 s0, 0x10001
	s_mov_b32 s1, 0xffff0000
	s_waitcnt vmcnt(1)
	v_lshrrev_b32_e32 v2, 16, v5
	v_mul_u32_u24_sdwa v3, v5, s0 dst_sel:DWORD dst_unused:UNUSED_PAD src0_sel:WORD_0 src1_sel:DWORD
	s_waitcnt vmcnt(0)
	v_and_b32_e32 v4, 15, v1
	v_lshrrev_b32_e32 v1, 4, v1
	v_cvt_f32_ubyte0_e32 v4, v4
	v_cvt_f32_ubyte0_e32 v1, v1
	v_and_or_b32 v2, v5, s1, v2
	v_cvt_pk_f16_f32 v1, v4, v1
	v_pk_fma_f16 v1, v1, v3, v2
	s_nop 0
	v_cvt_f32_f16_e32 v2, v1
	v_cvt_f32_f16_sdwa v3, v1 dst_sel:DWORD dst_unused:UNUSED_PAD src0_sel:WORD_1
	v_ashrrev_i32_e32 v1, 31, v0
	v_lshl_add_u64 v[0:1], v[0:1], 2, s[2:3]
	global_store_dword v[0:1], v2, off
	global_store_dword v[0:1], v3, off offset:64
.LBB1_2:
	s_endpgm
	.section	.rodata,"a",@progbits
	.p2align	6, 0x0
	.amdhsa_kernel _ZL16dequantize_blockILi32ELi2EXadL_ZL15dequantize_q4_1PKviiR7__half2EEfEvS1_PT2_i
		.amdhsa_group_segment_fixed_size 0
		.amdhsa_private_segment_fixed_size 0
		.amdhsa_kernarg_size 280
		.amdhsa_user_sgpr_count 2
		.amdhsa_user_sgpr_dispatch_ptr 0
		.amdhsa_user_sgpr_queue_ptr 0
		.amdhsa_user_sgpr_kernarg_segment_ptr 1
		.amdhsa_user_sgpr_dispatch_id 0
		.amdhsa_user_sgpr_kernarg_preload_length 0
		.amdhsa_user_sgpr_kernarg_preload_offset 0
		.amdhsa_user_sgpr_private_segment_size 0
		.amdhsa_uses_dynamic_stack 0
		.amdhsa_enable_private_segment 0
		.amdhsa_system_sgpr_workgroup_id_x 1
		.amdhsa_system_sgpr_workgroup_id_y 0
		.amdhsa_system_sgpr_workgroup_id_z 0
		.amdhsa_system_sgpr_workgroup_info 0
		.amdhsa_system_vgpr_workitem_id 0
		.amdhsa_next_free_vgpr 6
		.amdhsa_next_free_sgpr 5
		.amdhsa_accum_offset 8
		.amdhsa_reserve_vcc 1
		.amdhsa_float_round_mode_32 0
		.amdhsa_float_round_mode_16_64 0
		.amdhsa_float_denorm_mode_32 3
		.amdhsa_float_denorm_mode_16_64 3
		.amdhsa_dx10_clamp 1
		.amdhsa_ieee_mode 1
		.amdhsa_fp16_overflow 0
		.amdhsa_tg_split 0
		.amdhsa_exception_fp_ieee_invalid_op 0
		.amdhsa_exception_fp_denorm_src 0
		.amdhsa_exception_fp_ieee_div_zero 0
		.amdhsa_exception_fp_ieee_overflow 0
		.amdhsa_exception_fp_ieee_underflow 0
		.amdhsa_exception_fp_ieee_inexact 0
		.amdhsa_exception_int_div_zero 0
	.end_amdhsa_kernel
	.section	.text._ZL16dequantize_blockILi32ELi2EXadL_ZL15dequantize_q4_1PKviiR7__half2EEfEvS1_PT2_i,"axG",@progbits,_ZL16dequantize_blockILi32ELi2EXadL_ZL15dequantize_q4_1PKviiR7__half2EEfEvS1_PT2_i,comdat
.Lfunc_end1:
	.size	_ZL16dequantize_blockILi32ELi2EXadL_ZL15dequantize_q4_1PKviiR7__half2EEfEvS1_PT2_i, .Lfunc_end1-_ZL16dequantize_blockILi32ELi2EXadL_ZL15dequantize_q4_1PKviiR7__half2EEfEvS1_PT2_i
                                        ; -- End function
	.set _ZL16dequantize_blockILi32ELi2EXadL_ZL15dequantize_q4_1PKviiR7__half2EEfEvS1_PT2_i.num_vgpr, 6
	.set _ZL16dequantize_blockILi32ELi2EXadL_ZL15dequantize_q4_1PKviiR7__half2EEfEvS1_PT2_i.num_agpr, 0
	.set _ZL16dequantize_blockILi32ELi2EXadL_ZL15dequantize_q4_1PKviiR7__half2EEfEvS1_PT2_i.numbered_sgpr, 5
	.set _ZL16dequantize_blockILi32ELi2EXadL_ZL15dequantize_q4_1PKviiR7__half2EEfEvS1_PT2_i.num_named_barrier, 0
	.set _ZL16dequantize_blockILi32ELi2EXadL_ZL15dequantize_q4_1PKviiR7__half2EEfEvS1_PT2_i.private_seg_size, 0
	.set _ZL16dequantize_blockILi32ELi2EXadL_ZL15dequantize_q4_1PKviiR7__half2EEfEvS1_PT2_i.uses_vcc, 1
	.set _ZL16dequantize_blockILi32ELi2EXadL_ZL15dequantize_q4_1PKviiR7__half2EEfEvS1_PT2_i.uses_flat_scratch, 0
	.set _ZL16dequantize_blockILi32ELi2EXadL_ZL15dequantize_q4_1PKviiR7__half2EEfEvS1_PT2_i.has_dyn_sized_stack, 0
	.set _ZL16dequantize_blockILi32ELi2EXadL_ZL15dequantize_q4_1PKviiR7__half2EEfEvS1_PT2_i.has_recursion, 0
	.set _ZL16dequantize_blockILi32ELi2EXadL_ZL15dequantize_q4_1PKviiR7__half2EEfEvS1_PT2_i.has_indirect_call, 0
	.section	.AMDGPU.csdata,"",@progbits
; Kernel info:
; codeLenInByte = 260
; TotalNumSgprs: 11
; NumVgprs: 6
; NumAgprs: 0
; TotalNumVgprs: 6
; ScratchSize: 0
; MemoryBound: 0
; FloatMode: 240
; IeeeMode: 1
; LDSByteSize: 0 bytes/workgroup (compile time only)
; SGPRBlocks: 1
; VGPRBlocks: 0
; NumSGPRsForWavesPerEU: 11
; NumVGPRsForWavesPerEU: 6
; AccumOffset: 8
; Occupancy: 8
; WaveLimiterHint : 0
; COMPUTE_PGM_RSRC2:SCRATCH_EN: 0
; COMPUTE_PGM_RSRC2:USER_SGPR: 2
; COMPUTE_PGM_RSRC2:TRAP_HANDLER: 0
; COMPUTE_PGM_RSRC2:TGID_X_EN: 1
; COMPUTE_PGM_RSRC2:TGID_Y_EN: 0
; COMPUTE_PGM_RSRC2:TGID_Z_EN: 0
; COMPUTE_PGM_RSRC2:TIDIG_COMP_CNT: 0
; COMPUTE_PGM_RSRC3_GFX90A:ACCUM_OFFSET: 1
; COMPUTE_PGM_RSRC3_GFX90A:TG_SPLIT: 0
	.section	.text._ZL16dequantize_blockILi32ELi2EXadL_ZL15dequantize_q5_0PKviiR7__half2EEfEvS1_PT2_i,"axG",@progbits,_ZL16dequantize_blockILi32ELi2EXadL_ZL15dequantize_q5_0PKviiR7__half2EEfEvS1_PT2_i,comdat
	.globl	_ZL16dequantize_blockILi32ELi2EXadL_ZL15dequantize_q5_0PKviiR7__half2EEfEvS1_PT2_i ; -- Begin function _ZL16dequantize_blockILi32ELi2EXadL_ZL15dequantize_q5_0PKviiR7__half2EEfEvS1_PT2_i
	.p2align	8
	.type	_ZL16dequantize_blockILi32ELi2EXadL_ZL15dequantize_q5_0PKviiR7__half2EEfEvS1_PT2_i,@function
_ZL16dequantize_blockILi32ELi2EXadL_ZL15dequantize_q5_0PKviiR7__half2EEfEvS1_PT2_i: ; @_ZL16dequantize_blockILi32ELi2EXadL_ZL15dequantize_q5_0PKviiR7__half2EEfEvS1_PT2_i
; %bb.0:
	s_load_dword s3, s[0:1], 0x24
	s_load_dword s4, s[0:1], 0x10
	s_waitcnt lgkmcnt(0)
	s_and_b32 s3, s3, 0xffff
	s_mul_i32 s2, s2, s3
	v_add_lshl_u32 v0, s2, v0, 1
	v_cmp_gt_i32_e32 vcc, s4, v0
	s_and_saveexec_b64 s[2:3], vcc
	s_cbranch_execz .LBB2_2
; %bb.1:
	s_load_dwordx4 s[0:3], s[0:1], 0x0
	v_ashrrev_i32_e32 v1, 31, v0
	v_lshrrev_b32_e32 v1, 27, v1
	v_add_u32_e32 v1, v0, v1
	v_and_b32_e32 v6, 0xffffffe0, v1
	v_ashrrev_i32_e32 v2, 5, v1
	v_sub_u32_e32 v0, v0, v6
	s_waitcnt lgkmcnt(0)
	v_mad_i64_i32 v[2:3], s[0:1], v2, 22, s[0:1]
	v_ashrrev_i32_e32 v0, 1, v0
	global_load_dword v4, v[2:3], off
	global_load_ushort v5, v[2:3], off offset:4
	v_ashrrev_i32_e32 v1, 31, v0
	v_lshl_add_u64 v[2:3], v[2:3], 0, v[0:1]
	global_load_ubyte v1, v[2:3], off offset:6
	s_mov_b32 s0, 0x1000706
	v_add_u32_e32 v3, 12, v0
	v_add_u32_e32 v2, v6, v0
	s_mov_b32 s1, 0xcc00
	s_waitcnt vmcnt(2)
	v_and_b32_e32 v6, 0xffff, v4
	s_waitcnt vmcnt(1)
	v_perm_b32 v5, v4, v5, s0
	v_lshrrev_b32_e32 v0, v0, v5
	v_lshrrev_b32_e32 v3, v3, v5
	v_lshlrev_b32_e32 v0, 4, v0
	s_waitcnt vmcnt(0)
	v_and_b32_e32 v5, 15, v1
	v_lshrrev_b16_e32 v1, 4, v1
	v_and_or_b32 v0, v0, 16, v5
	v_and_or_b32 v1, v3, 16, v1
	v_cvt_f32_ubyte0_e32 v0, v0
	v_cvt_f32_ubyte0_e32 v1, v1
	v_cvt_pk_f16_f32 v0, v0, v1
	v_lshl_or_b32 v4, v4, 16, v6
	v_pk_add_f16 v0, v0, s1 op_sel_hi:[1,0]
	v_ashrrev_i32_e32 v3, 31, v2
	v_pk_mul_f16 v0, v0, v4
	s_nop 0
	v_cvt_f32_f16_e32 v4, v0
	v_cvt_f32_f16_sdwa v5, v0 dst_sel:DWORD dst_unused:UNUSED_PAD src0_sel:WORD_1
	v_lshl_add_u64 v[0:1], v[2:3], 2, s[2:3]
	global_store_dword v[0:1], v4, off
	global_store_dword v[0:1], v5, off offset:64
.LBB2_2:
	s_endpgm
	.section	.rodata,"a",@progbits
	.p2align	6, 0x0
	.amdhsa_kernel _ZL16dequantize_blockILi32ELi2EXadL_ZL15dequantize_q5_0PKviiR7__half2EEfEvS1_PT2_i
		.amdhsa_group_segment_fixed_size 0
		.amdhsa_private_segment_fixed_size 0
		.amdhsa_kernarg_size 280
		.amdhsa_user_sgpr_count 2
		.amdhsa_user_sgpr_dispatch_ptr 0
		.amdhsa_user_sgpr_queue_ptr 0
		.amdhsa_user_sgpr_kernarg_segment_ptr 1
		.amdhsa_user_sgpr_dispatch_id 0
		.amdhsa_user_sgpr_kernarg_preload_length 0
		.amdhsa_user_sgpr_kernarg_preload_offset 0
		.amdhsa_user_sgpr_private_segment_size 0
		.amdhsa_uses_dynamic_stack 0
		.amdhsa_enable_private_segment 0
		.amdhsa_system_sgpr_workgroup_id_x 1
		.amdhsa_system_sgpr_workgroup_id_y 0
		.amdhsa_system_sgpr_workgroup_id_z 0
		.amdhsa_system_sgpr_workgroup_info 0
		.amdhsa_system_vgpr_workitem_id 0
		.amdhsa_next_free_vgpr 7
		.amdhsa_next_free_sgpr 5
		.amdhsa_accum_offset 8
		.amdhsa_reserve_vcc 1
		.amdhsa_float_round_mode_32 0
		.amdhsa_float_round_mode_16_64 0
		.amdhsa_float_denorm_mode_32 3
		.amdhsa_float_denorm_mode_16_64 3
		.amdhsa_dx10_clamp 1
		.amdhsa_ieee_mode 1
		.amdhsa_fp16_overflow 0
		.amdhsa_tg_split 0
		.amdhsa_exception_fp_ieee_invalid_op 0
		.amdhsa_exception_fp_denorm_src 0
		.amdhsa_exception_fp_ieee_div_zero 0
		.amdhsa_exception_fp_ieee_overflow 0
		.amdhsa_exception_fp_ieee_underflow 0
		.amdhsa_exception_fp_ieee_inexact 0
		.amdhsa_exception_int_div_zero 0
	.end_amdhsa_kernel
	.section	.text._ZL16dequantize_blockILi32ELi2EXadL_ZL15dequantize_q5_0PKviiR7__half2EEfEvS1_PT2_i,"axG",@progbits,_ZL16dequantize_blockILi32ELi2EXadL_ZL15dequantize_q5_0PKviiR7__half2EEfEvS1_PT2_i,comdat
.Lfunc_end2:
	.size	_ZL16dequantize_blockILi32ELi2EXadL_ZL15dequantize_q5_0PKviiR7__half2EEfEvS1_PT2_i, .Lfunc_end2-_ZL16dequantize_blockILi32ELi2EXadL_ZL15dequantize_q5_0PKviiR7__half2EEfEvS1_PT2_i
                                        ; -- End function
	.set _ZL16dequantize_blockILi32ELi2EXadL_ZL15dequantize_q5_0PKviiR7__half2EEfEvS1_PT2_i.num_vgpr, 7
	.set _ZL16dequantize_blockILi32ELi2EXadL_ZL15dequantize_q5_0PKviiR7__half2EEfEvS1_PT2_i.num_agpr, 0
	.set _ZL16dequantize_blockILi32ELi2EXadL_ZL15dequantize_q5_0PKviiR7__half2EEfEvS1_PT2_i.numbered_sgpr, 5
	.set _ZL16dequantize_blockILi32ELi2EXadL_ZL15dequantize_q5_0PKviiR7__half2EEfEvS1_PT2_i.num_named_barrier, 0
	.set _ZL16dequantize_blockILi32ELi2EXadL_ZL15dequantize_q5_0PKviiR7__half2EEfEvS1_PT2_i.private_seg_size, 0
	.set _ZL16dequantize_blockILi32ELi2EXadL_ZL15dequantize_q5_0PKviiR7__half2EEfEvS1_PT2_i.uses_vcc, 1
	.set _ZL16dequantize_blockILi32ELi2EXadL_ZL15dequantize_q5_0PKviiR7__half2EEfEvS1_PT2_i.uses_flat_scratch, 0
	.set _ZL16dequantize_blockILi32ELi2EXadL_ZL15dequantize_q5_0PKviiR7__half2EEfEvS1_PT2_i.has_dyn_sized_stack, 0
	.set _ZL16dequantize_blockILi32ELi2EXadL_ZL15dequantize_q5_0PKviiR7__half2EEfEvS1_PT2_i.has_recursion, 0
	.set _ZL16dequantize_blockILi32ELi2EXadL_ZL15dequantize_q5_0PKviiR7__half2EEfEvS1_PT2_i.has_indirect_call, 0
	.section	.AMDGPU.csdata,"",@progbits
; Kernel info:
; codeLenInByte = 316
; TotalNumSgprs: 11
; NumVgprs: 7
; NumAgprs: 0
; TotalNumVgprs: 7
; ScratchSize: 0
; MemoryBound: 0
; FloatMode: 240
; IeeeMode: 1
; LDSByteSize: 0 bytes/workgroup (compile time only)
; SGPRBlocks: 1
; VGPRBlocks: 0
; NumSGPRsForWavesPerEU: 11
; NumVGPRsForWavesPerEU: 7
; AccumOffset: 8
; Occupancy: 8
; WaveLimiterHint : 0
; COMPUTE_PGM_RSRC2:SCRATCH_EN: 0
; COMPUTE_PGM_RSRC2:USER_SGPR: 2
; COMPUTE_PGM_RSRC2:TRAP_HANDLER: 0
; COMPUTE_PGM_RSRC2:TGID_X_EN: 1
; COMPUTE_PGM_RSRC2:TGID_Y_EN: 0
; COMPUTE_PGM_RSRC2:TGID_Z_EN: 0
; COMPUTE_PGM_RSRC2:TIDIG_COMP_CNT: 0
; COMPUTE_PGM_RSRC3_GFX90A:ACCUM_OFFSET: 1
; COMPUTE_PGM_RSRC3_GFX90A:TG_SPLIT: 0
	.section	.text._ZL16dequantize_blockILi32ELi2EXadL_ZL15dequantize_q5_1PKviiR7__half2EEfEvS1_PT2_i,"axG",@progbits,_ZL16dequantize_blockILi32ELi2EXadL_ZL15dequantize_q5_1PKviiR7__half2EEfEvS1_PT2_i,comdat
	.globl	_ZL16dequantize_blockILi32ELi2EXadL_ZL15dequantize_q5_1PKviiR7__half2EEfEvS1_PT2_i ; -- Begin function _ZL16dequantize_blockILi32ELi2EXadL_ZL15dequantize_q5_1PKviiR7__half2EEfEvS1_PT2_i
	.p2align	8
	.type	_ZL16dequantize_blockILi32ELi2EXadL_ZL15dequantize_q5_1PKviiR7__half2EEfEvS1_PT2_i,@function
_ZL16dequantize_blockILi32ELi2EXadL_ZL15dequantize_q5_1PKviiR7__half2EEfEvS1_PT2_i: ; @_ZL16dequantize_blockILi32ELi2EXadL_ZL15dequantize_q5_1PKviiR7__half2EEfEvS1_PT2_i
; %bb.0:
	s_load_dword s3, s[0:1], 0x24
	s_load_dword s4, s[0:1], 0x10
	s_waitcnt lgkmcnt(0)
	s_and_b32 s3, s3, 0xffff
	s_mul_i32 s2, s2, s3
	v_add_lshl_u32 v0, s2, v0, 1
	v_cmp_gt_i32_e32 vcc, s4, v0
	s_and_saveexec_b64 s[2:3], vcc
	s_cbranch_execz .LBB3_2
; %bb.1:
	v_ashrrev_i32_e32 v1, 31, v0
	s_load_dwordx4 s[0:3], s[0:1], 0x0
	v_lshrrev_b32_e32 v1, 27, v1
	v_add_u32_e32 v1, v0, v1
	v_and_b32_e32 v6, 0xffffffe0, v1
	v_sub_u32_e32 v0, v0, v6
	v_ashrrev_i32_e32 v2, 5, v1
	v_ashrrev_i32_e32 v0, 1, v0
	s_waitcnt lgkmcnt(0)
	v_mad_i64_i32 v[2:3], s[0:1], v2, 24, s[0:1]
	v_ashrrev_i32_e32 v1, 31, v0
	global_load_dwordx2 v[4:5], v[2:3], off
	v_lshl_add_u64 v[2:3], v[2:3], 0, v[0:1]
	global_load_ubyte v1, v[2:3], off offset:8
	s_mov_b32 s0, 0x10001
	s_mov_b32 s1, 0xffff0000
	v_add_u32_e32 v3, 12, v0
	v_add_u32_e32 v2, v6, v0
	s_waitcnt vmcnt(1)
	v_lshrrev_b32_e32 v6, 16, v4
	v_lshrrev_b32_e32 v0, v0, v5
	;; [unrolled: 1-line block ×3, first 2 shown]
	v_mul_u32_u24_sdwa v5, v4, s0 dst_sel:DWORD dst_unused:UNUSED_PAD src0_sel:WORD_0 src1_sel:DWORD
	v_lshlrev_b32_e32 v0, 4, v0
	v_and_or_b32 v4, v4, s1, v6
	s_waitcnt vmcnt(0)
	v_and_b32_e32 v6, 15, v1
	v_lshrrev_b16_e32 v1, 4, v1
	v_and_or_b32 v0, v0, 16, v6
	v_and_or_b32 v1, v3, 16, v1
	v_cvt_f32_ubyte0_e32 v0, v0
	v_cvt_f32_ubyte0_e32 v1, v1
	v_cvt_pk_f16_f32 v0, v0, v1
	v_pk_fma_f16 v0, v0, v5, v4
	v_ashrrev_i32_e32 v3, 31, v2
	v_cvt_f32_f16_e32 v4, v0
	v_cvt_f32_f16_sdwa v5, v0 dst_sel:DWORD dst_unused:UNUSED_PAD src0_sel:WORD_1
	v_lshl_add_u64 v[0:1], v[2:3], 2, s[2:3]
	global_store_dword v[0:1], v4, off
	global_store_dword v[0:1], v5, off offset:64
.LBB3_2:
	s_endpgm
	.section	.rodata,"a",@progbits
	.p2align	6, 0x0
	.amdhsa_kernel _ZL16dequantize_blockILi32ELi2EXadL_ZL15dequantize_q5_1PKviiR7__half2EEfEvS1_PT2_i
		.amdhsa_group_segment_fixed_size 0
		.amdhsa_private_segment_fixed_size 0
		.amdhsa_kernarg_size 280
		.amdhsa_user_sgpr_count 2
		.amdhsa_user_sgpr_dispatch_ptr 0
		.amdhsa_user_sgpr_queue_ptr 0
		.amdhsa_user_sgpr_kernarg_segment_ptr 1
		.amdhsa_user_sgpr_dispatch_id 0
		.amdhsa_user_sgpr_kernarg_preload_length 0
		.amdhsa_user_sgpr_kernarg_preload_offset 0
		.amdhsa_user_sgpr_private_segment_size 0
		.amdhsa_uses_dynamic_stack 0
		.amdhsa_enable_private_segment 0
		.amdhsa_system_sgpr_workgroup_id_x 1
		.amdhsa_system_sgpr_workgroup_id_y 0
		.amdhsa_system_sgpr_workgroup_id_z 0
		.amdhsa_system_sgpr_workgroup_info 0
		.amdhsa_system_vgpr_workitem_id 0
		.amdhsa_next_free_vgpr 7
		.amdhsa_next_free_sgpr 5
		.amdhsa_accum_offset 8
		.amdhsa_reserve_vcc 1
		.amdhsa_float_round_mode_32 0
		.amdhsa_float_round_mode_16_64 0
		.amdhsa_float_denorm_mode_32 3
		.amdhsa_float_denorm_mode_16_64 3
		.amdhsa_dx10_clamp 1
		.amdhsa_ieee_mode 1
		.amdhsa_fp16_overflow 0
		.amdhsa_tg_split 0
		.amdhsa_exception_fp_ieee_invalid_op 0
		.amdhsa_exception_fp_denorm_src 0
		.amdhsa_exception_fp_ieee_div_zero 0
		.amdhsa_exception_fp_ieee_overflow 0
		.amdhsa_exception_fp_ieee_underflow 0
		.amdhsa_exception_fp_ieee_inexact 0
		.amdhsa_exception_int_div_zero 0
	.end_amdhsa_kernel
	.section	.text._ZL16dequantize_blockILi32ELi2EXadL_ZL15dequantize_q5_1PKviiR7__half2EEfEvS1_PT2_i,"axG",@progbits,_ZL16dequantize_blockILi32ELi2EXadL_ZL15dequantize_q5_1PKviiR7__half2EEfEvS1_PT2_i,comdat
.Lfunc_end3:
	.size	_ZL16dequantize_blockILi32ELi2EXadL_ZL15dequantize_q5_1PKviiR7__half2EEfEvS1_PT2_i, .Lfunc_end3-_ZL16dequantize_blockILi32ELi2EXadL_ZL15dequantize_q5_1PKviiR7__half2EEfEvS1_PT2_i
                                        ; -- End function
	.set _ZL16dequantize_blockILi32ELi2EXadL_ZL15dequantize_q5_1PKviiR7__half2EEfEvS1_PT2_i.num_vgpr, 7
	.set _ZL16dequantize_blockILi32ELi2EXadL_ZL15dequantize_q5_1PKviiR7__half2EEfEvS1_PT2_i.num_agpr, 0
	.set _ZL16dequantize_blockILi32ELi2EXadL_ZL15dequantize_q5_1PKviiR7__half2EEfEvS1_PT2_i.numbered_sgpr, 5
	.set _ZL16dequantize_blockILi32ELi2EXadL_ZL15dequantize_q5_1PKviiR7__half2EEfEvS1_PT2_i.num_named_barrier, 0
	.set _ZL16dequantize_blockILi32ELi2EXadL_ZL15dequantize_q5_1PKviiR7__half2EEfEvS1_PT2_i.private_seg_size, 0
	.set _ZL16dequantize_blockILi32ELi2EXadL_ZL15dequantize_q5_1PKviiR7__half2EEfEvS1_PT2_i.uses_vcc, 1
	.set _ZL16dequantize_blockILi32ELi2EXadL_ZL15dequantize_q5_1PKviiR7__half2EEfEvS1_PT2_i.uses_flat_scratch, 0
	.set _ZL16dequantize_blockILi32ELi2EXadL_ZL15dequantize_q5_1PKviiR7__half2EEfEvS1_PT2_i.has_dyn_sized_stack, 0
	.set _ZL16dequantize_blockILi32ELi2EXadL_ZL15dequantize_q5_1PKviiR7__half2EEfEvS1_PT2_i.has_recursion, 0
	.set _ZL16dequantize_blockILi32ELi2EXadL_ZL15dequantize_q5_1PKviiR7__half2EEfEvS1_PT2_i.has_indirect_call, 0
	.section	.AMDGPU.csdata,"",@progbits
; Kernel info:
; codeLenInByte = 288
; TotalNumSgprs: 11
; NumVgprs: 7
; NumAgprs: 0
; TotalNumVgprs: 7
; ScratchSize: 0
; MemoryBound: 0
; FloatMode: 240
; IeeeMode: 1
; LDSByteSize: 0 bytes/workgroup (compile time only)
; SGPRBlocks: 1
; VGPRBlocks: 0
; NumSGPRsForWavesPerEU: 11
; NumVGPRsForWavesPerEU: 7
; AccumOffset: 8
; Occupancy: 8
; WaveLimiterHint : 0
; COMPUTE_PGM_RSRC2:SCRATCH_EN: 0
; COMPUTE_PGM_RSRC2:USER_SGPR: 2
; COMPUTE_PGM_RSRC2:TRAP_HANDLER: 0
; COMPUTE_PGM_RSRC2:TGID_X_EN: 1
; COMPUTE_PGM_RSRC2:TGID_Y_EN: 0
; COMPUTE_PGM_RSRC2:TGID_Z_EN: 0
; COMPUTE_PGM_RSRC2:TIDIG_COMP_CNT: 0
; COMPUTE_PGM_RSRC3_GFX90A:ACCUM_OFFSET: 1
; COMPUTE_PGM_RSRC3_GFX90A:TG_SPLIT: 0
	.section	.text._ZL16dequantize_blockILi32ELi1EXadL_ZL15dequantize_q8_0PKviiR7__half2EEfEvS1_PT2_i,"axG",@progbits,_ZL16dequantize_blockILi32ELi1EXadL_ZL15dequantize_q8_0PKviiR7__half2EEfEvS1_PT2_i,comdat
	.globl	_ZL16dequantize_blockILi32ELi1EXadL_ZL15dequantize_q8_0PKviiR7__half2EEfEvS1_PT2_i ; -- Begin function _ZL16dequantize_blockILi32ELi1EXadL_ZL15dequantize_q8_0PKviiR7__half2EEfEvS1_PT2_i
	.p2align	8
	.type	_ZL16dequantize_blockILi32ELi1EXadL_ZL15dequantize_q8_0PKviiR7__half2EEfEvS1_PT2_i,@function
_ZL16dequantize_blockILi32ELi1EXadL_ZL15dequantize_q8_0PKviiR7__half2EEfEvS1_PT2_i: ; @_ZL16dequantize_blockILi32ELi1EXadL_ZL15dequantize_q8_0PKviiR7__half2EEfEvS1_PT2_i
; %bb.0:
	s_load_dword s3, s[0:1], 0x24
	s_load_dword s4, s[0:1], 0x10
	s_waitcnt lgkmcnt(0)
	s_and_b32 s3, s3, 0xffff
	s_mul_i32 s2, s2, s3
	v_add_lshl_u32 v0, s2, v0, 1
	v_cmp_gt_i32_e32 vcc, s4, v0
	s_and_saveexec_b64 s[2:3], vcc
	s_cbranch_execz .LBB4_2
; %bb.1:
	s_load_dwordx4 s[0:3], s[0:1], 0x0
	v_ashrrev_i32_e32 v1, 31, v0
	v_lshrrev_b32_e32 v2, 27, v1
	v_add_u32_e32 v2, v0, v2
	v_ashrrev_i32_e32 v3, 5, v2
	v_and_b32_e32 v2, 0xffffffe0, v2
	v_sub_u32_e32 v2, v0, v2
	s_waitcnt lgkmcnt(0)
	v_mad_i64_i32 v[4:5], s[0:1], v3, 34, s[0:1]
	v_ashrrev_i32_e32 v3, 31, v2
	v_lshl_add_u64 v[2:3], v[4:5], 0, v[2:3]
	global_load_ushort v6, v[4:5], off
	global_load_ushort v7, v[2:3], off offset:2
	v_lshl_add_u64 v[0:1], v[0:1], 2, s[2:3]
	s_waitcnt vmcnt(1)
	v_lshl_or_b32 v2, v6, 16, v6
	s_waitcnt vmcnt(0)
	v_cvt_f16_i16_sdwa v3, sext(v7) dst_sel:DWORD dst_unused:UNUSED_PAD src0_sel:BYTE_1
	v_cvt_f16_i16_sdwa v4, sext(v7) dst_sel:DWORD dst_unused:UNUSED_PAD src0_sel:BYTE_0
	v_pack_b32_f16 v3, v4, v3
	v_pk_mul_f16 v3, v3, v2
	s_nop 0
	v_cvt_f32_f16_e32 v2, v3
	v_cvt_f32_f16_sdwa v3, v3 dst_sel:DWORD dst_unused:UNUSED_PAD src0_sel:WORD_1
	global_store_dwordx2 v[0:1], v[2:3], off
.LBB4_2:
	s_endpgm
	.section	.rodata,"a",@progbits
	.p2align	6, 0x0
	.amdhsa_kernel _ZL16dequantize_blockILi32ELi1EXadL_ZL15dequantize_q8_0PKviiR7__half2EEfEvS1_PT2_i
		.amdhsa_group_segment_fixed_size 0
		.amdhsa_private_segment_fixed_size 0
		.amdhsa_kernarg_size 280
		.amdhsa_user_sgpr_count 2
		.amdhsa_user_sgpr_dispatch_ptr 0
		.amdhsa_user_sgpr_queue_ptr 0
		.amdhsa_user_sgpr_kernarg_segment_ptr 1
		.amdhsa_user_sgpr_dispatch_id 0
		.amdhsa_user_sgpr_kernarg_preload_length 0
		.amdhsa_user_sgpr_kernarg_preload_offset 0
		.amdhsa_user_sgpr_private_segment_size 0
		.amdhsa_uses_dynamic_stack 0
		.amdhsa_enable_private_segment 0
		.amdhsa_system_sgpr_workgroup_id_x 1
		.amdhsa_system_sgpr_workgroup_id_y 0
		.amdhsa_system_sgpr_workgroup_id_z 0
		.amdhsa_system_sgpr_workgroup_info 0
		.amdhsa_system_vgpr_workitem_id 0
		.amdhsa_next_free_vgpr 8
		.amdhsa_next_free_sgpr 5
		.amdhsa_accum_offset 8
		.amdhsa_reserve_vcc 1
		.amdhsa_float_round_mode_32 0
		.amdhsa_float_round_mode_16_64 0
		.amdhsa_float_denorm_mode_32 3
		.amdhsa_float_denorm_mode_16_64 3
		.amdhsa_dx10_clamp 1
		.amdhsa_ieee_mode 1
		.amdhsa_fp16_overflow 0
		.amdhsa_tg_split 0
		.amdhsa_exception_fp_ieee_invalid_op 0
		.amdhsa_exception_fp_denorm_src 0
		.amdhsa_exception_fp_ieee_div_zero 0
		.amdhsa_exception_fp_ieee_overflow 0
		.amdhsa_exception_fp_ieee_underflow 0
		.amdhsa_exception_fp_ieee_inexact 0
		.amdhsa_exception_int_div_zero 0
	.end_amdhsa_kernel
	.section	.text._ZL16dequantize_blockILi32ELi1EXadL_ZL15dequantize_q8_0PKviiR7__half2EEfEvS1_PT2_i,"axG",@progbits,_ZL16dequantize_blockILi32ELi1EXadL_ZL15dequantize_q8_0PKviiR7__half2EEfEvS1_PT2_i,comdat
.Lfunc_end4:
	.size	_ZL16dequantize_blockILi32ELi1EXadL_ZL15dequantize_q8_0PKviiR7__half2EEfEvS1_PT2_i, .Lfunc_end4-_ZL16dequantize_blockILi32ELi1EXadL_ZL15dequantize_q8_0PKviiR7__half2EEfEvS1_PT2_i
                                        ; -- End function
	.set _ZL16dequantize_blockILi32ELi1EXadL_ZL15dequantize_q8_0PKviiR7__half2EEfEvS1_PT2_i.num_vgpr, 8
	.set _ZL16dequantize_blockILi32ELi1EXadL_ZL15dequantize_q8_0PKviiR7__half2EEfEvS1_PT2_i.num_agpr, 0
	.set _ZL16dequantize_blockILi32ELi1EXadL_ZL15dequantize_q8_0PKviiR7__half2EEfEvS1_PT2_i.numbered_sgpr, 5
	.set _ZL16dequantize_blockILi32ELi1EXadL_ZL15dequantize_q8_0PKviiR7__half2EEfEvS1_PT2_i.num_named_barrier, 0
	.set _ZL16dequantize_blockILi32ELi1EXadL_ZL15dequantize_q8_0PKviiR7__half2EEfEvS1_PT2_i.private_seg_size, 0
	.set _ZL16dequantize_blockILi32ELi1EXadL_ZL15dequantize_q8_0PKviiR7__half2EEfEvS1_PT2_i.uses_vcc, 1
	.set _ZL16dequantize_blockILi32ELi1EXadL_ZL15dequantize_q8_0PKviiR7__half2EEfEvS1_PT2_i.uses_flat_scratch, 0
	.set _ZL16dequantize_blockILi32ELi1EXadL_ZL15dequantize_q8_0PKviiR7__half2EEfEvS1_PT2_i.has_dyn_sized_stack, 0
	.set _ZL16dequantize_blockILi32ELi1EXadL_ZL15dequantize_q8_0PKviiR7__half2EEfEvS1_PT2_i.has_recursion, 0
	.set _ZL16dequantize_blockILi32ELi1EXadL_ZL15dequantize_q8_0PKviiR7__half2EEfEvS1_PT2_i.has_indirect_call, 0
	.section	.AMDGPU.csdata,"",@progbits
; Kernel info:
; codeLenInByte = 212
; TotalNumSgprs: 11
; NumVgprs: 8
; NumAgprs: 0
; TotalNumVgprs: 8
; ScratchSize: 0
; MemoryBound: 0
; FloatMode: 240
; IeeeMode: 1
; LDSByteSize: 0 bytes/workgroup (compile time only)
; SGPRBlocks: 1
; VGPRBlocks: 0
; NumSGPRsForWavesPerEU: 11
; NumVGPRsForWavesPerEU: 8
; AccumOffset: 8
; Occupancy: 8
; WaveLimiterHint : 0
; COMPUTE_PGM_RSRC2:SCRATCH_EN: 0
; COMPUTE_PGM_RSRC2:USER_SGPR: 2
; COMPUTE_PGM_RSRC2:TRAP_HANDLER: 0
; COMPUTE_PGM_RSRC2:TGID_X_EN: 1
; COMPUTE_PGM_RSRC2:TGID_Y_EN: 0
; COMPUTE_PGM_RSRC2:TGID_Z_EN: 0
; COMPUTE_PGM_RSRC2:TIDIG_COMP_CNT: 0
; COMPUTE_PGM_RSRC3_GFX90A:ACCUM_OFFSET: 1
; COMPUTE_PGM_RSRC3_GFX90A:TG_SPLIT: 0
	.section	.text._ZL21dequantize_block_q2_KIfEvPKvPT_,"axG",@progbits,_ZL21dequantize_block_q2_KIfEvPKvPT_,comdat
	.globl	_ZL21dequantize_block_q2_KIfEvPKvPT_ ; -- Begin function _ZL21dequantize_block_q2_KIfEvPKvPT_
	.p2align	8
	.type	_ZL21dequantize_block_q2_KIfEvPKvPT_,@function
_ZL21dequantize_block_q2_KIfEvPKvPT_:   ; @_ZL21dequantize_block_q2_KIfEvPKvPT_
; %bb.0:
	s_load_dwordx4 s[4:7], s[0:1], 0x0
	s_mul_i32 s0, s2, 0x54
	v_lshrrev_b32_e32 v2, 5, v0
	v_bfe_u32 v1, v0, 4, 1
	s_mul_hi_u32 s1, s2, 0x54
	s_waitcnt lgkmcnt(0)
	s_add_u32 s0, s4, s0
	v_lshl_or_b32 v1, v2, 3, v1
	s_addc_u32 s1, s5, s1
	global_load_ubyte v4, v1, s[0:1]
	global_load_ubyte v5, v0, s[0:1] offset:16
	global_load_ubyte v6, v1, s[0:1] offset:2
	;; [unrolled: 1-line block ×4, first 2 shown]
	s_load_dword s3, s[0:1], 0x50
	s_mov_b32 s1, 0
	s_lshl_b32 s0, s2, 8
	s_lshl_b64 s[0:1], s[0:1], 2
	s_add_u32 s0, s6, s0
	v_mov_b32_e32 v1, 0
	v_and_b32_e32 v9, 31, v0
	v_lshlrev_b32_e32 v0, 9, v2
	s_addc_u32 s1, s7, s1
	v_lshl_add_u64 v[2:3], s[0:1], 0, v[0:1]
	v_lshlrev_b32_e32 v0, 2, v9
	v_lshl_add_u64 v[0:1], v[2:3], 0, v[0:1]
	s_waitcnt lgkmcnt(0)
	s_lshr_b32 s0, s3, 16
	s_waitcnt vmcnt(4)
	v_and_b32_e32 v2, 15, v4
	s_waitcnt vmcnt(3)
	v_and_b32_e32 v3, 3, v5
	v_lshrrev_b16_e32 v4, 4, v4
	s_waitcnt vmcnt(2)
	v_and_b32_e32 v9, 15, v6
	v_bfe_u32 v10, v5, 2, 2
	v_mul_u32_u24_sdwa v2, v3, v2 dst_sel:DWORD dst_unused:UNUSED_PAD src0_sel:DWORD src1_sel:WORD_0
	s_waitcnt vmcnt(1)
	v_and_b32_e32 v11, 15, v7
	v_bfe_u32 v12, v5, 4, 2
	v_cvt_f16_u16_e32 v3, v4
	v_mul_u32_u24_sdwa v4, v10, v9 dst_sel:DWORD dst_unused:UNUSED_PAD src0_sel:DWORD src1_sel:WORD_0
	v_cvt_f32_ubyte0_e32 v2, v2
	s_waitcnt vmcnt(0)
	v_and_b32_e32 v13, 15, v8
	v_lshrrev_b32_e32 v5, 6, v5
	v_mul_u32_u24_sdwa v9, v12, v11 dst_sel:DWORD dst_unused:UNUSED_PAD src0_sel:DWORD src1_sel:WORD_0
	v_cvt_f32_ubyte0_e32 v4, v4
	v_cvt_f16_f32_e32 v2, v2
	v_mul_u32_u24_sdwa v5, v5, v13 dst_sel:DWORD dst_unused:UNUSED_PAD src0_sel:DWORD src1_sel:WORD_0
	v_cvt_f32_ubyte0_e32 v9, v9
	v_cvt_f16_f32_e32 v4, v4
	v_lshrrev_b16_e32 v6, 4, v6
	v_cvt_f32_ubyte0_e32 v5, v5
	v_cvt_f16_f32_e32 v9, v9
	v_lshrrev_b16_e32 v7, 4, v7
	v_cvt_f16_u16_e32 v6, v6
	v_mul_f16_e32 v3, s0, v3
	v_cvt_f16_f32_e32 v5, v5
	v_lshrrev_b16_e32 v8, 4, v8
	v_cvt_f16_u16_e32 v7, v7
	v_mul_f16_e32 v6, s0, v6
	v_fma_f16 v2, s3, v2, -v3
	v_cvt_f16_u16_e32 v8, v8
	v_mul_f16_e32 v7, s0, v7
	v_fma_f16 v3, s3, v4, -v6
	v_cvt_f32_f16_e32 v2, v2
	v_mul_f16_e32 v8, s0, v8
	v_fma_f16 v4, s3, v9, -v7
	v_cvt_f32_f16_e32 v3, v3
	v_fma_f16 v5, s3, v5, -v8
	v_cvt_f32_f16_e32 v4, v4
	v_cvt_f32_f16_e32 v5, v5
	global_store_dword v[0:1], v2, off
	global_store_dword v[0:1], v3, off offset:128
	global_store_dword v[0:1], v4, off offset:256
	;; [unrolled: 1-line block ×3, first 2 shown]
	s_endpgm
	.section	.rodata,"a",@progbits
	.p2align	6, 0x0
	.amdhsa_kernel _ZL21dequantize_block_q2_KIfEvPKvPT_
		.amdhsa_group_segment_fixed_size 0
		.amdhsa_private_segment_fixed_size 0
		.amdhsa_kernarg_size 16
		.amdhsa_user_sgpr_count 2
		.amdhsa_user_sgpr_dispatch_ptr 0
		.amdhsa_user_sgpr_queue_ptr 0
		.amdhsa_user_sgpr_kernarg_segment_ptr 1
		.amdhsa_user_sgpr_dispatch_id 0
		.amdhsa_user_sgpr_kernarg_preload_length 0
		.amdhsa_user_sgpr_kernarg_preload_offset 0
		.amdhsa_user_sgpr_private_segment_size 0
		.amdhsa_uses_dynamic_stack 0
		.amdhsa_enable_private_segment 0
		.amdhsa_system_sgpr_workgroup_id_x 1
		.amdhsa_system_sgpr_workgroup_id_y 0
		.amdhsa_system_sgpr_workgroup_id_z 0
		.amdhsa_system_sgpr_workgroup_info 0
		.amdhsa_system_vgpr_workitem_id 0
		.amdhsa_next_free_vgpr 14
		.amdhsa_next_free_sgpr 8
		.amdhsa_accum_offset 16
		.amdhsa_reserve_vcc 0
		.amdhsa_float_round_mode_32 0
		.amdhsa_float_round_mode_16_64 0
		.amdhsa_float_denorm_mode_32 3
		.amdhsa_float_denorm_mode_16_64 3
		.amdhsa_dx10_clamp 1
		.amdhsa_ieee_mode 1
		.amdhsa_fp16_overflow 0
		.amdhsa_tg_split 0
		.amdhsa_exception_fp_ieee_invalid_op 0
		.amdhsa_exception_fp_denorm_src 0
		.amdhsa_exception_fp_ieee_div_zero 0
		.amdhsa_exception_fp_ieee_overflow 0
		.amdhsa_exception_fp_ieee_underflow 0
		.amdhsa_exception_fp_ieee_inexact 0
		.amdhsa_exception_int_div_zero 0
	.end_amdhsa_kernel
	.section	.text._ZL21dequantize_block_q2_KIfEvPKvPT_,"axG",@progbits,_ZL21dequantize_block_q2_KIfEvPKvPT_,comdat
.Lfunc_end5:
	.size	_ZL21dequantize_block_q2_KIfEvPKvPT_, .Lfunc_end5-_ZL21dequantize_block_q2_KIfEvPKvPT_
                                        ; -- End function
	.set _ZL21dequantize_block_q2_KIfEvPKvPT_.num_vgpr, 14
	.set _ZL21dequantize_block_q2_KIfEvPKvPT_.num_agpr, 0
	.set _ZL21dequantize_block_q2_KIfEvPKvPT_.numbered_sgpr, 8
	.set _ZL21dequantize_block_q2_KIfEvPKvPT_.num_named_barrier, 0
	.set _ZL21dequantize_block_q2_KIfEvPKvPT_.private_seg_size, 0
	.set _ZL21dequantize_block_q2_KIfEvPKvPT_.uses_vcc, 0
	.set _ZL21dequantize_block_q2_KIfEvPKvPT_.uses_flat_scratch, 0
	.set _ZL21dequantize_block_q2_KIfEvPKvPT_.has_dyn_sized_stack, 0
	.set _ZL21dequantize_block_q2_KIfEvPKvPT_.has_recursion, 0
	.set _ZL21dequantize_block_q2_KIfEvPKvPT_.has_indirect_call, 0
	.section	.AMDGPU.csdata,"",@progbits
; Kernel info:
; codeLenInByte = 420
; TotalNumSgprs: 14
; NumVgprs: 14
; NumAgprs: 0
; TotalNumVgprs: 14
; ScratchSize: 0
; MemoryBound: 0
; FloatMode: 240
; IeeeMode: 1
; LDSByteSize: 0 bytes/workgroup (compile time only)
; SGPRBlocks: 1
; VGPRBlocks: 1
; NumSGPRsForWavesPerEU: 14
; NumVGPRsForWavesPerEU: 14
; AccumOffset: 16
; Occupancy: 8
; WaveLimiterHint : 0
; COMPUTE_PGM_RSRC2:SCRATCH_EN: 0
; COMPUTE_PGM_RSRC2:USER_SGPR: 2
; COMPUTE_PGM_RSRC2:TRAP_HANDLER: 0
; COMPUTE_PGM_RSRC2:TGID_X_EN: 1
; COMPUTE_PGM_RSRC2:TGID_Y_EN: 0
; COMPUTE_PGM_RSRC2:TGID_Z_EN: 0
; COMPUTE_PGM_RSRC2:TIDIG_COMP_CNT: 0
; COMPUTE_PGM_RSRC3_GFX90A:ACCUM_OFFSET: 3
; COMPUTE_PGM_RSRC3_GFX90A:TG_SPLIT: 0
	.section	.text._ZL21dequantize_block_q3_KIfEvPKvPT_,"axG",@progbits,_ZL21dequantize_block_q3_KIfEvPKvPT_,comdat
	.globl	_ZL21dequantize_block_q3_KIfEvPKvPT_ ; -- Begin function _ZL21dequantize_block_q3_KIfEvPKvPT_
	.p2align	8
	.type	_ZL21dequantize_block_q3_KIfEvPKvPT_,@function
_ZL21dequantize_block_q3_KIfEvPKvPT_:   ; @_ZL21dequantize_block_q3_KIfEvPKvPT_
; %bb.0:
	v_lshrrev_b32_e32 v8, 5, v0
	v_lshrrev_b32_e32 v6, 3, v0
	v_lshlrev_b32_e32 v1, 2, v8
	s_load_dwordx4 s[4:7], s[0:1], 0x0
	v_sub_u32_e32 v7, v6, v1
	v_lshlrev_b32_e32 v1, 1, v7
	v_bfe_u32 v9, v0, 2, 1
	v_lshl_add_u32 v11, v8, 3, v1
	v_or_b32_e32 v4, v11, v9
	s_mov_b32 s3, 0
	v_cmp_lt_i32_e32 vcc, 3, v4
	v_mov_b64_e32 v[2:3], s[2:3]
                                        ; implicit-def: $vgpr10
                                        ; implicit-def: $vgpr5
	s_and_saveexec_b64 s[0:1], vcc
	s_xor_b64 s[0:1], exec, s[0:1]
	s_cbranch_execz .LBB6_10
; %bb.1:
	v_cmp_lt_u32_e32 vcc, 7, v11
	v_mov_b64_e32 v[2:3], s[2:3]
                                        ; implicit-def: $vgpr10
                                        ; implicit-def: $vgpr5
	s_and_saveexec_b64 s[8:9], vcc
	s_xor_b64 s[8:9], exec, s[8:9]
	s_cbranch_execz .LBB6_7
; %bb.2:
	s_mul_i32 s10, s2, 0x6e
	s_mul_hi_u32 s3, s2, 0x6e
	s_waitcnt lgkmcnt(0)
	s_add_u32 s10, s4, s10
	s_addc_u32 s11, s5, s3
	global_load_ubyte v10, v4, s[10:11] offset:88
	v_mov_b32_e32 v5, 0
	v_cmp_lt_u32_e32 vcc, 11, v11
	s_mov_b32 s3, 0
	v_lshl_add_u64 v[2:3], s[10:11], 0, v[4:5]
                                        ; implicit-def: $vgpr5
	s_and_saveexec_b64 s[10:11], vcc
	s_xor_b64 s[10:11], exec, s[10:11]
	s_cbranch_execz .LBB6_4
; %bb.3:
	global_load_ubyte v2, v[2:3], off offset:92
	s_waitcnt vmcnt(0)
	v_lshrrev_b16_e32 v5, 2, v2
                                        ; implicit-def: $vgpr2_vgpr3
.LBB6_4:
	s_andn2_saveexec_b64 s[10:11], s[10:11]
	s_cbranch_execz .LBB6_6
; %bb.5:
	global_load_ubyte v5, v[2:3], off offset:96
.LBB6_6:
	s_or_b64 exec, exec, s[10:11]
	s_waitcnt vmcnt(0)
	v_lshrrev_b16_e32 v10, 4, v10
	v_mov_b64_e32 v[2:3], s[2:3]
                                        ; implicit-def: $vgpr4
.LBB6_7:
	s_andn2_saveexec_b64 s[8:9], s[8:9]
	s_cbranch_execz .LBB6_9
; %bb.8:
	s_mul_i32 s10, s2, 0x6e
	s_mul_hi_u32 s3, s2, 0x6e
	s_waitcnt lgkmcnt(0)
	s_add_u32 s10, s4, s10
	s_addc_u32 s11, s5, s3
	global_load_ubyte v3, v4, s[10:11] offset:96
	global_load_ubyte v5, v4, s[10:11] offset:100
	s_waitcnt vmcnt(1)
	v_and_b32_e32 v10, 15, v3
	s_waitcnt vmcnt(0)
	v_lshlrev_b16_e32 v5, 2, v5
.LBB6_9:
	s_or_b64 exec, exec, s[8:9]
                                        ; implicit-def: $vgpr4
.LBB6_10:
	s_andn2_saveexec_b64 s[0:1], s[0:1]
	s_cbranch_execz .LBB6_12
; %bb.11:
	s_mul_i32 s8, s2, 0x6e
	s_mul_hi_u32 s3, s2, 0x6e
	s_waitcnt lgkmcnt(0)
	s_add_u32 s8, s4, s8
	s_addc_u32 s9, s5, s3
	v_ashrrev_i32_e32 v5, 31, v4
	v_lshl_add_u64 v[4:5], s[8:9], 0, v[4:5]
	global_load_ubyte v3, v[4:5], off offset:96
	global_load_ubyte v11, v[4:5], off offset:104
	s_waitcnt vmcnt(1)
	v_and_b32_e32 v10, 15, v3
	s_waitcnt vmcnt(0)
	v_lshlrev_b16_e32 v5, 4, v11
.LBB6_12:
	s_or_b64 exec, exec, s[0:1]
	v_lshlrev_b32_e32 v3, 2, v0
	v_and_b32_e32 v3, 12, v3
	s_movk_i32 s0, 0x6e
	s_waitcnt lgkmcnt(0)
	v_mov_b64_e32 v[14:15], s[4:5]
	v_lshl_or_b32 v12, v9, 4, v3
	v_mad_u64_u32 v[2:3], s[0:1], v2, s0, v[14:15]
	s_lshl_b32 s0, s2, 8
	s_mov_b32 s1, 0
	s_lshl_b64 s[0:1], s[0:1], 2
	s_add_u32 s0, s6, s0
	s_addc_u32 s1, s7, s1
	v_lshlrev_b32_e32 v8, 9, v8
	v_mov_b32_e32 v9, 0
	v_lshl_add_u64 v[14:15], s[0:1], 0, v[8:9]
	v_and_b32_e32 v8, 0x3e0, v0
	v_lshl_add_u64 v[16:17], v[2:3], 0, v[8:9]
	v_mov_b32_e32 v13, v9
	v_lshl_add_u64 v[16:17], v[16:17], 0, v[12:13]
	global_load_dword v0, v[16:17], off offset:32
	v_lshl_add_u64 v[16:17], v[2:3], 0, v[12:13]
	global_load_dword v8, v[16:17], off
	global_load_ushort v11, v[2:3], off offset:108
	v_bitop3_b16 v2, v5, v10, 48 bitop3:0xec
	v_mov_b32_e32 v3, 32
	v_sub_u32_sdwa v2, v2, v3 dst_sel:DWORD dst_unused:UNUSED_PAD src0_sel:BYTE_0 src1_sel:DWORD
	v_lshlrev_b32_e64 v3, v6, 1
	v_lshlrev_b32_e32 v4, 5, v7
	v_cvt_f32_i32_e32 v2, v2
	v_cvt_f16_f32_e32 v2, v2
	s_waitcnt vmcnt(2)
	v_lshrrev_b32_sdwa v5, v1, v0 dst_sel:DWORD dst_unused:UNUSED_PAD src0_sel:DWORD src1_sel:BYTE_1
	s_waitcnt vmcnt(1)
	v_and_b32_sdwa v7, v3, v8 dst_sel:DWORD dst_unused:UNUSED_PAD src0_sel:DWORD src1_sel:BYTE_1
	v_and_b32_sdwa v10, v3, v8 dst_sel:DWORD dst_unused:UNUSED_PAD src0_sel:DWORD src1_sel:BYTE_0
	v_cmp_eq_u32_e32 vcc, 0, v7
	v_lshrrev_b32_sdwa v6, v1, v0 dst_sel:DWORD dst_unused:UNUSED_PAD src0_sel:DWORD src1_sel:BYTE_0
	v_lshrrev_b32_sdwa v13, v1, v0 dst_sel:DWORD dst_unused:UNUSED_PAD src0_sel:DWORD src1_sel:BYTE_3
	v_lshrrev_b32_sdwa v0, v1, v0 dst_sel:DWORD dst_unused:UNUSED_PAD src0_sel:DWORD src1_sel:BYTE_2
	v_and_b32_sdwa v1, v3, v8 dst_sel:DWORD dst_unused:UNUSED_PAD src0_sel:DWORD src1_sel:BYTE_3
	v_cndmask_b32_e64 v7, 0, -4, vcc
	v_cmp_eq_u32_e32 vcc, 0, v10
	v_and_b32_sdwa v3, v3, v8 dst_sel:DWORD dst_unused:UNUSED_PAD src0_sel:DWORD src1_sel:BYTE_2
	v_and_b32_e32 v5, 3, v5
	v_cndmask_b32_e64 v8, 0, -4, vcc
	v_cmp_eq_u32_e32 vcc, 0, v1
	v_and_b32_e32 v6, 3, v6
	v_and_b32_e32 v10, 3, v13
	v_cndmask_b32_e64 v1, 0, -4, vcc
	v_cmp_eq_u32_e32 vcc, 0, v3
	v_and_b32_e32 v0, 3, v0
	v_or_b32_e32 v5, v7, v5
	v_cndmask_b32_e64 v3, 0, -4, vcc
	v_or_b32_e32 v6, v8, v6
	v_or_b32_e32 v1, v1, v10
	;; [unrolled: 1-line block ×3, first 2 shown]
	v_cvt_f32_i32_e32 v3, v5
	v_cvt_f32_i32_e32 v5, v6
	;; [unrolled: 1-line block ×4, first 2 shown]
	v_cvt_f16_f32_e32 v3, v3
	v_cvt_f16_f32_e32 v6, v5
	;; [unrolled: 1-line block ×4, first 2 shown]
	s_waitcnt vmcnt(0)
	v_mul_f16_e32 v2, v11, v2
	v_pack_b32_f16 v3, v6, v3
	v_ashrrev_i32_e32 v5, 31, v4
	v_pack_b32_f16 v0, v0, v1
	v_pk_mul_f16 v1, v2, v3 op_sel_hi:[0,1]
	v_pk_mul_f16 v3, v2, v0 op_sel_hi:[0,1]
	v_cvt_f32_f16_e32 v0, v1
	v_cvt_f32_f16_sdwa v1, v1 dst_sel:DWORD dst_unused:UNUSED_PAD src0_sel:WORD_1
	v_cvt_f32_f16_e32 v2, v3
	v_cvt_f32_f16_sdwa v3, v3 dst_sel:DWORD dst_unused:UNUSED_PAD src0_sel:WORD_1
	v_lshl_add_u64 v[4:5], v[4:5], 2, v[14:15]
	v_lshlrev_b32_e32 v8, 2, v12
	v_lshl_add_u64 v[4:5], v[4:5], 0, v[8:9]
	global_store_dwordx4 v[4:5], v[0:3], off
	s_endpgm
	.section	.rodata,"a",@progbits
	.p2align	6, 0x0
	.amdhsa_kernel _ZL21dequantize_block_q3_KIfEvPKvPT_
		.amdhsa_group_segment_fixed_size 0
		.amdhsa_private_segment_fixed_size 0
		.amdhsa_kernarg_size 16
		.amdhsa_user_sgpr_count 2
		.amdhsa_user_sgpr_dispatch_ptr 0
		.amdhsa_user_sgpr_queue_ptr 0
		.amdhsa_user_sgpr_kernarg_segment_ptr 1
		.amdhsa_user_sgpr_dispatch_id 0
		.amdhsa_user_sgpr_kernarg_preload_length 0
		.amdhsa_user_sgpr_kernarg_preload_offset 0
		.amdhsa_user_sgpr_private_segment_size 0
		.amdhsa_uses_dynamic_stack 0
		.amdhsa_enable_private_segment 0
		.amdhsa_system_sgpr_workgroup_id_x 1
		.amdhsa_system_sgpr_workgroup_id_y 0
		.amdhsa_system_sgpr_workgroup_id_z 0
		.amdhsa_system_sgpr_workgroup_info 0
		.amdhsa_system_vgpr_workitem_id 0
		.amdhsa_next_free_vgpr 18
		.amdhsa_next_free_sgpr 12
		.amdhsa_accum_offset 20
		.amdhsa_reserve_vcc 1
		.amdhsa_float_round_mode_32 0
		.amdhsa_float_round_mode_16_64 0
		.amdhsa_float_denorm_mode_32 3
		.amdhsa_float_denorm_mode_16_64 3
		.amdhsa_dx10_clamp 1
		.amdhsa_ieee_mode 1
		.amdhsa_fp16_overflow 0
		.amdhsa_tg_split 0
		.amdhsa_exception_fp_ieee_invalid_op 0
		.amdhsa_exception_fp_denorm_src 0
		.amdhsa_exception_fp_ieee_div_zero 0
		.amdhsa_exception_fp_ieee_overflow 0
		.amdhsa_exception_fp_ieee_underflow 0
		.amdhsa_exception_fp_ieee_inexact 0
		.amdhsa_exception_int_div_zero 0
	.end_amdhsa_kernel
	.section	.text._ZL21dequantize_block_q3_KIfEvPKvPT_,"axG",@progbits,_ZL21dequantize_block_q3_KIfEvPKvPT_,comdat
.Lfunc_end6:
	.size	_ZL21dequantize_block_q3_KIfEvPKvPT_, .Lfunc_end6-_ZL21dequantize_block_q3_KIfEvPKvPT_
                                        ; -- End function
	.set _ZL21dequantize_block_q3_KIfEvPKvPT_.num_vgpr, 18
	.set _ZL21dequantize_block_q3_KIfEvPKvPT_.num_agpr, 0
	.set _ZL21dequantize_block_q3_KIfEvPKvPT_.numbered_sgpr, 12
	.set _ZL21dequantize_block_q3_KIfEvPKvPT_.num_named_barrier, 0
	.set _ZL21dequantize_block_q3_KIfEvPKvPT_.private_seg_size, 0
	.set _ZL21dequantize_block_q3_KIfEvPKvPT_.uses_vcc, 1
	.set _ZL21dequantize_block_q3_KIfEvPKvPT_.uses_flat_scratch, 0
	.set _ZL21dequantize_block_q3_KIfEvPKvPT_.has_dyn_sized_stack, 0
	.set _ZL21dequantize_block_q3_KIfEvPKvPT_.has_recursion, 0
	.set _ZL21dequantize_block_q3_KIfEvPKvPT_.has_indirect_call, 0
	.section	.AMDGPU.csdata,"",@progbits
; Kernel info:
; codeLenInByte = 820
; TotalNumSgprs: 18
; NumVgprs: 18
; NumAgprs: 0
; TotalNumVgprs: 18
; ScratchSize: 0
; MemoryBound: 0
; FloatMode: 240
; IeeeMode: 1
; LDSByteSize: 0 bytes/workgroup (compile time only)
; SGPRBlocks: 2
; VGPRBlocks: 2
; NumSGPRsForWavesPerEU: 18
; NumVGPRsForWavesPerEU: 18
; AccumOffset: 20
; Occupancy: 8
; WaveLimiterHint : 0
; COMPUTE_PGM_RSRC2:SCRATCH_EN: 0
; COMPUTE_PGM_RSRC2:USER_SGPR: 2
; COMPUTE_PGM_RSRC2:TRAP_HANDLER: 0
; COMPUTE_PGM_RSRC2:TGID_X_EN: 1
; COMPUTE_PGM_RSRC2:TGID_Y_EN: 0
; COMPUTE_PGM_RSRC2:TGID_Z_EN: 0
; COMPUTE_PGM_RSRC2:TIDIG_COMP_CNT: 0
; COMPUTE_PGM_RSRC3_GFX90A:ACCUM_OFFSET: 4
; COMPUTE_PGM_RSRC3_GFX90A:TG_SPLIT: 0
	.section	.text._ZL21dequantize_block_q4_KIfEvPKvPT_,"axG",@progbits,_ZL21dequantize_block_q4_KIfEvPKvPT_,comdat
	.globl	_ZL21dequantize_block_q4_KIfEvPKvPT_ ; -- Begin function _ZL21dequantize_block_q4_KIfEvPKvPT_
	.p2align	8
	.type	_ZL21dequantize_block_q4_KIfEvPKvPT_,@function
_ZL21dequantize_block_q4_KIfEvPKvPT_:   ; @_ZL21dequantize_block_q4_KIfEvPKvPT_
; %bb.0:
	s_load_dwordx2 s[4:5], s[0:1], 0x0
	s_mul_i32 s6, s2, 0x90
	v_lshrrev_b32_e32 v1, 3, v0
	s_mul_hi_u32 s3, s2, 0x90
	v_lshlrev_b32_e32 v2, 1, v1
	s_waitcnt lgkmcnt(0)
	s_add_u32 s6, s4, s6
	s_addc_u32 s7, s5, s3
	v_mov_b32_e32 v3, 0
	v_cmp_lt_u32_e32 vcc, 15, v0
	v_lshl_add_u64 v[2:3], s[6:7], 0, v[2:3]
                                        ; implicit-def: $vgpr5
                                        ; implicit-def: $vgpr4
	s_and_saveexec_b64 s[4:5], vcc
	s_xor_b64 s[4:5], exec, s[4:5]
	s_cbranch_execz .LBB7_2
; %bb.1:
	global_load_ubyte v4, v[2:3], off offset:8
	global_load_ubyte v5, v[2:3], off
	global_load_ubyte v6, v[2:3], off offset:4
	s_waitcnt vmcnt(2)
	v_and_b32_e32 v7, 15, v4
	s_waitcnt vmcnt(1)
	v_lshrrev_b16_e32 v5, 2, v5
	v_lshrrev_b16_e32 v8, 4, v4
	s_waitcnt vmcnt(0)
	v_lshrrev_b16_e32 v6, 2, v6
	v_bitop3_b16 v4, v5, v7, 48 bitop3:0xec
	v_bitop3_b16 v5, v6, v8, 48 bitop3:0xec
.LBB7_2:
	s_andn2_saveexec_b64 s[4:5], s[4:5]
	s_cbranch_execz .LBB7_4
; %bb.3:
	global_load_ubyte v4, v[2:3], off offset:4
	global_load_ubyte v5, v[2:3], off offset:8
	s_waitcnt vmcnt(1)
	v_and_b32_e32 v4, 63, v4
	s_waitcnt vmcnt(0)
	v_and_b32_e32 v5, 63, v5
.LBB7_4:
	s_or_b64 exec, exec, s[4:5]
	s_load_dwordx2 s[4:5], s[0:1], 0x8
	s_load_dword s3, s[6:7], 0x0
                                        ; implicit-def: $vgpr7
                                        ; implicit-def: $vgpr6
	s_and_saveexec_b64 s[0:1], vcc
	s_xor_b64 s[0:1], exec, s[0:1]
	s_cbranch_execz .LBB7_6
; %bb.5:
	global_load_ubyte v6, v[2:3], off offset:9
	global_load_ubyte v7, v[2:3], off offset:1
	;; [unrolled: 1-line block ×3, first 2 shown]
	s_waitcnt vmcnt(2)
	v_and_b32_e32 v2, 15, v6
	s_waitcnt vmcnt(1)
	v_lshrrev_b16_e32 v3, 2, v7
	v_lshrrev_b16_e32 v7, 4, v6
	s_waitcnt vmcnt(0)
	v_lshrrev_b16_e32 v8, 2, v8
	v_bitop3_b16 v6, v3, v2, 48 bitop3:0xec
	v_bitop3_b16 v7, v8, v7, 48 bitop3:0xec
                                        ; implicit-def: $vgpr2_vgpr3
.LBB7_6:
	s_andn2_saveexec_b64 s[0:1], s[0:1]
	s_cbranch_execz .LBB7_8
; %bb.7:
	global_load_ubyte v6, v[2:3], off offset:5
	global_load_ubyte v7, v[2:3], off offset:9
	s_waitcnt vmcnt(1)
	v_and_b32_e32 v6, 63, v6
	s_waitcnt vmcnt(0)
	v_and_b32_e32 v7, 63, v7
.LBB7_8:
	s_or_b64 exec, exec, s[0:1]
	v_lshlrev_b32_e32 v8, 5, v1
	v_mov_b32_e32 v9, 0
	v_lshlrev_b32_e32 v0, 2, v0
	v_lshl_add_u64 v[2:3], s[6:7], 0, v[8:9]
	v_and_b32_e32 v8, 28, v0
	v_lshl_add_u64 v[2:3], v[2:3], 0, v[8:9]
	global_load_dword v2, v[2:3], off offset:16
	s_mov_b32 s1, 0
	s_lshl_b32 s0, s2, 8
	s_waitcnt lgkmcnt(0)
	s_lshr_b32 s6, s3, 16
	s_lshl_b64 s[0:1], s[0:1], 2
	s_add_u32 s0, s4, s0
	v_lshlrev_b32_e32 v0, 8, v1
	v_mov_b32_e32 v1, v9
	s_addc_u32 s1, s5, s1
	v_cvt_f16_u16_sdwa v3, v5 dst_sel:DWORD dst_unused:UNUSED_PAD src0_sel:BYTE_0
	v_cvt_f16_u16_sdwa v5, v6 dst_sel:DWORD dst_unused:UNUSED_PAD src0_sel:BYTE_0
	v_cvt_f16_u16_sdwa v6, v7 dst_sel:DWORD dst_unused:UNUSED_PAD src0_sel:BYTE_0
	v_mov_b32_e32 v7, 15
	v_mov_b32_e32 v12, 4
	v_lshl_add_u64 v[10:11], s[0:1], 0, v[0:1]
	v_cvt_f16_u16_sdwa v4, v4 dst_sel:DWORD dst_unused:UNUSED_PAD src0_sel:BYTE_0
	v_mul_f16_e32 v3, s6, v3
	v_mul_f16_e32 v4, s3, v4
	;; [unrolled: 1-line block ×4, first 2 shown]
	v_lshlrev_b32_e32 v8, 2, v8
	v_lshl_add_u64 v[8:9], v[10:11], 0, v[8:9]
	s_waitcnt vmcnt(0)
	v_lshrrev_b32_e32 v0, 8, v2
	v_and_b32_e32 v1, 15, v2
	v_lshrrev_b16_e32 v13, 4, v2
	v_and_b32_sdwa v14, v2, v7 dst_sel:DWORD dst_unused:UNUSED_PAD src0_sel:WORD_1 src1_sel:DWORD
	v_and_b32_sdwa v7, v2, v7 dst_sel:DWORD dst_unused:UNUSED_PAD src0_sel:BYTE_3 src1_sel:DWORD
	v_lshrrev_b32_e32 v15, 20, v2
	v_lshrrev_b16_sdwa v2, v12, v2 dst_sel:DWORD dst_unused:UNUSED_PAD src0_sel:DWORD src1_sel:BYTE_3
	v_and_b32_e32 v12, 15, v0
	v_lshrrev_b16_e32 v0, 4, v0
	v_cvt_f16_u16_e32 v1, v1
	v_and_b32_e32 v13, 15, v13
	v_cvt_f16_u16_e32 v7, v7
	v_cvt_f16_u16_e32 v14, v14
	v_and_b32_e32 v15, 15, v15
	v_cvt_f16_u16_e32 v12, v12
	v_and_b32_e32 v0, 15, v0
	v_cvt_f16_u16_e32 v2, v2
	v_cvt_f16_u16_e32 v13, v13
	v_pack_b32_f16 v7, v14, v7
	v_cvt_f16_u16_e32 v14, v15
	v_pack_b32_f16 v1, v1, v12
	v_cvt_f16_u16_e32 v0, v0
	v_pk_fma_f16 v7, v4, v7, v3 op_sel_hi:[0,1,0] neg_lo:[0,0,1] neg_hi:[0,0,1]
	v_pack_b32_f16 v12, v14, v2
	v_pk_fma_f16 v1, v4, v1, v3 op_sel_hi:[0,1,0] neg_lo:[0,0,1] neg_hi:[0,0,1]
	v_pack_b32_f16 v4, v13, v0
	v_cvt_f32_f16_e32 v2, v7
	v_cvt_f32_f16_sdwa v3, v7 dst_sel:DWORD dst_unused:UNUSED_PAD src0_sel:WORD_1
	v_pk_fma_f16 v7, v5, v12, v6 op_sel_hi:[0,1,0] neg_lo:[0,0,1] neg_hi:[0,0,1]
	v_cvt_f32_f16_e32 v0, v1
	v_cvt_f32_f16_sdwa v1, v1 dst_sel:DWORD dst_unused:UNUSED_PAD src0_sel:WORD_1
	v_pk_fma_f16 v5, v5, v4, v6 op_sel_hi:[0,1,0] neg_lo:[0,0,1] neg_hi:[0,0,1]
	v_cvt_f32_f16_e32 v6, v7
	v_cvt_f32_f16_e32 v4, v5
	v_cvt_f32_f16_sdwa v5, v5 dst_sel:DWORD dst_unused:UNUSED_PAD src0_sel:WORD_1
	v_cvt_f32_f16_sdwa v7, v7 dst_sel:DWORD dst_unused:UNUSED_PAD src0_sel:WORD_1
	global_store_dwordx4 v[8:9], v[0:3], off
	global_store_dwordx4 v[8:9], v[4:7], off offset:128
	s_endpgm
	.section	.rodata,"a",@progbits
	.p2align	6, 0x0
	.amdhsa_kernel _ZL21dequantize_block_q4_KIfEvPKvPT_
		.amdhsa_group_segment_fixed_size 0
		.amdhsa_private_segment_fixed_size 0
		.amdhsa_kernarg_size 16
		.amdhsa_user_sgpr_count 2
		.amdhsa_user_sgpr_dispatch_ptr 0
		.amdhsa_user_sgpr_queue_ptr 0
		.amdhsa_user_sgpr_kernarg_segment_ptr 1
		.amdhsa_user_sgpr_dispatch_id 0
		.amdhsa_user_sgpr_kernarg_preload_length 0
		.amdhsa_user_sgpr_kernarg_preload_offset 0
		.amdhsa_user_sgpr_private_segment_size 0
		.amdhsa_uses_dynamic_stack 0
		.amdhsa_enable_private_segment 0
		.amdhsa_system_sgpr_workgroup_id_x 1
		.amdhsa_system_sgpr_workgroup_id_y 0
		.amdhsa_system_sgpr_workgroup_id_z 0
		.amdhsa_system_sgpr_workgroup_info 0
		.amdhsa_system_vgpr_workitem_id 0
		.amdhsa_next_free_vgpr 16
		.amdhsa_next_free_sgpr 8
		.amdhsa_accum_offset 16
		.amdhsa_reserve_vcc 1
		.amdhsa_float_round_mode_32 0
		.amdhsa_float_round_mode_16_64 0
		.amdhsa_float_denorm_mode_32 3
		.amdhsa_float_denorm_mode_16_64 3
		.amdhsa_dx10_clamp 1
		.amdhsa_ieee_mode 1
		.amdhsa_fp16_overflow 0
		.amdhsa_tg_split 0
		.amdhsa_exception_fp_ieee_invalid_op 0
		.amdhsa_exception_fp_denorm_src 0
		.amdhsa_exception_fp_ieee_div_zero 0
		.amdhsa_exception_fp_ieee_overflow 0
		.amdhsa_exception_fp_ieee_underflow 0
		.amdhsa_exception_fp_ieee_inexact 0
		.amdhsa_exception_int_div_zero 0
	.end_amdhsa_kernel
	.section	.text._ZL21dequantize_block_q4_KIfEvPKvPT_,"axG",@progbits,_ZL21dequantize_block_q4_KIfEvPKvPT_,comdat
.Lfunc_end7:
	.size	_ZL21dequantize_block_q4_KIfEvPKvPT_, .Lfunc_end7-_ZL21dequantize_block_q4_KIfEvPKvPT_
                                        ; -- End function
	.set _ZL21dequantize_block_q4_KIfEvPKvPT_.num_vgpr, 16
	.set _ZL21dequantize_block_q4_KIfEvPKvPT_.num_agpr, 0
	.set _ZL21dequantize_block_q4_KIfEvPKvPT_.numbered_sgpr, 8
	.set _ZL21dequantize_block_q4_KIfEvPKvPT_.num_named_barrier, 0
	.set _ZL21dequantize_block_q4_KIfEvPKvPT_.private_seg_size, 0
	.set _ZL21dequantize_block_q4_KIfEvPKvPT_.uses_vcc, 1
	.set _ZL21dequantize_block_q4_KIfEvPKvPT_.uses_flat_scratch, 0
	.set _ZL21dequantize_block_q4_KIfEvPKvPT_.has_dyn_sized_stack, 0
	.set _ZL21dequantize_block_q4_KIfEvPKvPT_.has_recursion, 0
	.set _ZL21dequantize_block_q4_KIfEvPKvPT_.has_indirect_call, 0
	.section	.AMDGPU.csdata,"",@progbits
; Kernel info:
; codeLenInByte = 704
; TotalNumSgprs: 14
; NumVgprs: 16
; NumAgprs: 0
; TotalNumVgprs: 16
; ScratchSize: 0
; MemoryBound: 0
; FloatMode: 240
; IeeeMode: 1
; LDSByteSize: 0 bytes/workgroup (compile time only)
; SGPRBlocks: 1
; VGPRBlocks: 1
; NumSGPRsForWavesPerEU: 14
; NumVGPRsForWavesPerEU: 16
; AccumOffset: 16
; Occupancy: 8
; WaveLimiterHint : 1
; COMPUTE_PGM_RSRC2:SCRATCH_EN: 0
; COMPUTE_PGM_RSRC2:USER_SGPR: 2
; COMPUTE_PGM_RSRC2:TRAP_HANDLER: 0
; COMPUTE_PGM_RSRC2:TGID_X_EN: 1
; COMPUTE_PGM_RSRC2:TGID_Y_EN: 0
; COMPUTE_PGM_RSRC2:TGID_Z_EN: 0
; COMPUTE_PGM_RSRC2:TIDIG_COMP_CNT: 0
; COMPUTE_PGM_RSRC3_GFX90A:ACCUM_OFFSET: 3
; COMPUTE_PGM_RSRC3_GFX90A:TG_SPLIT: 0
	.section	.text._ZL21dequantize_block_q5_KIfEvPKvPT_,"axG",@progbits,_ZL21dequantize_block_q5_KIfEvPKvPT_,comdat
	.globl	_ZL21dequantize_block_q5_KIfEvPKvPT_ ; -- Begin function _ZL21dequantize_block_q5_KIfEvPKvPT_
	.p2align	8
	.type	_ZL21dequantize_block_q5_KIfEvPKvPT_,@function
_ZL21dequantize_block_q5_KIfEvPKvPT_:   ; @_ZL21dequantize_block_q5_KIfEvPKvPT_
; %bb.0:
	s_load_dwordx2 s[4:5], s[0:1], 0x0
	s_mul_i32 s6, s2, 0xb0
	v_lshrrev_b32_e32 v1, 4, v0
	s_mul_hi_u32 s3, s2, 0xb0
	v_lshlrev_b32_e32 v2, 1, v1
	s_waitcnt lgkmcnt(0)
	s_add_u32 s4, s4, s6
	s_addc_u32 s5, s5, s3
	v_mov_b32_e32 v3, 0
	v_cmp_lt_u32_e32 vcc, 31, v0
	v_lshl_add_u64 v[4:5], s[4:5], 0, v[2:3]
                                        ; implicit-def: $vgpr6
                                        ; implicit-def: $vgpr3
	s_and_saveexec_b64 s[6:7], vcc
	s_xor_b64 s[6:7], exec, s[6:7]
	s_cbranch_execz .LBB8_2
; %bb.1:
	global_load_ubyte v3, v[4:5], off offset:8
	global_load_ubyte v6, v[4:5], off
	global_load_ubyte v7, v[4:5], off offset:4
	s_waitcnt vmcnt(2)
	v_and_b32_e32 v8, 15, v3
	s_waitcnt vmcnt(1)
	v_lshrrev_b16_e32 v6, 2, v6
	v_lshrrev_b16_e32 v9, 4, v3
	s_waitcnt vmcnt(0)
	v_lshrrev_b16_e32 v7, 2, v7
	v_bitop3_b16 v3, v6, v8, 48 bitop3:0xec
	v_bitop3_b16 v6, v7, v9, 48 bitop3:0xec
.LBB8_2:
	s_andn2_saveexec_b64 s[6:7], s[6:7]
	s_cbranch_execz .LBB8_4
; %bb.3:
	global_load_ubyte v3, v[4:5], off offset:4
	global_load_ubyte v6, v[4:5], off offset:8
	s_waitcnt vmcnt(1)
	v_and_b32_e32 v3, 63, v3
	s_waitcnt vmcnt(0)
	v_and_b32_e32 v6, 63, v6
.LBB8_4:
	s_or_b64 exec, exec, s[6:7]
	s_load_dwordx2 s[6:7], s[0:1], 0x8
	s_load_dword s3, s[4:5], 0x0
                                        ; implicit-def: $vgpr8
                                        ; implicit-def: $vgpr7
	s_and_saveexec_b64 s[0:1], vcc
	s_xor_b64 s[0:1], exec, s[0:1]
	s_cbranch_execz .LBB8_6
; %bb.5:
	global_load_ubyte v7, v[4:5], off offset:9
	global_load_ubyte v8, v[4:5], off offset:1
	;; [unrolled: 1-line block ×3, first 2 shown]
	s_waitcnt vmcnt(2)
	v_and_b32_e32 v4, 15, v7
	s_waitcnt vmcnt(1)
	v_lshrrev_b16_e32 v5, 2, v8
	v_lshrrev_b16_e32 v8, 4, v7
	s_waitcnt vmcnt(0)
	v_lshrrev_b16_e32 v9, 2, v9
	v_bitop3_b16 v7, v5, v4, 48 bitop3:0xec
	v_bitop3_b16 v8, v9, v8, 48 bitop3:0xec
                                        ; implicit-def: $vgpr4_vgpr5
.LBB8_6:
	s_andn2_saveexec_b64 s[0:1], s[0:1]
	s_cbranch_execz .LBB8_8
; %bb.7:
	global_load_ubyte v7, v[4:5], off offset:5
	global_load_ubyte v8, v[4:5], off offset:9
	s_waitcnt vmcnt(1)
	v_and_b32_e32 v7, 63, v7
	s_waitcnt vmcnt(0)
	v_and_b32_e32 v8, 63, v8
.LBB8_8:
	s_or_b64 exec, exec, s[0:1]
	v_mov_b32_e32 v5, 0
	v_lshlrev_b32_e32 v0, 1, v0
	v_lshlrev_b32_e32 v10, 5, v1
	v_mov_b32_e32 v11, v5
	v_and_b32_e32 v4, 30, v0
	v_lshl_add_u64 v[10:11], s[4:5], 0, v[10:11]
	v_lshl_add_u64 v[10:11], v[10:11], 0, v[4:5]
	global_load_ushort v9, v[10:11], off offset:48
	global_load_ushort v12, v4, s[4:5] offset:16
	v_lshlrev_b32_e64 v10, v2, 1
	v_lshlrev_b32_e64 v2, v2, 2
	v_mov_b32_e32 v11, 15
	s_waitcnt lgkmcnt(0)
	s_lshr_b32 s4, s3, 16
	v_cvt_f16_u16_sdwa v6, v6 dst_sel:DWORD dst_unused:UNUSED_PAD src0_sel:BYTE_0
	v_cvt_f16_u16_sdwa v3, v3 dst_sel:DWORD dst_unused:UNUSED_PAD src0_sel:BYTE_0
	s_mov_b32 s1, 0
	s_lshl_b32 s0, s2, 8
	v_cvt_f16_u16_sdwa v7, v7 dst_sel:DWORD dst_unused:UNUSED_PAD src0_sel:BYTE_0
	v_cvt_f16_u16_sdwa v8, v8 dst_sel:DWORD dst_unused:UNUSED_PAD src0_sel:BYTE_0
	v_mul_f16_e32 v6, s4, v6
	v_mul_f16_e32 v3, s3, v3
	s_lshl_b64 s[0:1], s[0:1], 2
	v_mul_f16_e32 v7, s3, v7
	v_mul_f16_e32 v8, s4, v8
	s_add_u32 s0, s6, s0
	v_lshlrev_b32_e32 v0, 8, v1
	v_mov_b32_e32 v1, v5
	s_addc_u32 s1, s7, s1
	v_lshlrev_b32_e32 v4, 2, v4
	v_lshl_add_u64 v[0:1], s[0:1], 0, v[0:1]
	v_lshl_add_u64 v[0:1], v[0:1], 0, v[4:5]
	s_waitcnt vmcnt(1)
	v_lshrrev_b16_e32 v15, 4, v9
	s_waitcnt vmcnt(0)
	v_and_b32_sdwa v14, v10, v12 dst_sel:DWORD dst_unused:UNUSED_PAD src0_sel:DWORD src1_sel:BYTE_1
	v_and_b32_sdwa v10, v10, v12 dst_sel:DWORD dst_unused:UNUSED_PAD src0_sel:DWORD src1_sel:BYTE_0
	v_cmp_eq_u32_e32 vcc, 0, v14
	v_and_b32_sdwa v16, v2, v12 dst_sel:DWORD dst_unused:UNUSED_PAD src0_sel:DWORD src1_sel:BYTE_1
	v_and_b32_sdwa v2, v2, v12 dst_sel:DWORD dst_unused:UNUSED_PAD src0_sel:DWORD src1_sel:BYTE_0
	v_cndmask_b32_e64 v12, 16, 0, vcc
	v_cmp_eq_u32_e32 vcc, 0, v10
	v_and_b32_sdwa v11, v9, v11 dst_sel:DWORD dst_unused:UNUSED_PAD src0_sel:BYTE_1 src1_sel:DWORD
	v_and_b32_e32 v13, 15, v9
	v_cndmask_b32_e64 v10, 16, 0, vcc
	v_cmp_eq_u32_e32 vcc, 0, v16
	v_and_b32_e32 v14, 15, v15
	v_lshrrev_b16_e32 v9, 12, v9
	v_cndmask_b32_e64 v15, 16, 0, vcc
	v_cmp_eq_u32_e32 vcc, 0, v2
	v_or_b32_sdwa v11, v12, v11 dst_sel:DWORD dst_unused:UNUSED_PAD src0_sel:DWORD src1_sel:WORD_0
	v_or_b32_sdwa v10, v10, v13 dst_sel:DWORD dst_unused:UNUSED_PAD src0_sel:DWORD src1_sel:WORD_0
	v_cndmask_b32_e64 v2, 16, 0, vcc
	v_or_b32_e32 v9, v15, v9
	v_or_b32_sdwa v2, v2, v14 dst_sel:DWORD dst_unused:UNUSED_PAD src0_sel:DWORD src1_sel:WORD_0
	v_cvt_f32_ubyte0_e32 v11, v11
	v_cvt_f32_ubyte0_e32 v10, v10
	;; [unrolled: 1-line block ×4, first 2 shown]
	v_cvt_pk_f16_f32 v10, v10, v11
	v_cvt_pk_f16_f32 v2, v2, v9
	v_pk_fma_f16 v3, v3, v10, v6 op_sel_hi:[0,1,0] neg_lo:[0,0,1] neg_hi:[0,0,1]
	v_pk_fma_f16 v7, v7, v2, v8 op_sel_hi:[0,1,0] neg_lo:[0,0,1] neg_hi:[0,0,1]
	v_cvt_f32_f16_e32 v2, v3
	v_cvt_f32_f16_sdwa v3, v3 dst_sel:DWORD dst_unused:UNUSED_PAD src0_sel:WORD_1
	v_cvt_f32_f16_e32 v6, v7
	v_cvt_f32_f16_sdwa v7, v7 dst_sel:DWORD dst_unused:UNUSED_PAD src0_sel:WORD_1
	global_store_dwordx2 v[0:1], v[2:3], off
	global_store_dwordx2 v[0:1], v[6:7], off offset:128
	s_endpgm
	.section	.rodata,"a",@progbits
	.p2align	6, 0x0
	.amdhsa_kernel _ZL21dequantize_block_q5_KIfEvPKvPT_
		.amdhsa_group_segment_fixed_size 0
		.amdhsa_private_segment_fixed_size 0
		.amdhsa_kernarg_size 16
		.amdhsa_user_sgpr_count 2
		.amdhsa_user_sgpr_dispatch_ptr 0
		.amdhsa_user_sgpr_queue_ptr 0
		.amdhsa_user_sgpr_kernarg_segment_ptr 1
		.amdhsa_user_sgpr_dispatch_id 0
		.amdhsa_user_sgpr_kernarg_preload_length 0
		.amdhsa_user_sgpr_kernarg_preload_offset 0
		.amdhsa_user_sgpr_private_segment_size 0
		.amdhsa_uses_dynamic_stack 0
		.amdhsa_enable_private_segment 0
		.amdhsa_system_sgpr_workgroup_id_x 1
		.amdhsa_system_sgpr_workgroup_id_y 0
		.amdhsa_system_sgpr_workgroup_id_z 0
		.amdhsa_system_sgpr_workgroup_info 0
		.amdhsa_system_vgpr_workitem_id 0
		.amdhsa_next_free_vgpr 17
		.amdhsa_next_free_sgpr 8
		.amdhsa_accum_offset 20
		.amdhsa_reserve_vcc 1
		.amdhsa_float_round_mode_32 0
		.amdhsa_float_round_mode_16_64 0
		.amdhsa_float_denorm_mode_32 3
		.amdhsa_float_denorm_mode_16_64 3
		.amdhsa_dx10_clamp 1
		.amdhsa_ieee_mode 1
		.amdhsa_fp16_overflow 0
		.amdhsa_tg_split 0
		.amdhsa_exception_fp_ieee_invalid_op 0
		.amdhsa_exception_fp_denorm_src 0
		.amdhsa_exception_fp_ieee_div_zero 0
		.amdhsa_exception_fp_ieee_overflow 0
		.amdhsa_exception_fp_ieee_underflow 0
		.amdhsa_exception_fp_ieee_inexact 0
		.amdhsa_exception_int_div_zero 0
	.end_amdhsa_kernel
	.section	.text._ZL21dequantize_block_q5_KIfEvPKvPT_,"axG",@progbits,_ZL21dequantize_block_q5_KIfEvPKvPT_,comdat
.Lfunc_end8:
	.size	_ZL21dequantize_block_q5_KIfEvPKvPT_, .Lfunc_end8-_ZL21dequantize_block_q5_KIfEvPKvPT_
                                        ; -- End function
	.set _ZL21dequantize_block_q5_KIfEvPKvPT_.num_vgpr, 17
	.set _ZL21dequantize_block_q5_KIfEvPKvPT_.num_agpr, 0
	.set _ZL21dequantize_block_q5_KIfEvPKvPT_.numbered_sgpr, 8
	.set _ZL21dequantize_block_q5_KIfEvPKvPT_.num_named_barrier, 0
	.set _ZL21dequantize_block_q5_KIfEvPKvPT_.private_seg_size, 0
	.set _ZL21dequantize_block_q5_KIfEvPKvPT_.uses_vcc, 1
	.set _ZL21dequantize_block_q5_KIfEvPKvPT_.uses_flat_scratch, 0
	.set _ZL21dequantize_block_q5_KIfEvPKvPT_.has_dyn_sized_stack, 0
	.set _ZL21dequantize_block_q5_KIfEvPKvPT_.has_recursion, 0
	.set _ZL21dequantize_block_q5_KIfEvPKvPT_.has_indirect_call, 0
	.section	.AMDGPU.csdata,"",@progbits
; Kernel info:
; codeLenInByte = 732
; TotalNumSgprs: 14
; NumVgprs: 17
; NumAgprs: 0
; TotalNumVgprs: 17
; ScratchSize: 0
; MemoryBound: 0
; FloatMode: 240
; IeeeMode: 1
; LDSByteSize: 0 bytes/workgroup (compile time only)
; SGPRBlocks: 1
; VGPRBlocks: 2
; NumSGPRsForWavesPerEU: 14
; NumVGPRsForWavesPerEU: 17
; AccumOffset: 20
; Occupancy: 8
; WaveLimiterHint : 1
; COMPUTE_PGM_RSRC2:SCRATCH_EN: 0
; COMPUTE_PGM_RSRC2:USER_SGPR: 2
; COMPUTE_PGM_RSRC2:TRAP_HANDLER: 0
; COMPUTE_PGM_RSRC2:TGID_X_EN: 1
; COMPUTE_PGM_RSRC2:TGID_Y_EN: 0
; COMPUTE_PGM_RSRC2:TGID_Z_EN: 0
; COMPUTE_PGM_RSRC2:TIDIG_COMP_CNT: 0
; COMPUTE_PGM_RSRC3_GFX90A:ACCUM_OFFSET: 4
; COMPUTE_PGM_RSRC3_GFX90A:TG_SPLIT: 0
	.section	.text._ZL21dequantize_block_q6_KIfEvPKvPT_,"axG",@progbits,_ZL21dequantize_block_q6_KIfEvPKvPT_,comdat
	.globl	_ZL21dequantize_block_q6_KIfEvPKvPT_ ; -- Begin function _ZL21dequantize_block_q6_KIfEvPKvPT_
	.p2align	8
	.type	_ZL21dequantize_block_q6_KIfEvPKvPT_,@function
_ZL21dequantize_block_q6_KIfEvPKvPT_:   ; @_ZL21dequantize_block_q6_KIfEvPKvPT_
; %bb.0:
	s_load_dwordx4 s[4:7], s[0:1], 0x0
	s_lshl_b32 s0, s2, 8
	s_mov_b32 s1, 0
	s_lshl_b64 s[0:1], s[0:1], 2
	v_lshrrev_b32_e32 v1, 5, v0
	s_waitcnt lgkmcnt(0)
	s_add_u32 s0, s6, s0
	s_addc_u32 s1, s7, s1
	v_lshlrev_b32_e32 v4, 9, v1
	v_mov_b32_e32 v5, 0
	v_lshl_add_u64 v[6:7], s[0:1], 0, v[4:5]
	s_mul_hi_u32 s1, s2, 0xd2
	s_mulk_i32 s2, 0xd2
	v_and_b32_e32 v2, 31, v0
	s_add_u32 s0, s4, s2
	v_lshlrev_b32_e32 v4, 2, v2
	s_addc_u32 s1, s5, s1
	global_load_ubyte v10, v0, s[0:1] offset:128
	v_lshl_add_u64 v[6:7], v[6:7], 0, v[4:5]
	v_lshlrev_b32_e32 v4, 6, v1
	v_mov_b32_e32 v3, v5
	v_lshl_add_u64 v[8:9], s[0:1], 0, v[4:5]
	v_lshl_add_u64 v[2:3], v[8:9], 0, v[2:3]
	global_load_ubyte v4, v[2:3], off
	global_load_ubyte v8, v[2:3], off offset:32
	v_bfe_u32 v0, v0, 4, 1
	v_lshl_or_b32 v0, v1, 3, v0
	global_load_sbyte v1, v0, s[0:1] offset:192
	global_load_sbyte v2, v0, s[0:1] offset:194
	;; [unrolled: 1-line block ×4, first 2 shown]
	global_load_ushort v11, v5, s[0:1] offset:208
	v_mov_b32_e32 v0, 32
	s_waitcnt vmcnt(7)
	v_lshlrev_b16_e32 v5, 4, v10
	v_lshlrev_b16_e32 v12, 2, v10
	v_and_b32_e32 v5, 48, v5
	v_and_b32_e32 v12, 48, v12
	v_lshrrev_b16_e32 v13, 2, v10
	s_waitcnt vmcnt(6)
	v_bitop3_b16 v5, v4, v5, 15 bitop3:0xec
	s_waitcnt vmcnt(5)
	v_bitop3_b16 v12, v8, v12, 15 bitop3:0xec
	v_lshrrev_b16_e32 v4, 4, v4
	v_sub_u32_sdwa v5, v5, v0 dst_sel:DWORD dst_unused:UNUSED_PAD src0_sel:WORD_0 src1_sel:DWORD
	v_lshrrev_b16_e32 v8, 4, v8
	v_sub_u32_sdwa v12, v12, v0 dst_sel:DWORD dst_unused:UNUSED_PAD src0_sel:WORD_0 src1_sel:DWORD
	v_bitop3_b16 v4, v4, v10, 48 bitop3:0xf8
	s_waitcnt vmcnt(4)
	v_mul_i32_i24_e32 v1, v5, v1
	v_bitop3_b16 v8, v8, v13, 48 bitop3:0xf8
	s_waitcnt vmcnt(3)
	v_mul_i32_i24_e32 v2, v12, v2
	v_sub_u32_sdwa v4, v4, v0 dst_sel:DWORD dst_unused:UNUSED_PAD src0_sel:WORD_0 src1_sel:DWORD
	v_cvt_f32_i32_e32 v1, v1
	v_sub_u32_sdwa v0, v8, v0 dst_sel:DWORD dst_unused:UNUSED_PAD src0_sel:WORD_0 src1_sel:DWORD
	v_cvt_f32_i32_e32 v2, v2
	s_waitcnt vmcnt(2)
	v_mul_i32_i24_e32 v3, v4, v3
	s_waitcnt vmcnt(1)
	v_mul_i32_i24_e32 v0, v0, v9
	v_cvt_f32_i32_e32 v3, v3
	v_cvt_f32_i32_e32 v0, v0
	v_cvt_f16_f32_e32 v1, v1
	v_cvt_f16_f32_e32 v2, v2
	;; [unrolled: 1-line block ×4, first 2 shown]
	s_waitcnt vmcnt(0)
	v_mul_f16_e32 v1, v11, v1
	v_mul_f16_e32 v2, v11, v2
	v_cvt_f32_f16_e32 v1, v1
	v_cvt_f32_f16_e32 v2, v2
	v_mul_f16_e32 v3, v11, v3
	v_mul_f16_e32 v0, v11, v0
	v_cvt_f32_f16_e32 v3, v3
	v_cvt_f32_f16_e32 v0, v0
	global_store_dword v[6:7], v1, off
	global_store_dword v[6:7], v2, off offset:128
	global_store_dword v[6:7], v3, off offset:256
	global_store_dword v[6:7], v0, off offset:384
	s_endpgm
	.section	.rodata,"a",@progbits
	.p2align	6, 0x0
	.amdhsa_kernel _ZL21dequantize_block_q6_KIfEvPKvPT_
		.amdhsa_group_segment_fixed_size 0
		.amdhsa_private_segment_fixed_size 0
		.amdhsa_kernarg_size 16
		.amdhsa_user_sgpr_count 2
		.amdhsa_user_sgpr_dispatch_ptr 0
		.amdhsa_user_sgpr_queue_ptr 0
		.amdhsa_user_sgpr_kernarg_segment_ptr 1
		.amdhsa_user_sgpr_dispatch_id 0
		.amdhsa_user_sgpr_kernarg_preload_length 0
		.amdhsa_user_sgpr_kernarg_preload_offset 0
		.amdhsa_user_sgpr_private_segment_size 0
		.amdhsa_uses_dynamic_stack 0
		.amdhsa_enable_private_segment 0
		.amdhsa_system_sgpr_workgroup_id_x 1
		.amdhsa_system_sgpr_workgroup_id_y 0
		.amdhsa_system_sgpr_workgroup_id_z 0
		.amdhsa_system_sgpr_workgroup_info 0
		.amdhsa_system_vgpr_workitem_id 0
		.amdhsa_next_free_vgpr 14
		.amdhsa_next_free_sgpr 8
		.amdhsa_accum_offset 16
		.amdhsa_reserve_vcc 0
		.amdhsa_float_round_mode_32 0
		.amdhsa_float_round_mode_16_64 0
		.amdhsa_float_denorm_mode_32 3
		.amdhsa_float_denorm_mode_16_64 3
		.amdhsa_dx10_clamp 1
		.amdhsa_ieee_mode 1
		.amdhsa_fp16_overflow 0
		.amdhsa_tg_split 0
		.amdhsa_exception_fp_ieee_invalid_op 0
		.amdhsa_exception_fp_denorm_src 0
		.amdhsa_exception_fp_ieee_div_zero 0
		.amdhsa_exception_fp_ieee_overflow 0
		.amdhsa_exception_fp_ieee_underflow 0
		.amdhsa_exception_fp_ieee_inexact 0
		.amdhsa_exception_int_div_zero 0
	.end_amdhsa_kernel
	.section	.text._ZL21dequantize_block_q6_KIfEvPKvPT_,"axG",@progbits,_ZL21dequantize_block_q6_KIfEvPKvPT_,comdat
.Lfunc_end9:
	.size	_ZL21dequantize_block_q6_KIfEvPKvPT_, .Lfunc_end9-_ZL21dequantize_block_q6_KIfEvPKvPT_
                                        ; -- End function
	.set _ZL21dequantize_block_q6_KIfEvPKvPT_.num_vgpr, 14
	.set _ZL21dequantize_block_q6_KIfEvPKvPT_.num_agpr, 0
	.set _ZL21dequantize_block_q6_KIfEvPKvPT_.numbered_sgpr, 8
	.set _ZL21dequantize_block_q6_KIfEvPKvPT_.num_named_barrier, 0
	.set _ZL21dequantize_block_q6_KIfEvPKvPT_.private_seg_size, 0
	.set _ZL21dequantize_block_q6_KIfEvPKvPT_.uses_vcc, 0
	.set _ZL21dequantize_block_q6_KIfEvPKvPT_.uses_flat_scratch, 0
	.set _ZL21dequantize_block_q6_KIfEvPKvPT_.has_dyn_sized_stack, 0
	.set _ZL21dequantize_block_q6_KIfEvPKvPT_.has_recursion, 0
	.set _ZL21dequantize_block_q6_KIfEvPKvPT_.has_indirect_call, 0
	.section	.AMDGPU.csdata,"",@progbits
; Kernel info:
; codeLenInByte = 436
; TotalNumSgprs: 14
; NumVgprs: 14
; NumAgprs: 0
; TotalNumVgprs: 14
; ScratchSize: 0
; MemoryBound: 0
; FloatMode: 240
; IeeeMode: 1
; LDSByteSize: 0 bytes/workgroup (compile time only)
; SGPRBlocks: 1
; VGPRBlocks: 1
; NumSGPRsForWavesPerEU: 14
; NumVGPRsForWavesPerEU: 14
; AccumOffset: 16
; Occupancy: 8
; WaveLimiterHint : 0
; COMPUTE_PGM_RSRC2:SCRATCH_EN: 0
; COMPUTE_PGM_RSRC2:USER_SGPR: 2
; COMPUTE_PGM_RSRC2:TRAP_HANDLER: 0
; COMPUTE_PGM_RSRC2:TGID_X_EN: 1
; COMPUTE_PGM_RSRC2:TGID_Y_EN: 0
; COMPUTE_PGM_RSRC2:TGID_Z_EN: 0
; COMPUTE_PGM_RSRC2:TIDIG_COMP_CNT: 0
; COMPUTE_PGM_RSRC3_GFX90A:ACCUM_OFFSET: 3
; COMPUTE_PGM_RSRC3_GFX90A:TG_SPLIT: 0
	.section	.text._ZL24dequantize_block_iq2_xxsIfEvPKvPT_,"axG",@progbits,_ZL24dequantize_block_iq2_xxsIfEvPKvPT_,comdat
	.globl	_ZL24dequantize_block_iq2_xxsIfEvPKvPT_ ; -- Begin function _ZL24dequantize_block_iq2_xxsIfEvPKvPT_
	.p2align	8
	.type	_ZL24dequantize_block_iq2_xxsIfEvPKvPT_,@function
_ZL24dequantize_block_iq2_xxsIfEvPKvPT_: ; @_ZL24dequantize_block_iq2_xxsIfEvPKvPT_
; %bb.0:
	s_load_dwordx4 s[4:7], s[0:1], 0x0
	s_lshl_b32 s0, s2, 8
	s_mov_b32 s1, 0
	s_lshl_b64 s[0:1], s[0:1], 2
	v_and_b32_e32 v1, 7, v0
	s_waitcnt lgkmcnt(0)
	s_add_u32 s0, s6, s0
	s_addc_u32 s1, s7, s1
	v_lshlrev_b32_e32 v6, 7, v1
	v_mov_b32_e32 v7, 0
	v_lshl_add_u64 v[2:3], s[0:1], 0, v[6:7]
	v_and_b32_e32 v4, 0x3f8, v0
	s_mul_hi_u32 s1, s2, 0x42
	s_mulk_i32 s2, 0x42
	v_lshlrev_b32_e32 v6, 2, v4
	s_add_u32 s0, s4, s2
	v_lshl_add_u64 v[8:9], v[2:3], 0, v[6:7]
	s_addc_u32 s1, s5, s1
	v_lshlrev_b32_e32 v6, 3, v1
	global_load_dword v4, v6, s[0:1] offset:6
	v_lshrrev_b32_e32 v0, 3, v0
	v_lshl_add_u64 v[2:3], s[0:1], 0, v[6:7]
	v_mov_b32_e32 v1, v7
	v_lshl_add_u64 v[2:3], v[2:3], 0, v[0:1]
	global_load_ubyte v1, v[2:3], off offset:2
	global_load_ushort v5, v7, s[0:1]
	v_mul_u32_u24_e32 v0, 7, v0
	s_getpc_b64 s[0:1]
	s_add_u32 s0, s0, _ZL12ksigns_iq2xs@rel32@lo+4
	s_addc_u32 s1, s1, _ZL12ksigns_iq2xs@rel32@hi+12
	s_waitcnt vmcnt(2)
	v_bfe_u32 v6, v4, v0, 7
	global_load_ubyte v14, v6, s[0:1]
	s_getpc_b64 s[0:1]
	s_add_u32 s0, s0, _ZL11iq2xxs_grid@rel32@lo+4
	s_addc_u32 s1, s1, _ZL11iq2xxs_grid@rel32@hi+12
	v_lshrrev_b32_e32 v3, 28, v4
	s_waitcnt vmcnt(2)
	v_lshlrev_b32_e32 v0, 3, v1
	global_load_dwordx2 v[0:1], v0, s[0:1]
	s_waitcnt vmcnt(2)
	v_cvt_f32_f16_e32 v2, v5
	v_cvt_f32_ubyte0_e32 v3, v3
	v_add_f32_e32 v3, 0.5, v3
	v_mul_f32_e32 v2, v3, v2
	v_mul_f32_e32 v2, 0x3e800000, v2
	s_waitcnt vmcnt(1)
	v_and_b32_e32 v3, 8, v14
	v_and_b32_e32 v15, 4, v14
	v_cmp_eq_u16_e32 vcc, 0, v3
	v_and_b32_e32 v16, 2, v14
	s_waitcnt vmcnt(0)
	v_cvt_f32_ubyte3_e32 v11, v0
	v_cvt_f32_ubyte2_e32 v10, v0
	v_cvt_f32_ubyte1_e32 v5, v0
	v_cvt_f32_ubyte0_e32 v4, v0
	v_cvt_f32_ubyte0_e32 v20, v1
	v_cvt_f32_ubyte2_e32 v13, v1
	v_cvt_f32_ubyte1_e32 v12, v1
	v_cvt_f32_ubyte3_e32 v21, v1
	v_pk_mul_f32 v[0:1], v[2:3], v[10:11] op_sel_hi:[0,1]
	v_pk_mul_f32 v[4:5], v[2:3], v[4:5] op_sel_hi:[0,1]
	v_pk_mul_f32 v[10:11], v[2:3], v[12:13] op_sel_hi:[0,1]
	v_cndmask_b32_e64 v3, -v1, v1, vcc
	v_cmp_eq_u16_e32 vcc, 0, v15
	v_and_b32_e32 v17, 1, v14
	v_mul_f32_e32 v20, v2, v20
	v_mul_f32_e32 v12, v2, v21
	v_cndmask_b32_e64 v2, -v0, v0, vcc
	v_cmp_eq_u16_e32 vcc, 0, v16
	v_and_b32_e32 v18, 16, v14
	v_and_b32_e32 v19, 32, v14
	v_cndmask_b32_e64 v1, -v5, v5, vcc
	v_cmp_eq_u16_e32 vcc, 0, v17
	v_cmp_lt_i16_sdwa s[0:1], sext(v14), v7 src0_sel:BYTE_0 src1_sel:DWORD
	s_nop 0
	v_cndmask_b32_e64 v0, -v4, v4, vcc
	v_cmp_eq_u16_e32 vcc, 0, v18
	v_cndmask_b32_e64 v7, v12, -v12, s[0:1]
	s_nop 0
	v_cndmask_b32_e64 v4, -v20, v20, vcc
	v_cmp_gt_u32_e32 vcc, 64, v6
	s_nop 1
	v_cndmask_b32_e64 v6, -v11, v11, vcc
	v_cmp_eq_u16_e32 vcc, 0, v19
	s_nop 1
	v_cndmask_b32_e64 v5, -v10, v10, vcc
	global_store_dwordx4 v[8:9], v[0:3], off
	global_store_dwordx4 v[8:9], v[4:7], off offset:16
	s_endpgm
	.section	.rodata,"a",@progbits
	.p2align	6, 0x0
	.amdhsa_kernel _ZL24dequantize_block_iq2_xxsIfEvPKvPT_
		.amdhsa_group_segment_fixed_size 0
		.amdhsa_private_segment_fixed_size 0
		.amdhsa_kernarg_size 16
		.amdhsa_user_sgpr_count 2
		.amdhsa_user_sgpr_dispatch_ptr 0
		.amdhsa_user_sgpr_queue_ptr 0
		.amdhsa_user_sgpr_kernarg_segment_ptr 1
		.amdhsa_user_sgpr_dispatch_id 0
		.amdhsa_user_sgpr_kernarg_preload_length 0
		.amdhsa_user_sgpr_kernarg_preload_offset 0
		.amdhsa_user_sgpr_private_segment_size 0
		.amdhsa_uses_dynamic_stack 0
		.amdhsa_enable_private_segment 0
		.amdhsa_system_sgpr_workgroup_id_x 1
		.amdhsa_system_sgpr_workgroup_id_y 0
		.amdhsa_system_sgpr_workgroup_id_z 0
		.amdhsa_system_sgpr_workgroup_info 0
		.amdhsa_system_vgpr_workitem_id 0
		.amdhsa_next_free_vgpr 22
		.amdhsa_next_free_sgpr 8
		.amdhsa_accum_offset 24
		.amdhsa_reserve_vcc 1
		.amdhsa_float_round_mode_32 0
		.amdhsa_float_round_mode_16_64 0
		.amdhsa_float_denorm_mode_32 3
		.amdhsa_float_denorm_mode_16_64 3
		.amdhsa_dx10_clamp 1
		.amdhsa_ieee_mode 1
		.amdhsa_fp16_overflow 0
		.amdhsa_tg_split 0
		.amdhsa_exception_fp_ieee_invalid_op 0
		.amdhsa_exception_fp_denorm_src 0
		.amdhsa_exception_fp_ieee_div_zero 0
		.amdhsa_exception_fp_ieee_overflow 0
		.amdhsa_exception_fp_ieee_underflow 0
		.amdhsa_exception_fp_ieee_inexact 0
		.amdhsa_exception_int_div_zero 0
	.end_amdhsa_kernel
	.section	.text._ZL24dequantize_block_iq2_xxsIfEvPKvPT_,"axG",@progbits,_ZL24dequantize_block_iq2_xxsIfEvPKvPT_,comdat
.Lfunc_end10:
	.size	_ZL24dequantize_block_iq2_xxsIfEvPKvPT_, .Lfunc_end10-_ZL24dequantize_block_iq2_xxsIfEvPKvPT_
                                        ; -- End function
	.set _ZL24dequantize_block_iq2_xxsIfEvPKvPT_.num_vgpr, 22
	.set _ZL24dequantize_block_iq2_xxsIfEvPKvPT_.num_agpr, 0
	.set _ZL24dequantize_block_iq2_xxsIfEvPKvPT_.numbered_sgpr, 8
	.set _ZL24dequantize_block_iq2_xxsIfEvPKvPT_.num_named_barrier, 0
	.set _ZL24dequantize_block_iq2_xxsIfEvPKvPT_.private_seg_size, 0
	.set _ZL24dequantize_block_iq2_xxsIfEvPKvPT_.uses_vcc, 1
	.set _ZL24dequantize_block_iq2_xxsIfEvPKvPT_.uses_flat_scratch, 0
	.set _ZL24dequantize_block_iq2_xxsIfEvPKvPT_.has_dyn_sized_stack, 0
	.set _ZL24dequantize_block_iq2_xxsIfEvPKvPT_.has_recursion, 0
	.set _ZL24dequantize_block_iq2_xxsIfEvPKvPT_.has_indirect_call, 0
	.section	.AMDGPU.csdata,"",@progbits
; Kernel info:
; codeLenInByte = 488
; TotalNumSgprs: 14
; NumVgprs: 22
; NumAgprs: 0
; TotalNumVgprs: 22
; ScratchSize: 0
; MemoryBound: 0
; FloatMode: 240
; IeeeMode: 1
; LDSByteSize: 0 bytes/workgroup (compile time only)
; SGPRBlocks: 1
; VGPRBlocks: 2
; NumSGPRsForWavesPerEU: 14
; NumVGPRsForWavesPerEU: 22
; AccumOffset: 24
; Occupancy: 8
; WaveLimiterHint : 0
; COMPUTE_PGM_RSRC2:SCRATCH_EN: 0
; COMPUTE_PGM_RSRC2:USER_SGPR: 2
; COMPUTE_PGM_RSRC2:TRAP_HANDLER: 0
; COMPUTE_PGM_RSRC2:TGID_X_EN: 1
; COMPUTE_PGM_RSRC2:TGID_Y_EN: 0
; COMPUTE_PGM_RSRC2:TGID_Z_EN: 0
; COMPUTE_PGM_RSRC2:TIDIG_COMP_CNT: 0
; COMPUTE_PGM_RSRC3_GFX90A:ACCUM_OFFSET: 5
; COMPUTE_PGM_RSRC3_GFX90A:TG_SPLIT: 0
	.section	.text._ZL23dequantize_block_iq2_xsIfEvPKvPT_,"axG",@progbits,_ZL23dequantize_block_iq2_xsIfEvPKvPT_,comdat
	.globl	_ZL23dequantize_block_iq2_xsIfEvPKvPT_ ; -- Begin function _ZL23dequantize_block_iq2_xsIfEvPKvPT_
	.p2align	8
	.type	_ZL23dequantize_block_iq2_xsIfEvPKvPT_,@function
_ZL23dequantize_block_iq2_xsIfEvPKvPT_: ; @_ZL23dequantize_block_iq2_xsIfEvPKvPT_
; %bb.0:
	s_load_dwordx4 s[4:7], s[0:1], 0x0
	s_lshl_b32 s0, s2, 8
	s_mov_b32 s1, 0
	s_lshl_b64 s[0:1], s[0:1], 2
	v_and_b32_e32 v4, 7, v0
	s_waitcnt lgkmcnt(0)
	s_add_u32 s0, s6, s0
	s_addc_u32 s1, s7, s1
	v_lshlrev_b32_e32 v6, 7, v4
	v_mov_b32_e32 v7, 0
	v_lshl_add_u64 v[2:3], s[0:1], 0, v[6:7]
	v_and_b32_e32 v1, 0x3f8, v0
	s_mul_hi_u32 s1, s2, 0x4a
	s_mulk_i32 s2, 0x4a
	v_lshlrev_b32_e32 v6, 2, v1
	s_add_u32 s0, s4, s2
	v_lshl_add_u64 v[8:9], v[2:3], 0, v[6:7]
	s_addc_u32 s1, s5, s1
	v_lshlrev_b32_e32 v6, 3, v4
	v_lshrrev_b32_e32 v5, 2, v0
	v_lshl_add_u64 v[2:3], s[0:1], 0, v[6:7]
	v_and_b32_e32 v6, 0xfe, v5
	v_lshl_add_u64 v[0:1], v[2:3], 0, v[6:7]
	global_load_ushort v14, v[0:1], off offset:2
	global_load_ushort v10, v7, s[0:1]
	global_load_ubyte v11, v4, s[0:1] offset:66
	v_mov_b32_e32 v0, 3
	s_getpc_b64 s[0:1]
	s_add_u32 s0, s0, _ZL10iq2xs_grid@rel32@lo+4
	s_addc_u32 s1, s1, _ZL10iq2xs_grid@rel32@hi+12
	s_waitcnt vmcnt(2)
	v_and_b32_e32 v1, 0x1ff, v14
	v_lshlrev_b32_sdwa v0, v0, v1 dst_sel:DWORD dst_unused:UNUSED_PAD src0_sel:DWORD src1_sel:WORD_0
	global_load_dwordx2 v[0:1], v0, s[0:1]
	s_getpc_b64 s[0:1]
	s_add_u32 s0, s0, _ZL12ksigns_iq2xs@rel32@lo+4
	s_addc_u32 s1, s1, _ZL12ksigns_iq2xs@rel32@hi+12
	v_lshrrev_b16_e32 v6, 9, v14
	v_lshl_add_u64 v[2:3], s[0:1], 0, v[6:7]
	global_load_ubyte v6, v[2:3], off
	v_and_b32_e32 v2, 0xfc, v5
	s_waitcnt vmcnt(3)
	v_cvt_f32_f16_e32 v3, v10
	s_waitcnt vmcnt(2)
	v_bfe_u32 v2, v11, v2, 4
	v_cvt_f32_ubyte0_e32 v2, v2
	v_add_f32_e32 v2, 0.5, v2
	v_mul_f32_e32 v2, v2, v3
	v_mul_f32_e32 v2, 0x3e800000, v2
	s_waitcnt vmcnt(1)
	v_cvt_f32_ubyte3_e32 v11, v0
	v_cvt_f32_ubyte2_e32 v10, v0
	v_cvt_f32_ubyte1_e32 v5, v0
	v_cvt_f32_ubyte0_e32 v4, v0
	s_waitcnt vmcnt(0)
	v_and_b32_e32 v3, 8, v6
	v_and_b32_e32 v15, 4, v6
	v_cvt_f32_ubyte0_e32 v18, v1
	v_cvt_f32_ubyte1_e32 v20, v1
	v_cvt_f32_ubyte3_e32 v13, v1
	v_cvt_f32_ubyte2_e32 v12, v1
	v_pk_mul_f32 v[0:1], v[2:3], v[10:11] op_sel_hi:[0,1]
	v_cmp_eq_u16_e32 vcc, 0, v3
	v_and_b32_e32 v16, 2, v6
	v_pk_mul_f32 v[4:5], v[2:3], v[4:5] op_sel_hi:[0,1]
	v_pk_mul_f32 v[10:11], v[2:3], v[12:13] op_sel_hi:[0,1]
	v_cndmask_b32_e64 v3, -v1, v1, vcc
	v_cmp_eq_u16_e32 vcc, 0, v15
	v_and_b32_e32 v17, 1, v6
	v_mul_f32_e32 v18, v2, v18
	v_mul_f32_e32 v20, v2, v20
	v_cndmask_b32_e64 v2, -v0, v0, vcc
	v_cmp_eq_u16_e32 vcc, 0, v16
	v_and_b32_e32 v19, 16, v6
	v_and_b32_e32 v21, 32, v6
	v_cndmask_b32_e64 v1, -v5, v5, vcc
	v_cmp_eq_u16_e32 vcc, 0, v17
	v_cmp_lt_i16_sdwa s[0:1], sext(v6), v7 src0_sel:BYTE_0 src1_sel:DWORD
	s_nop 0
	v_cndmask_b32_e64 v0, -v4, v4, vcc
	v_cmp_eq_u16_e32 vcc, 0, v19
	v_cndmask_b32_e64 v7, v11, -v11, s[0:1]
	s_nop 0
	v_cndmask_b32_e64 v4, -v18, v18, vcc
	v_cmp_eq_u16_e32 vcc, 0, v21
	s_nop 1
	v_cndmask_b32_e64 v5, -v20, v20, vcc
	v_cmp_gt_i16_e32 vcc, 0, v14
	s_nop 1
	v_cndmask_b32_e64 v6, v10, -v10, vcc
	global_store_dwordx4 v[8:9], v[0:3], off
	global_store_dwordx4 v[8:9], v[4:7], off offset:16
	s_endpgm
	.section	.rodata,"a",@progbits
	.p2align	6, 0x0
	.amdhsa_kernel _ZL23dequantize_block_iq2_xsIfEvPKvPT_
		.amdhsa_group_segment_fixed_size 0
		.amdhsa_private_segment_fixed_size 0
		.amdhsa_kernarg_size 16
		.amdhsa_user_sgpr_count 2
		.amdhsa_user_sgpr_dispatch_ptr 0
		.amdhsa_user_sgpr_queue_ptr 0
		.amdhsa_user_sgpr_kernarg_segment_ptr 1
		.amdhsa_user_sgpr_dispatch_id 0
		.amdhsa_user_sgpr_kernarg_preload_length 0
		.amdhsa_user_sgpr_kernarg_preload_offset 0
		.amdhsa_user_sgpr_private_segment_size 0
		.amdhsa_uses_dynamic_stack 0
		.amdhsa_enable_private_segment 0
		.amdhsa_system_sgpr_workgroup_id_x 1
		.amdhsa_system_sgpr_workgroup_id_y 0
		.amdhsa_system_sgpr_workgroup_id_z 0
		.amdhsa_system_sgpr_workgroup_info 0
		.amdhsa_system_vgpr_workitem_id 0
		.amdhsa_next_free_vgpr 22
		.amdhsa_next_free_sgpr 8
		.amdhsa_accum_offset 24
		.amdhsa_reserve_vcc 1
		.amdhsa_float_round_mode_32 0
		.amdhsa_float_round_mode_16_64 0
		.amdhsa_float_denorm_mode_32 3
		.amdhsa_float_denorm_mode_16_64 3
		.amdhsa_dx10_clamp 1
		.amdhsa_ieee_mode 1
		.amdhsa_fp16_overflow 0
		.amdhsa_tg_split 0
		.amdhsa_exception_fp_ieee_invalid_op 0
		.amdhsa_exception_fp_denorm_src 0
		.amdhsa_exception_fp_ieee_div_zero 0
		.amdhsa_exception_fp_ieee_overflow 0
		.amdhsa_exception_fp_ieee_underflow 0
		.amdhsa_exception_fp_ieee_inexact 0
		.amdhsa_exception_int_div_zero 0
	.end_amdhsa_kernel
	.section	.text._ZL23dequantize_block_iq2_xsIfEvPKvPT_,"axG",@progbits,_ZL23dequantize_block_iq2_xsIfEvPKvPT_,comdat
.Lfunc_end11:
	.size	_ZL23dequantize_block_iq2_xsIfEvPKvPT_, .Lfunc_end11-_ZL23dequantize_block_iq2_xsIfEvPKvPT_
                                        ; -- End function
	.set _ZL23dequantize_block_iq2_xsIfEvPKvPT_.num_vgpr, 22
	.set _ZL23dequantize_block_iq2_xsIfEvPKvPT_.num_agpr, 0
	.set _ZL23dequantize_block_iq2_xsIfEvPKvPT_.numbered_sgpr, 8
	.set _ZL23dequantize_block_iq2_xsIfEvPKvPT_.num_named_barrier, 0
	.set _ZL23dequantize_block_iq2_xsIfEvPKvPT_.private_seg_size, 0
	.set _ZL23dequantize_block_iq2_xsIfEvPKvPT_.uses_vcc, 1
	.set _ZL23dequantize_block_iq2_xsIfEvPKvPT_.uses_flat_scratch, 0
	.set _ZL23dequantize_block_iq2_xsIfEvPKvPT_.has_dyn_sized_stack, 0
	.set _ZL23dequantize_block_iq2_xsIfEvPKvPT_.has_recursion, 0
	.set _ZL23dequantize_block_iq2_xsIfEvPKvPT_.has_indirect_call, 0
	.section	.AMDGPU.csdata,"",@progbits
; Kernel info:
; codeLenInByte = 520
; TotalNumSgprs: 14
; NumVgprs: 22
; NumAgprs: 0
; TotalNumVgprs: 22
; ScratchSize: 0
; MemoryBound: 0
; FloatMode: 240
; IeeeMode: 1
; LDSByteSize: 0 bytes/workgroup (compile time only)
; SGPRBlocks: 1
; VGPRBlocks: 2
; NumSGPRsForWavesPerEU: 14
; NumVGPRsForWavesPerEU: 22
; AccumOffset: 24
; Occupancy: 8
; WaveLimiterHint : 0
; COMPUTE_PGM_RSRC2:SCRATCH_EN: 0
; COMPUTE_PGM_RSRC2:USER_SGPR: 2
; COMPUTE_PGM_RSRC2:TRAP_HANDLER: 0
; COMPUTE_PGM_RSRC2:TGID_X_EN: 1
; COMPUTE_PGM_RSRC2:TGID_Y_EN: 0
; COMPUTE_PGM_RSRC2:TGID_Z_EN: 0
; COMPUTE_PGM_RSRC2:TIDIG_COMP_CNT: 0
; COMPUTE_PGM_RSRC3_GFX90A:ACCUM_OFFSET: 5
; COMPUTE_PGM_RSRC3_GFX90A:TG_SPLIT: 0
	.section	.text._ZL24dequantize_block_iq3_xxsIfEvPKvPT_,"axG",@progbits,_ZL24dequantize_block_iq3_xxsIfEvPKvPT_,comdat
	.globl	_ZL24dequantize_block_iq3_xxsIfEvPKvPT_ ; -- Begin function _ZL24dequantize_block_iq3_xxsIfEvPKvPT_
	.p2align	8
	.type	_ZL24dequantize_block_iq3_xxsIfEvPKvPT_,@function
_ZL24dequantize_block_iq3_xxsIfEvPKvPT_: ; @_ZL24dequantize_block_iq3_xxsIfEvPKvPT_
; %bb.0:
	s_load_dwordx4 s[4:7], s[0:1], 0x0
	s_lshl_b32 s0, s2, 8
	s_mov_b32 s1, 0
	s_lshl_b64 s[0:1], s[0:1], 2
	v_and_b32_e32 v7, 7, v0
	s_waitcnt lgkmcnt(0)
	s_add_u32 s0, s6, s0
	s_addc_u32 s1, s7, s1
	v_lshlrev_b32_e32 v2, 7, v7
	v_mov_b32_e32 v3, 0
	v_lshrrev_b32_e32 v6, 3, v0
	v_lshl_add_u64 v[4:5], s[0:1], 0, v[2:3]
	v_and_b32_e32 v0, 0x3f8, v0
	s_mul_hi_u32 s1, s2, 0x62
	s_mulk_i32 s2, 0x62
	v_lshlrev_b32_e32 v2, 2, v0
	s_add_u32 s0, s4, s2
	v_lshl_add_u64 v[8:9], v[4:5], 0, v[2:3]
	s_addc_u32 s1, s5, s1
	v_lshlrev_b32_e32 v2, 3, v7
	v_lshl_add_u64 v[0:1], s[0:1], 0, v[2:3]
	v_lshlrev_b32_e32 v2, 1, v6
	v_lshl_add_u64 v[0:1], v[0:1], 0, v[2:3]
	v_lshlrev_b32_e32 v4, 2, v7
	global_load_ushort v2, v[0:1], off offset:2
	global_load_ushort v5, v3, s[0:1]
	global_load_dword v7, v4, s[0:1] offset:66
	v_mov_b32_e32 v0, 2
	s_getpc_b64 s[0:1]
	s_add_u32 s0, s0, _ZL11iq3xxs_grid@rel32@lo+4
	s_addc_u32 s1, s1, _ZL11iq3xxs_grid@rel32@hi+12
	v_mul_u32_u24_e32 v1, 7, v6
	s_getpc_b64 s[2:3]
	s_add_u32 s2, s2, _ZL12ksigns_iq2xs@rel32@lo+4
	s_addc_u32 s3, s3, _ZL12ksigns_iq2xs@rel32@hi+12
	s_waitcnt vmcnt(2)
	v_lshlrev_b32_sdwa v4, v0, v2 dst_sel:DWORD dst_unused:UNUSED_PAD src0_sel:DWORD src1_sel:BYTE_1
	v_lshlrev_b32_sdwa v0, v0, v2 dst_sel:DWORD dst_unused:UNUSED_PAD src0_sel:DWORD src1_sel:BYTE_0
	s_waitcnt vmcnt(0)
	v_bfe_u32 v1, v7, v1, 7
	global_load_dword v12, v4, s[0:1]
	global_load_ubyte v14, v1, s[2:3]
	global_load_dword v2, v0, s[0:1]
	v_cvt_f32_f16_e32 v0, v5
	v_lshrrev_b32_e32 v4, 28, v7
	v_cvt_f32_ubyte0_e32 v4, v4
	v_add_f32_e32 v4, 0.5, v4
	v_mul_f32_e32 v0, v4, v0
	v_mul_f32_e32 v0, 0.5, v0
	s_waitcnt vmcnt(2)
	v_cvt_f32_ubyte0_e32 v13, v12
	s_waitcnt vmcnt(1)
	v_and_b32_e32 v15, 16, v14
	v_cvt_f32_ubyte2_e32 v5, v12
	v_cvt_f32_ubyte1_e32 v4, v12
	s_waitcnt vmcnt(0)
	v_cvt_f32_ubyte1_e32 v7, v2
	v_cvt_f32_ubyte0_e32 v6, v2
	v_cvt_f32_ubyte3_e32 v11, v2
	v_cvt_f32_ubyte2_e32 v10, v2
	v_cvt_f32_ubyte3_e32 v2, v12
	v_mul_f32_e32 v21, v0, v13
	v_cmp_eq_u16_e32 vcc, 0, v15
	v_and_b32_e32 v16, 32, v14
	v_pk_mul_f32 v[4:5], v[0:1], v[4:5] op_sel_hi:[0,1]
	v_pk_mul_f32 v[10:11], v[0:1], v[10:11] op_sel_hi:[0,1]
	;; [unrolled: 1-line block ×3, first 2 shown]
	v_mul_f32_e32 v22, v0, v2
	v_cndmask_b32_e64 v0, -v21, v21, vcc
	v_cmp_gt_u32_e32 vcc, 64, v1
	v_and_b32_e32 v17, 8, v14
	v_and_b32_e32 v18, 4, v14
	v_cndmask_b32_e64 v2, -v5, v5, vcc
	v_cmp_eq_u16_e32 vcc, 0, v16
	v_and_b32_e32 v19, 2, v14
	v_and_b32_e32 v20, 1, v14
	v_cndmask_b32_e64 v1, -v4, v4, vcc
	v_cmp_eq_u16_e32 vcc, 0, v17
	v_cmp_lt_i16_sdwa s[0:1], sext(v14), v3 src0_sel:BYTE_0 src1_sel:DWORD
	s_nop 0
	v_cndmask_b32_e64 v7, -v11, v11, vcc
	v_cmp_eq_u16_e32 vcc, 0, v18
	v_cndmask_b32_e64 v3, v22, -v22, s[0:1]
	s_nop 0
	v_cndmask_b32_e64 v6, -v10, v10, vcc
	v_cmp_eq_u16_e32 vcc, 0, v19
	s_nop 1
	v_cndmask_b32_e64 v5, -v13, v13, vcc
	v_cmp_eq_u16_e32 vcc, 0, v20
	s_nop 1
	v_cndmask_b32_e64 v4, -v12, v12, vcc
	global_store_dwordx4 v[8:9], v[4:7], off
	global_store_dwordx4 v[8:9], v[0:3], off offset:16
	s_endpgm
	.section	.rodata,"a",@progbits
	.p2align	6, 0x0
	.amdhsa_kernel _ZL24dequantize_block_iq3_xxsIfEvPKvPT_
		.amdhsa_group_segment_fixed_size 0
		.amdhsa_private_segment_fixed_size 0
		.amdhsa_kernarg_size 16
		.amdhsa_user_sgpr_count 2
		.amdhsa_user_sgpr_dispatch_ptr 0
		.amdhsa_user_sgpr_queue_ptr 0
		.amdhsa_user_sgpr_kernarg_segment_ptr 1
		.amdhsa_user_sgpr_dispatch_id 0
		.amdhsa_user_sgpr_kernarg_preload_length 0
		.amdhsa_user_sgpr_kernarg_preload_offset 0
		.amdhsa_user_sgpr_private_segment_size 0
		.amdhsa_uses_dynamic_stack 0
		.amdhsa_enable_private_segment 0
		.amdhsa_system_sgpr_workgroup_id_x 1
		.amdhsa_system_sgpr_workgroup_id_y 0
		.amdhsa_system_sgpr_workgroup_id_z 0
		.amdhsa_system_sgpr_workgroup_info 0
		.amdhsa_system_vgpr_workitem_id 0
		.amdhsa_next_free_vgpr 23
		.amdhsa_next_free_sgpr 8
		.amdhsa_accum_offset 24
		.amdhsa_reserve_vcc 1
		.amdhsa_float_round_mode_32 0
		.amdhsa_float_round_mode_16_64 0
		.amdhsa_float_denorm_mode_32 3
		.amdhsa_float_denorm_mode_16_64 3
		.amdhsa_dx10_clamp 1
		.amdhsa_ieee_mode 1
		.amdhsa_fp16_overflow 0
		.amdhsa_tg_split 0
		.amdhsa_exception_fp_ieee_invalid_op 0
		.amdhsa_exception_fp_denorm_src 0
		.amdhsa_exception_fp_ieee_div_zero 0
		.amdhsa_exception_fp_ieee_overflow 0
		.amdhsa_exception_fp_ieee_underflow 0
		.amdhsa_exception_fp_ieee_inexact 0
		.amdhsa_exception_int_div_zero 0
	.end_amdhsa_kernel
	.section	.text._ZL24dequantize_block_iq3_xxsIfEvPKvPT_,"axG",@progbits,_ZL24dequantize_block_iq3_xxsIfEvPKvPT_,comdat
.Lfunc_end12:
	.size	_ZL24dequantize_block_iq3_xxsIfEvPKvPT_, .Lfunc_end12-_ZL24dequantize_block_iq3_xxsIfEvPKvPT_
                                        ; -- End function
	.set _ZL24dequantize_block_iq3_xxsIfEvPKvPT_.num_vgpr, 23
	.set _ZL24dequantize_block_iq3_xxsIfEvPKvPT_.num_agpr, 0
	.set _ZL24dequantize_block_iq3_xxsIfEvPKvPT_.numbered_sgpr, 8
	.set _ZL24dequantize_block_iq3_xxsIfEvPKvPT_.num_named_barrier, 0
	.set _ZL24dequantize_block_iq3_xxsIfEvPKvPT_.private_seg_size, 0
	.set _ZL24dequantize_block_iq3_xxsIfEvPKvPT_.uses_vcc, 1
	.set _ZL24dequantize_block_iq3_xxsIfEvPKvPT_.uses_flat_scratch, 0
	.set _ZL24dequantize_block_iq3_xxsIfEvPKvPT_.has_dyn_sized_stack, 0
	.set _ZL24dequantize_block_iq3_xxsIfEvPKvPT_.has_recursion, 0
	.set _ZL24dequantize_block_iq3_xxsIfEvPKvPT_.has_indirect_call, 0
	.section	.AMDGPU.csdata,"",@progbits
; Kernel info:
; codeLenInByte = 512
; TotalNumSgprs: 14
; NumVgprs: 23
; NumAgprs: 0
; TotalNumVgprs: 23
; ScratchSize: 0
; MemoryBound: 0
; FloatMode: 240
; IeeeMode: 1
; LDSByteSize: 0 bytes/workgroup (compile time only)
; SGPRBlocks: 1
; VGPRBlocks: 2
; NumSGPRsForWavesPerEU: 14
; NumVGPRsForWavesPerEU: 23
; AccumOffset: 24
; Occupancy: 8
; WaveLimiterHint : 0
; COMPUTE_PGM_RSRC2:SCRATCH_EN: 0
; COMPUTE_PGM_RSRC2:USER_SGPR: 2
; COMPUTE_PGM_RSRC2:TRAP_HANDLER: 0
; COMPUTE_PGM_RSRC2:TGID_X_EN: 1
; COMPUTE_PGM_RSRC2:TGID_Y_EN: 0
; COMPUTE_PGM_RSRC2:TGID_Z_EN: 0
; COMPUTE_PGM_RSRC2:TIDIG_COMP_CNT: 0
; COMPUTE_PGM_RSRC3_GFX90A:ACCUM_OFFSET: 5
; COMPUTE_PGM_RSRC3_GFX90A:TG_SPLIT: 0
	.section	.text._ZL22dequantize_block_iq1_sIfEvPKvPT_,"axG",@progbits,_ZL22dequantize_block_iq1_sIfEvPKvPT_,comdat
	.globl	_ZL22dequantize_block_iq1_sIfEvPKvPT_ ; -- Begin function _ZL22dequantize_block_iq1_sIfEvPKvPT_
	.p2align	8
	.type	_ZL22dequantize_block_iq1_sIfEvPKvPT_,@function
_ZL22dequantize_block_iq1_sIfEvPKvPT_:  ; @_ZL22dequantize_block_iq1_sIfEvPKvPT_
; %bb.0:
	s_load_dwordx4 s[4:7], s[0:1], 0x0
	s_mov_b32 s3, 0
	s_lshl_b64 s[0:1], s[2:3], 10
	s_mul_hi_u32 s3, s2, 50
	s_mul_i32 s2, s2, 50
	s_waitcnt lgkmcnt(0)
	s_add_u32 s0, s6, s0
	s_addc_u32 s1, s7, s1
	v_mov_b32_e32 v3, 0
	v_and_b32_e32 v8, 7, v0
	s_add_u32 s2, s4, s2
	s_addc_u32 s3, s5, s3
	v_lshlrev_b32_e32 v4, 1, v8
	v_mov_b32_e32 v5, v3
	v_lshl_add_u64 v[6:7], s[2:3], 0, v[4:5]
	v_lshrrev_b32_e32 v2, 3, v0
	v_lshl_add_u64 v[6:7], v[6:7], 0, v[4:5]
	v_lshl_add_u64 v[6:7], v[6:7], 0, v[2:3]
	global_load_ushort v5, v4, s[2:3] offset:34
	global_load_ushort v10, v3, s[2:3]
	global_load_ubyte v1, v[6:7], off offset:2
	v_mul_u32_u24_e32 v2, 3, v2
	s_movk_i32 s4, 0x700
	s_getpc_b64 s[2:3]
	s_add_u32 s2, s2, _ZL13iq1s_grid_gpu@rel32@lo+4
	s_addc_u32 s3, s3, _ZL13iq1s_grid_gpu@rel32@hi+12
	v_mov_b32_e32 v6, 0xbf900000
	v_mov_b32_e32 v7, 0xbf600000
	s_waitcnt vmcnt(2)
	v_lshrrev_b32_sdwa v2, v2, v5 dst_sel:DWORD dst_unused:UNUSED_PAD src0_sel:DWORD src1_sel:WORD_0
	v_lshlrev_b32_e32 v2, 8, v2
	s_waitcnt vmcnt(0)
	v_and_or_b32 v1, v2, s4, v1
	v_lshlrev_b32_e32 v1, 3, v1
	global_load_dword v4, v1, s[2:3]
	v_mov_b32_e32 v1, v3
	v_and_b32_e32 v2, 0x3f8, v0
	v_lshlrev_b32_e32 v0, 7, v8
	v_lshlrev_b32_e32 v2, 2, v2
	v_lshl_add_u64 v[0:1], s[0:1], 0, v[0:1]
	v_lshl_add_u64 v[8:9], v[0:1], 0, v[2:3]
	v_cvt_f32_f16_e32 v1, v10
	v_lshrrev_b16_e32 v2, 11, v5
	v_bitop3_b16 v2, v2, 1, 14 bitop3:0xec
	v_cmp_lt_i16_e32 vcc, -1, v5
	v_cvt_f32_ubyte0_e32 v2, v2
	s_waitcnt vmcnt(0)
	v_and_b32_e32 v5, 15, v4
	v_cndmask_b32_e32 v0, v6, v7, vcc
	v_mul_f32_e32 v6, v1, v2
	v_and_b32_e32 v1, 0xf0f0f0f, v4
	v_bfe_u32 v2, v4, 8, 4
	v_bfe_u32 v7, v4, 16, 4
	;; [unrolled: 1-line block ×4, first 2 shown]
	v_lshrrev_b32_e32 v13, 28, v4
	v_bfe_u32 v14, v4, 20, 4
	v_cvt_f32_ubyte0_e32 v3, v2
	v_cvt_f32_ubyte0_e32 v2, v5
	v_cvt_f32_ubyte3_e32 v5, v1
	v_cvt_f32_ubyte0_e32 v4, v7
	v_cvt_f32_ubyte0_e32 v11, v10
	;; [unrolled: 1-line block ×5, first 2 shown]
	v_pk_add_f32 v[2:3], v[0:1], v[2:3] op_sel_hi:[0,1]
	v_pk_add_f32 v[4:5], v[0:1], v[4:5] op_sel_hi:[0,1]
	;; [unrolled: 1-line block ×4, first 2 shown]
	v_pk_mul_f32 v[0:1], v[6:7], v[2:3] op_sel_hi:[0,1]
	v_pk_mul_f32 v[2:3], v[6:7], v[4:5] op_sel_hi:[0,1]
	;; [unrolled: 1-line block ×4, first 2 shown]
	global_store_dwordx4 v[8:9], v[0:3], off
	global_store_dwordx4 v[8:9], v[4:7], off offset:16
	s_endpgm
	.section	.rodata,"a",@progbits
	.p2align	6, 0x0
	.amdhsa_kernel _ZL22dequantize_block_iq1_sIfEvPKvPT_
		.amdhsa_group_segment_fixed_size 0
		.amdhsa_private_segment_fixed_size 0
		.amdhsa_kernarg_size 16
		.amdhsa_user_sgpr_count 2
		.amdhsa_user_sgpr_dispatch_ptr 0
		.amdhsa_user_sgpr_queue_ptr 0
		.amdhsa_user_sgpr_kernarg_segment_ptr 1
		.amdhsa_user_sgpr_dispatch_id 0
		.amdhsa_user_sgpr_kernarg_preload_length 0
		.amdhsa_user_sgpr_kernarg_preload_offset 0
		.amdhsa_user_sgpr_private_segment_size 0
		.amdhsa_uses_dynamic_stack 0
		.amdhsa_enable_private_segment 0
		.amdhsa_system_sgpr_workgroup_id_x 1
		.amdhsa_system_sgpr_workgroup_id_y 0
		.amdhsa_system_sgpr_workgroup_id_z 0
		.amdhsa_system_sgpr_workgroup_info 0
		.amdhsa_system_vgpr_workitem_id 0
		.amdhsa_next_free_vgpr 15
		.amdhsa_next_free_sgpr 8
		.amdhsa_accum_offset 16
		.amdhsa_reserve_vcc 1
		.amdhsa_float_round_mode_32 0
		.amdhsa_float_round_mode_16_64 0
		.amdhsa_float_denorm_mode_32 3
		.amdhsa_float_denorm_mode_16_64 3
		.amdhsa_dx10_clamp 1
		.amdhsa_ieee_mode 1
		.amdhsa_fp16_overflow 0
		.amdhsa_tg_split 0
		.amdhsa_exception_fp_ieee_invalid_op 0
		.amdhsa_exception_fp_denorm_src 0
		.amdhsa_exception_fp_ieee_div_zero 0
		.amdhsa_exception_fp_ieee_overflow 0
		.amdhsa_exception_fp_ieee_underflow 0
		.amdhsa_exception_fp_ieee_inexact 0
		.amdhsa_exception_int_div_zero 0
	.end_amdhsa_kernel
	.section	.text._ZL22dequantize_block_iq1_sIfEvPKvPT_,"axG",@progbits,_ZL22dequantize_block_iq1_sIfEvPKvPT_,comdat
.Lfunc_end13:
	.size	_ZL22dequantize_block_iq1_sIfEvPKvPT_, .Lfunc_end13-_ZL22dequantize_block_iq1_sIfEvPKvPT_
                                        ; -- End function
	.set _ZL22dequantize_block_iq1_sIfEvPKvPT_.num_vgpr, 15
	.set _ZL22dequantize_block_iq1_sIfEvPKvPT_.num_agpr, 0
	.set _ZL22dequantize_block_iq1_sIfEvPKvPT_.numbered_sgpr, 8
	.set _ZL22dequantize_block_iq1_sIfEvPKvPT_.num_named_barrier, 0
	.set _ZL22dequantize_block_iq1_sIfEvPKvPT_.private_seg_size, 0
	.set _ZL22dequantize_block_iq1_sIfEvPKvPT_.uses_vcc, 1
	.set _ZL22dequantize_block_iq1_sIfEvPKvPT_.uses_flat_scratch, 0
	.set _ZL22dequantize_block_iq1_sIfEvPKvPT_.has_dyn_sized_stack, 0
	.set _ZL22dequantize_block_iq1_sIfEvPKvPT_.has_recursion, 0
	.set _ZL22dequantize_block_iq1_sIfEvPKvPT_.has_indirect_call, 0
	.section	.AMDGPU.csdata,"",@progbits
; Kernel info:
; codeLenInByte = 440
; TotalNumSgprs: 14
; NumVgprs: 15
; NumAgprs: 0
; TotalNumVgprs: 15
; ScratchSize: 0
; MemoryBound: 0
; FloatMode: 240
; IeeeMode: 1
; LDSByteSize: 0 bytes/workgroup (compile time only)
; SGPRBlocks: 1
; VGPRBlocks: 1
; NumSGPRsForWavesPerEU: 14
; NumVGPRsForWavesPerEU: 15
; AccumOffset: 16
; Occupancy: 8
; WaveLimiterHint : 0
; COMPUTE_PGM_RSRC2:SCRATCH_EN: 0
; COMPUTE_PGM_RSRC2:USER_SGPR: 2
; COMPUTE_PGM_RSRC2:TRAP_HANDLER: 0
; COMPUTE_PGM_RSRC2:TGID_X_EN: 1
; COMPUTE_PGM_RSRC2:TGID_Y_EN: 0
; COMPUTE_PGM_RSRC2:TGID_Z_EN: 0
; COMPUTE_PGM_RSRC2:TIDIG_COMP_CNT: 0
; COMPUTE_PGM_RSRC3_GFX90A:ACCUM_OFFSET: 3
; COMPUTE_PGM_RSRC3_GFX90A:TG_SPLIT: 0
	.section	.text._ZL23dequantize_block_iq4_nlIfEvPKvPT_,"axG",@progbits,_ZL23dequantize_block_iq4_nlIfEvPKvPT_,comdat
	.globl	_ZL23dequantize_block_iq4_nlIfEvPKvPT_ ; -- Begin function _ZL23dequantize_block_iq4_nlIfEvPKvPT_
	.p2align	8
	.type	_ZL23dequantize_block_iq4_nlIfEvPKvPT_,@function
_ZL23dequantize_block_iq4_nlIfEvPKvPT_: ; @_ZL23dequantize_block_iq4_nlIfEvPKvPT_
; %bb.0:
	s_load_dwordx4 s[4:7], s[0:1], 0x0
	s_lshl_b32 s0, s2, 3
	s_mul_i32 s1, s2, 0x90
	s_mul_hi_u32 s3, s0, 18
	v_and_b32_e32 v1, 7, v0
	s_waitcnt lgkmcnt(0)
	s_add_u32 s0, s4, s1
	s_addc_u32 s1, s5, s3
	s_lshl_b32 s2, s2, 8
	s_mov_b32 s3, 0
	s_lshl_b64 s[4:5], s[2:3], 2
	s_add_u32 s4, s6, s4
	s_addc_u32 s5, s7, s5
	v_lshlrev_b32_e32 v2, 7, v1
	v_mov_b32_e32 v3, 0
	v_lshrrev_b32_e32 v0, 1, v0
	v_lshl_add_u64 v[4:5], s[4:5], 0, v[2:3]
	v_and_b32_e32 v2, 0x1fc, v0
	v_mad_u64_u32 v[0:1], s[0:1], v1, 18, s[0:1]
	v_lshl_add_u64 v[6:7], v[0:1], 0, v[2:3]
	global_load_dword v9, v[6:7], off offset:2
	global_load_ushort v12, v[0:1], off
	v_mov_b32_e32 v0, 4
	s_getpc_b64 s[0:1]
	s_add_u32 s0, s0, _ZL13kvalues_iq4nl@rel32@lo+4
	s_addc_u32 s1, s1, _ZL13kvalues_iq4nl@rel32@hi+12
	v_lshlrev_b32_e32 v8, 2, v2
	v_mov_b32_e32 v1, s3
	v_mov_b32_e32 v7, s3
	s_waitcnt vmcnt(1)
	v_lshrrev_b32_e32 v6, 8, v9
	v_lshrrev_b16_e32 v10, 4, v9
	v_lshrrev_b16_sdwa v2, v0, v9 dst_sel:DWORD dst_unused:UNUSED_PAD src0_sel:DWORD src1_sel:BYTE_3
	v_lshrrev_b16_e32 v6, 4, v6
	v_and_b32_e32 v0, 15, v10
	v_lshl_add_u64 v[10:11], s[0:1], 0, v[2:3]
	v_and_b32_e32 v2, 15, v6
	v_and_b32_e32 v13, 15, v9
	;; [unrolled: 1-line block ×4, first 2 shown]
	v_bfe_u32 v14, v9, 8, 4
	v_bfe_u32 v15, v9, 16, 4
	;; [unrolled: 1-line block ×4, first 2 shown]
	v_lshl_add_u64 v[0:1], s[0:1], 0, v[0:1]
	v_lshl_add_u64 v[6:7], s[0:1], 0, v[6:7]
	global_load_sbyte v2, v13, s[0:1]
	global_load_sbyte v18, v14, s[0:1]
	global_load_sbyte v19, v[0:1], off
	global_load_sbyte v20, v17, s[0:1]
	global_load_sbyte v21, v15, s[0:1]
	;; [unrolled: 1-line block ×3, first 2 shown]
	global_load_sbyte v23, v[10:11], off
	global_load_sbyte v24, v[6:7], off
	v_mov_b32_e32 v9, v3
	v_lshl_add_u64 v[8:9], v[4:5], 0, v[8:9]
	s_waitcnt vmcnt(8)
	v_cvt_f32_f16_e32 v4, v12
	s_waitcnt vmcnt(7)
	v_cvt_f32_i32_e32 v0, v2
	s_waitcnt vmcnt(6)
	v_cvt_f32_i32_e32 v1, v18
	;; [unrolled: 2-line block ×8, first 2 shown]
	v_pk_mul_f32 v[0:1], v[4:5], v[0:1] op_sel_hi:[0,1]
	v_pk_mul_f32 v[2:3], v[4:5], v[2:3] op_sel_hi:[0,1]
	;; [unrolled: 1-line block ×4, first 2 shown]
	global_store_dwordx4 v[8:9], v[0:3], off
	global_store_dwordx4 v[8:9], v[4:7], off offset:64
	s_endpgm
	.section	.rodata,"a",@progbits
	.p2align	6, 0x0
	.amdhsa_kernel _ZL23dequantize_block_iq4_nlIfEvPKvPT_
		.amdhsa_group_segment_fixed_size 0
		.amdhsa_private_segment_fixed_size 0
		.amdhsa_kernarg_size 16
		.amdhsa_user_sgpr_count 2
		.amdhsa_user_sgpr_dispatch_ptr 0
		.amdhsa_user_sgpr_queue_ptr 0
		.amdhsa_user_sgpr_kernarg_segment_ptr 1
		.amdhsa_user_sgpr_dispatch_id 0
		.amdhsa_user_sgpr_kernarg_preload_length 0
		.amdhsa_user_sgpr_kernarg_preload_offset 0
		.amdhsa_user_sgpr_private_segment_size 0
		.amdhsa_uses_dynamic_stack 0
		.amdhsa_enable_private_segment 0
		.amdhsa_system_sgpr_workgroup_id_x 1
		.amdhsa_system_sgpr_workgroup_id_y 0
		.amdhsa_system_sgpr_workgroup_id_z 0
		.amdhsa_system_sgpr_workgroup_info 0
		.amdhsa_system_vgpr_workitem_id 0
		.amdhsa_next_free_vgpr 25
		.amdhsa_next_free_sgpr 8
		.amdhsa_accum_offset 28
		.amdhsa_reserve_vcc 0
		.amdhsa_float_round_mode_32 0
		.amdhsa_float_round_mode_16_64 0
		.amdhsa_float_denorm_mode_32 3
		.amdhsa_float_denorm_mode_16_64 3
		.amdhsa_dx10_clamp 1
		.amdhsa_ieee_mode 1
		.amdhsa_fp16_overflow 0
		.amdhsa_tg_split 0
		.amdhsa_exception_fp_ieee_invalid_op 0
		.amdhsa_exception_fp_denorm_src 0
		.amdhsa_exception_fp_ieee_div_zero 0
		.amdhsa_exception_fp_ieee_overflow 0
		.amdhsa_exception_fp_ieee_underflow 0
		.amdhsa_exception_fp_ieee_inexact 0
		.amdhsa_exception_int_div_zero 0
	.end_amdhsa_kernel
	.section	.text._ZL23dequantize_block_iq4_nlIfEvPKvPT_,"axG",@progbits,_ZL23dequantize_block_iq4_nlIfEvPKvPT_,comdat
.Lfunc_end14:
	.size	_ZL23dequantize_block_iq4_nlIfEvPKvPT_, .Lfunc_end14-_ZL23dequantize_block_iq4_nlIfEvPKvPT_
                                        ; -- End function
	.set _ZL23dequantize_block_iq4_nlIfEvPKvPT_.num_vgpr, 25
	.set _ZL23dequantize_block_iq4_nlIfEvPKvPT_.num_agpr, 0
	.set _ZL23dequantize_block_iq4_nlIfEvPKvPT_.numbered_sgpr, 8
	.set _ZL23dequantize_block_iq4_nlIfEvPKvPT_.num_named_barrier, 0
	.set _ZL23dequantize_block_iq4_nlIfEvPKvPT_.private_seg_size, 0
	.set _ZL23dequantize_block_iq4_nlIfEvPKvPT_.uses_vcc, 0
	.set _ZL23dequantize_block_iq4_nlIfEvPKvPT_.uses_flat_scratch, 0
	.set _ZL23dequantize_block_iq4_nlIfEvPKvPT_.has_dyn_sized_stack, 0
	.set _ZL23dequantize_block_iq4_nlIfEvPKvPT_.has_recursion, 0
	.set _ZL23dequantize_block_iq4_nlIfEvPKvPT_.has_indirect_call, 0
	.section	.AMDGPU.csdata,"",@progbits
; Kernel info:
; codeLenInByte = 464
; TotalNumSgprs: 14
; NumVgprs: 25
; NumAgprs: 0
; TotalNumVgprs: 25
; ScratchSize: 0
; MemoryBound: 0
; FloatMode: 240
; IeeeMode: 1
; LDSByteSize: 0 bytes/workgroup (compile time only)
; SGPRBlocks: 1
; VGPRBlocks: 3
; NumSGPRsForWavesPerEU: 14
; NumVGPRsForWavesPerEU: 25
; AccumOffset: 28
; Occupancy: 8
; WaveLimiterHint : 0
; COMPUTE_PGM_RSRC2:SCRATCH_EN: 0
; COMPUTE_PGM_RSRC2:USER_SGPR: 2
; COMPUTE_PGM_RSRC2:TRAP_HANDLER: 0
; COMPUTE_PGM_RSRC2:TGID_X_EN: 1
; COMPUTE_PGM_RSRC2:TGID_Y_EN: 0
; COMPUTE_PGM_RSRC2:TGID_Z_EN: 0
; COMPUTE_PGM_RSRC2:TIDIG_COMP_CNT: 0
; COMPUTE_PGM_RSRC3_GFX90A:ACCUM_OFFSET: 6
; COMPUTE_PGM_RSRC3_GFX90A:TG_SPLIT: 0
	.section	.text._ZL22dequantize_block_iq3_sIfEvPKvPT_,"axG",@progbits,_ZL22dequantize_block_iq3_sIfEvPKvPT_,comdat
	.globl	_ZL22dequantize_block_iq3_sIfEvPKvPT_ ; -- Begin function _ZL22dequantize_block_iq3_sIfEvPKvPT_
	.p2align	8
	.type	_ZL22dequantize_block_iq3_sIfEvPKvPT_,@function
_ZL22dequantize_block_iq3_sIfEvPKvPT_:  ; @_ZL22dequantize_block_iq3_sIfEvPKvPT_
; %bb.0:
	s_load_dwordx4 s[4:7], s[0:1], 0x0
	s_lshl_b32 s0, s2, 8
	s_mov_b32 s1, 0
	s_lshl_b64 s[0:1], s[0:1], 2
	v_and_b32_e32 v8, 7, v0
	s_waitcnt lgkmcnt(0)
	s_add_u32 s0, s6, s0
	s_addc_u32 s1, s7, s1
	v_lshlrev_b32_e32 v2, 7, v8
	v_mov_b32_e32 v3, 0
	v_lshl_add_u64 v[4:5], s[0:1], 0, v[2:3]
	v_and_b32_e32 v2, 0x3f8, v0
	s_mul_hi_u32 s1, s2, 0x6e
	s_mulk_i32 s2, 0x6e
	v_lshlrev_b32_e32 v2, 2, v2
	s_add_u32 s0, s4, s2
	v_lshrrev_b32_e32 v1, 3, v0
	v_lshl_add_u64 v[4:5], v[4:5], 0, v[2:3]
	s_addc_u32 s1, s5, s1
	v_lshlrev_b32_e32 v2, 3, v8
	v_lshl_add_u64 v[6:7], s[0:1], 0, v[2:3]
	v_lshlrev_b32_e32 v2, 1, v1
	v_lshl_add_u64 v[6:7], v[6:7], 0, v[2:3]
	v_bfe_u32 v9, v0, 1, 2
	v_lshl_add_u32 v1, v8, 2, v1
	global_load_ushort v10, v[6:7], off offset:2
	global_load_ubyte v11, v9, s[0:1] offset:106
	global_load_ubyte v12, v1, s[0:1] offset:74
	;; [unrolled: 1-line block ×3, first 2 shown]
	global_load_ushort v14, v3, s[0:1]
	v_sub_u32_e32 v1, 8, v2
	v_sub_u32_e32 v2, 7, v2
	s_movk_i32 s2, 0x100
	s_getpc_b64 s[0:1]
	s_add_u32 s0, s0, _ZL10iq3xs_grid@rel32@lo+4
	s_addc_u32 s1, s1, _ZL10iq3xs_grid@rel32@hi+12
	v_lshlrev_b32_e32 v0, 2, v0
	v_and_b32_e32 v0, 4, v0
	s_waitcnt vmcnt(4)
	v_lshrrev_b16_e32 v7, 8, v10
	v_and_b32_e32 v6, 0xff, v10
	s_waitcnt vmcnt(3)
	v_bfe_u32 v0, v11, v0, 4
	s_waitcnt vmcnt(1)
	v_lshlrev_b32_e32 v2, v2, v13
	v_lshlrev_b32_e32 v1, v1, v13
	v_and_or_b32 v2, v2, s2, v7
	v_lshlrev_b32_e32 v2, 2, v2
	v_and_or_b32 v1, v1, s2, v6
	global_load_dword v2, v2, s[0:1]
	v_lshlrev_b32_e32 v1, 2, v1
	global_load_dword v1, v1, s[0:1]
	s_waitcnt vmcnt(2)
	v_cvt_f32_f16_e32 v6, v14
	v_cvt_f32_ubyte0_e32 v0, v0
	v_add_f32_e32 v0, 0.5, v0
	v_and_b32_e32 v10, 16, v12
	v_mul_f32_e32 v0, v0, v6
	v_mul_f32_e32 v0, 0.5, v0
	v_and_b32_e32 v11, 32, v12
	v_cmp_eq_u16_e32 vcc, 0, v10
	v_and_b32_e32 v13, 64, v12
	v_and_b32_e32 v14, 8, v12
	;; [unrolled: 1-line block ×5, first 2 shown]
	v_cmp_lt_i16_sdwa s[0:1], sext(v12), v3 src0_sel:BYTE_0 src1_sel:DWORD
	s_waitcnt vmcnt(1)
	v_cvt_f32_ubyte0_e32 v18, v2
	v_cvt_f32_ubyte1_e32 v19, v2
	v_cvt_f32_ubyte2_e32 v20, v2
	s_waitcnt vmcnt(0)
	v_cvt_f32_ubyte1_e32 v7, v1
	v_cvt_f32_ubyte0_e32 v6, v1
	v_cvt_f32_ubyte3_e32 v9, v1
	v_cvt_f32_ubyte2_e32 v8, v1
	v_cvt_f32_ubyte3_e32 v1, v2
	v_mul_f32_e32 v2, v0, v18
	v_mul_f32_e32 v18, v0, v19
	;; [unrolled: 1-line block ×3, first 2 shown]
	v_pk_mul_f32 v[8:9], v[0:1], v[8:9] op_sel_hi:[0,1]
	v_pk_mul_f32 v[6:7], v[0:1], v[6:7] op_sel_hi:[0,1]
	v_mul_f32_e32 v20, v0, v1
	v_cndmask_b32_e64 v0, -v2, v2, vcc
	v_cmp_eq_u16_e32 vcc, 0, v11
	v_cndmask_b32_e64 v3, v20, -v20, s[0:1]
	s_nop 0
	v_cndmask_b32_e64 v1, -v18, v18, vcc
	v_cmp_eq_u16_e32 vcc, 0, v13
	s_nop 1
	v_cndmask_b32_e64 v2, -v19, v19, vcc
	v_cmp_eq_u16_e32 vcc, 0, v14
	;; [unrolled: 3-line block ×5, first 2 shown]
	s_nop 1
	v_cndmask_b32_e64 v6, -v6, v6, vcc
	global_store_dwordx4 v[4:5], v[6:9], off
	global_store_dwordx4 v[4:5], v[0:3], off offset:16
	s_endpgm
	.section	.rodata,"a",@progbits
	.p2align	6, 0x0
	.amdhsa_kernel _ZL22dequantize_block_iq3_sIfEvPKvPT_
		.amdhsa_group_segment_fixed_size 0
		.amdhsa_private_segment_fixed_size 0
		.amdhsa_kernarg_size 16
		.amdhsa_user_sgpr_count 2
		.amdhsa_user_sgpr_dispatch_ptr 0
		.amdhsa_user_sgpr_queue_ptr 0
		.amdhsa_user_sgpr_kernarg_segment_ptr 1
		.amdhsa_user_sgpr_dispatch_id 0
		.amdhsa_user_sgpr_kernarg_preload_length 0
		.amdhsa_user_sgpr_kernarg_preload_offset 0
		.amdhsa_user_sgpr_private_segment_size 0
		.amdhsa_uses_dynamic_stack 0
		.amdhsa_enable_private_segment 0
		.amdhsa_system_sgpr_workgroup_id_x 1
		.amdhsa_system_sgpr_workgroup_id_y 0
		.amdhsa_system_sgpr_workgroup_id_z 0
		.amdhsa_system_sgpr_workgroup_info 0
		.amdhsa_system_vgpr_workitem_id 0
		.amdhsa_next_free_vgpr 21
		.amdhsa_next_free_sgpr 8
		.amdhsa_accum_offset 24
		.amdhsa_reserve_vcc 1
		.amdhsa_float_round_mode_32 0
		.amdhsa_float_round_mode_16_64 0
		.amdhsa_float_denorm_mode_32 3
		.amdhsa_float_denorm_mode_16_64 3
		.amdhsa_dx10_clamp 1
		.amdhsa_ieee_mode 1
		.amdhsa_fp16_overflow 0
		.amdhsa_tg_split 0
		.amdhsa_exception_fp_ieee_invalid_op 0
		.amdhsa_exception_fp_denorm_src 0
		.amdhsa_exception_fp_ieee_div_zero 0
		.amdhsa_exception_fp_ieee_overflow 0
		.amdhsa_exception_fp_ieee_underflow 0
		.amdhsa_exception_fp_ieee_inexact 0
		.amdhsa_exception_int_div_zero 0
	.end_amdhsa_kernel
	.section	.text._ZL22dequantize_block_iq3_sIfEvPKvPT_,"axG",@progbits,_ZL22dequantize_block_iq3_sIfEvPKvPT_,comdat
.Lfunc_end15:
	.size	_ZL22dequantize_block_iq3_sIfEvPKvPT_, .Lfunc_end15-_ZL22dequantize_block_iq3_sIfEvPKvPT_
                                        ; -- End function
	.set _ZL22dequantize_block_iq3_sIfEvPKvPT_.num_vgpr, 21
	.set _ZL22dequantize_block_iq3_sIfEvPKvPT_.num_agpr, 0
	.set _ZL22dequantize_block_iq3_sIfEvPKvPT_.numbered_sgpr, 8
	.set _ZL22dequantize_block_iq3_sIfEvPKvPT_.num_named_barrier, 0
	.set _ZL22dequantize_block_iq3_sIfEvPKvPT_.private_seg_size, 0
	.set _ZL22dequantize_block_iq3_sIfEvPKvPT_.uses_vcc, 1
	.set _ZL22dequantize_block_iq3_sIfEvPKvPT_.uses_flat_scratch, 0
	.set _ZL22dequantize_block_iq3_sIfEvPKvPT_.has_dyn_sized_stack, 0
	.set _ZL22dequantize_block_iq3_sIfEvPKvPT_.has_recursion, 0
	.set _ZL22dequantize_block_iq3_sIfEvPKvPT_.has_indirect_call, 0
	.section	.AMDGPU.csdata,"",@progbits
; Kernel info:
; codeLenInByte = 564
; TotalNumSgprs: 14
; NumVgprs: 21
; NumAgprs: 0
; TotalNumVgprs: 21
; ScratchSize: 0
; MemoryBound: 0
; FloatMode: 240
; IeeeMode: 1
; LDSByteSize: 0 bytes/workgroup (compile time only)
; SGPRBlocks: 1
; VGPRBlocks: 2
; NumSGPRsForWavesPerEU: 14
; NumVGPRsForWavesPerEU: 21
; AccumOffset: 24
; Occupancy: 8
; WaveLimiterHint : 0
; COMPUTE_PGM_RSRC2:SCRATCH_EN: 0
; COMPUTE_PGM_RSRC2:USER_SGPR: 2
; COMPUTE_PGM_RSRC2:TRAP_HANDLER: 0
; COMPUTE_PGM_RSRC2:TGID_X_EN: 1
; COMPUTE_PGM_RSRC2:TGID_Y_EN: 0
; COMPUTE_PGM_RSRC2:TGID_Z_EN: 0
; COMPUTE_PGM_RSRC2:TIDIG_COMP_CNT: 0
; COMPUTE_PGM_RSRC3_GFX90A:ACCUM_OFFSET: 5
; COMPUTE_PGM_RSRC3_GFX90A:TG_SPLIT: 0
	.section	.text._ZL22dequantize_block_iq2_sIfEvPKvPT_,"axG",@progbits,_ZL22dequantize_block_iq2_sIfEvPKvPT_,comdat
	.globl	_ZL22dequantize_block_iq2_sIfEvPKvPT_ ; -- Begin function _ZL22dequantize_block_iq2_sIfEvPKvPT_
	.p2align	8
	.type	_ZL22dequantize_block_iq2_sIfEvPKvPT_,@function
_ZL22dequantize_block_iq2_sIfEvPKvPT_:  ; @_ZL22dequantize_block_iq2_sIfEvPKvPT_
; %bb.0:
	s_load_dwordx4 s[4:7], s[0:1], 0x0
	s_lshl_b32 s0, s2, 8
	s_mov_b32 s1, 0
	s_lshl_b64 s[0:1], s[0:1], 2
	s_mul_hi_u32 s3, s2, 0x52
	s_waitcnt lgkmcnt(0)
	s_add_u32 s0, s6, s0
	s_addc_u32 s1, s7, s1
	s_mulk_i32 s2, 0x52
	s_add_u32 s2, s4, s2
	v_lshrrev_b32_e32 v1, 3, v0
	v_and_b32_e32 v4, 7, v0
	s_addc_u32 s3, s5, s3
	v_lshl_add_u32 v2, v4, 2, v1
	global_load_ubyte v3, v4, s[2:3] offset:66
	global_load_ubyte v5, v2, s[2:3] offset:2
	v_mov_b32_e32 v7, 0
	v_lshlrev_b32_e32 v1, 1, v1
	global_load_ushort v10, v7, s[2:3]
	global_load_ubyte v12, v2, s[2:3] offset:34
	global_load_ubyte v11, v4, s[2:3] offset:74
	v_sub_u32_e32 v1, 8, v1
	s_movk_i32 s4, 0x300
	s_getpc_b64 s[2:3]
	s_add_u32 s2, s2, _ZL9iq2s_grid@rel32@lo+4
	s_addc_u32 s3, s3, _ZL9iq2s_grid@rel32@hi+12
	v_lshlrev_b32_e32 v6, 7, v4
	s_waitcnt vmcnt(4)
	v_lshlrev_b32_e32 v1, v1, v3
	s_waitcnt vmcnt(3)
	v_and_or_b32 v1, v1, s4, v5
	v_lshlrev_b32_e32 v1, 3, v1
	global_load_dwordx2 v[2:3], v1, s[2:3]
	v_and_b32_e32 v5, 0x3f8, v0
	v_lshrrev_b32_e32 v0, 2, v0
	v_and_b32_e32 v4, 0xfc, v0
	v_lshl_add_u64 v[0:1], s[0:1], 0, v[6:7]
	v_lshlrev_b32_e32 v6, 2, v5
	v_lshl_add_u64 v[8:9], v[0:1], 0, v[6:7]
	s_waitcnt vmcnt(3)
	v_cvt_f32_f16_e32 v0, v10
	s_waitcnt vmcnt(1)
	v_bfe_u32 v1, v11, v4, 4
	v_cvt_f32_ubyte0_e32 v1, v1
	v_add_f32_e32 v1, 0.5, v1
	v_mul_f32_e32 v0, v1, v0
	v_and_b32_e32 v6, 8, v12
	v_mul_f32_e32 v0, 0x3e800000, v0
	v_and_b32_e32 v13, 4, v12
	v_cmp_eq_u16_e32 vcc, 0, v6
	v_and_b32_e32 v14, 2, v12
	v_and_b32_e32 v15, 1, v12
	;; [unrolled: 1-line block ×5, first 2 shown]
	v_cmp_lt_i16_sdwa s[0:1], sext(v12), v7 src0_sel:BYTE_0 src1_sel:DWORD
	s_waitcnt vmcnt(0)
	v_cvt_f32_ubyte3_e32 v11, v2
	v_cvt_f32_ubyte2_e32 v10, v2
	v_cvt_f32_ubyte0_e32 v1, v3
	v_cvt_f32_ubyte1_e32 v5, v2
	v_cvt_f32_ubyte0_e32 v4, v2
	v_cvt_f32_ubyte1_e32 v19, v3
	v_cvt_f32_ubyte2_e32 v20, v3
	v_cvt_f32_ubyte3_e32 v21, v3
	v_pk_mul_f32 v[2:3], v[0:1], v[10:11] op_sel_hi:[0,1]
	v_cndmask_b32_e64 v3, -v3, v3, vcc
	v_cmp_eq_u16_e32 vcc, 0, v13
	v_pk_mul_f32 v[4:5], v[0:1], v[4:5] op_sel_hi:[0,1]
	v_mul_f32_e32 v10, v0, v1
	v_cndmask_b32_e64 v2, -v2, v2, vcc
	v_cmp_eq_u16_e32 vcc, 0, v14
	v_mul_f32_e32 v11, v0, v19
	v_mul_f32_e32 v19, v0, v20
	v_cndmask_b32_e64 v1, -v5, v5, vcc
	v_cmp_eq_u16_e32 vcc, 0, v15
	v_mul_f32_e32 v20, v0, v21
	v_cndmask_b32_e64 v7, v20, -v20, s[0:1]
	v_cndmask_b32_e64 v0, -v4, v4, vcc
	v_cmp_eq_u16_e32 vcc, 0, v16
	s_nop 1
	v_cndmask_b32_e64 v4, -v10, v10, vcc
	v_cmp_eq_u16_e32 vcc, 0, v17
	s_nop 1
	;; [unrolled: 3-line block ×3, first 2 shown]
	v_cndmask_b32_e64 v6, -v19, v19, vcc
	global_store_dwordx4 v[8:9], v[0:3], off
	global_store_dwordx4 v[8:9], v[4:7], off offset:16
	s_endpgm
	.section	.rodata,"a",@progbits
	.p2align	6, 0x0
	.amdhsa_kernel _ZL22dequantize_block_iq2_sIfEvPKvPT_
		.amdhsa_group_segment_fixed_size 0
		.amdhsa_private_segment_fixed_size 0
		.amdhsa_kernarg_size 16
		.amdhsa_user_sgpr_count 2
		.amdhsa_user_sgpr_dispatch_ptr 0
		.amdhsa_user_sgpr_queue_ptr 0
		.amdhsa_user_sgpr_kernarg_segment_ptr 1
		.amdhsa_user_sgpr_dispatch_id 0
		.amdhsa_user_sgpr_kernarg_preload_length 0
		.amdhsa_user_sgpr_kernarg_preload_offset 0
		.amdhsa_user_sgpr_private_segment_size 0
		.amdhsa_uses_dynamic_stack 0
		.amdhsa_enable_private_segment 0
		.amdhsa_system_sgpr_workgroup_id_x 1
		.amdhsa_system_sgpr_workgroup_id_y 0
		.amdhsa_system_sgpr_workgroup_id_z 0
		.amdhsa_system_sgpr_workgroup_info 0
		.amdhsa_system_vgpr_workitem_id 0
		.amdhsa_next_free_vgpr 22
		.amdhsa_next_free_sgpr 8
		.amdhsa_accum_offset 24
		.amdhsa_reserve_vcc 1
		.amdhsa_float_round_mode_32 0
		.amdhsa_float_round_mode_16_64 0
		.amdhsa_float_denorm_mode_32 3
		.amdhsa_float_denorm_mode_16_64 3
		.amdhsa_dx10_clamp 1
		.amdhsa_ieee_mode 1
		.amdhsa_fp16_overflow 0
		.amdhsa_tg_split 0
		.amdhsa_exception_fp_ieee_invalid_op 0
		.amdhsa_exception_fp_denorm_src 0
		.amdhsa_exception_fp_ieee_div_zero 0
		.amdhsa_exception_fp_ieee_overflow 0
		.amdhsa_exception_fp_ieee_underflow 0
		.amdhsa_exception_fp_ieee_inexact 0
		.amdhsa_exception_int_div_zero 0
	.end_amdhsa_kernel
	.section	.text._ZL22dequantize_block_iq2_sIfEvPKvPT_,"axG",@progbits,_ZL22dequantize_block_iq2_sIfEvPKvPT_,comdat
.Lfunc_end16:
	.size	_ZL22dequantize_block_iq2_sIfEvPKvPT_, .Lfunc_end16-_ZL22dequantize_block_iq2_sIfEvPKvPT_
                                        ; -- End function
	.set _ZL22dequantize_block_iq2_sIfEvPKvPT_.num_vgpr, 22
	.set _ZL22dequantize_block_iq2_sIfEvPKvPT_.num_agpr, 0
	.set _ZL22dequantize_block_iq2_sIfEvPKvPT_.numbered_sgpr, 8
	.set _ZL22dequantize_block_iq2_sIfEvPKvPT_.num_named_barrier, 0
	.set _ZL22dequantize_block_iq2_sIfEvPKvPT_.private_seg_size, 0
	.set _ZL22dequantize_block_iq2_sIfEvPKvPT_.uses_vcc, 1
	.set _ZL22dequantize_block_iq2_sIfEvPKvPT_.uses_flat_scratch, 0
	.set _ZL22dequantize_block_iq2_sIfEvPKvPT_.has_dyn_sized_stack, 0
	.set _ZL22dequantize_block_iq2_sIfEvPKvPT_.has_recursion, 0
	.set _ZL22dequantize_block_iq2_sIfEvPKvPT_.has_indirect_call, 0
	.section	.AMDGPU.csdata,"",@progbits
; Kernel info:
; codeLenInByte = 488
; TotalNumSgprs: 14
; NumVgprs: 22
; NumAgprs: 0
; TotalNumVgprs: 22
; ScratchSize: 0
; MemoryBound: 0
; FloatMode: 240
; IeeeMode: 1
; LDSByteSize: 0 bytes/workgroup (compile time only)
; SGPRBlocks: 1
; VGPRBlocks: 2
; NumSGPRsForWavesPerEU: 14
; NumVGPRsForWavesPerEU: 22
; AccumOffset: 24
; Occupancy: 8
; WaveLimiterHint : 0
; COMPUTE_PGM_RSRC2:SCRATCH_EN: 0
; COMPUTE_PGM_RSRC2:USER_SGPR: 2
; COMPUTE_PGM_RSRC2:TRAP_HANDLER: 0
; COMPUTE_PGM_RSRC2:TGID_X_EN: 1
; COMPUTE_PGM_RSRC2:TGID_Y_EN: 0
; COMPUTE_PGM_RSRC2:TGID_Z_EN: 0
; COMPUTE_PGM_RSRC2:TIDIG_COMP_CNT: 0
; COMPUTE_PGM_RSRC3_GFX90A:ACCUM_OFFSET: 5
; COMPUTE_PGM_RSRC3_GFX90A:TG_SPLIT: 0
	.section	.text._ZL23dequantize_block_iq4_xsIfEvPKvPT_,"axG",@progbits,_ZL23dequantize_block_iq4_xsIfEvPKvPT_,comdat
	.globl	_ZL23dequantize_block_iq4_xsIfEvPKvPT_ ; -- Begin function _ZL23dequantize_block_iq4_xsIfEvPKvPT_
	.p2align	8
	.type	_ZL23dequantize_block_iq4_xsIfEvPKvPT_,@function
_ZL23dequantize_block_iq4_xsIfEvPKvPT_: ; @_ZL23dequantize_block_iq4_xsIfEvPKvPT_
; %bb.0:
	s_load_dwordx4 s[4:7], s[0:1], 0x0
	s_lshl_b32 s0, s2, 8
	s_mov_b32 s1, 0
	s_lshl_b64 s[8:9], s[0:1], 2
	v_and_b32_e32 v1, 7, v0
	s_waitcnt lgkmcnt(0)
	s_add_u32 s6, s6, s8
	s_addc_u32 s7, s7, s9
	s_mul_hi_u32 s0, s2, 0x88
	s_mulk_i32 s2, 0x88
	v_lshlrev_b32_e32 v2, 7, v1
	v_mov_b32_e32 v3, 0
	s_add_u32 s2, s4, s2
	v_lshl_add_u64 v[4:5], s[6:7], 0, v[2:3]
	v_lshrrev_b32_e32 v2, 1, v0
	s_addc_u32 s3, s5, s0
	v_lshlrev_b32_e32 v6, 4, v1
	v_mov_b32_e32 v7, v3
	v_and_b32_e32 v2, 0x1fc, v2
	v_lshl_add_u64 v[6:7], s[2:3], 0, v[6:7]
	v_lshl_add_u64 v[6:7], v[6:7], 0, v[2:3]
	global_load_dword v6, v[6:7], off offset:8
	v_bfe_u32 v7, v0, 1, 2
	global_load_dword v11, v3, s[2:3]
	global_load_ubyte v14, v7, s[2:3] offset:4
	v_mov_b32_e32 v8, 4
	v_mov_b32_e32 v7, s1
	;; [unrolled: 1-line block ×3, first 2 shown]
	v_lshlrev_b32_e32 v10, 2, v2
	s_getpc_b64 s[0:1]
	s_add_u32 s0, s0, _ZL13kvalues_iq4nl@rel32@lo+4
	s_addc_u32 s1, s1, _ZL13kvalues_iq4nl@rel32@hi+12
	v_lshlrev_b32_e32 v0, 2, v0
	v_lshlrev_b32_e32 v1, 1, v1
	v_and_b32_e32 v0, 4, v0
	s_waitcnt vmcnt(2)
	v_lshrrev_b32_e32 v12, 8, v6
	v_lshrrev_b16_e32 v13, 4, v6
	v_lshrrev_b16_sdwa v2, v8, v6 dst_sel:DWORD dst_unused:UNUSED_PAD src0_sel:DWORD src1_sel:BYTE_3
	v_lshrrev_b16_e32 v8, 4, v12
	v_and_b32_e32 v15, 15, v6
	v_bfe_u32 v16, v6, 8, 4
	v_bfe_u32 v17, v6, 16, 4
	;; [unrolled: 1-line block ×4, first 2 shown]
	v_and_b32_e32 v6, 15, v13
	v_lshl_add_u64 v[12:13], s[0:1], 0, v[2:3]
	v_and_b32_e32 v2, 15, v8
	v_and_b32_e32 v6, 0xffff, v6
	;; [unrolled: 1-line block ×3, first 2 shown]
	v_lshl_add_u64 v[6:7], s[0:1], 0, v[6:7]
	v_lshl_add_u64 v[8:9], s[0:1], 0, v[8:9]
	global_load_sbyte v2, v15, s[0:1]
	global_load_sbyte v20, v16, s[0:1]
	global_load_sbyte v21, v[6:7], off
	global_load_sbyte v22, v19, s[0:1]
	global_load_sbyte v23, v17, s[0:1]
	;; [unrolled: 1-line block ×3, first 2 shown]
	global_load_sbyte v25, v[12:13], off
	global_load_sbyte v26, v[8:9], off
	s_waitcnt vmcnt(9)
	v_lshrrev_b32_sdwa v1, v1, v11 dst_sel:DWORD dst_unused:UNUSED_PAD src0_sel:DWORD src1_sel:WORD_1
	s_waitcnt vmcnt(8)
	v_bfe_u32 v0, v14, v0, 4
	v_lshlrev_b32_e32 v1, 4, v1
	v_and_or_b32 v0, v1, 48, v0
	v_subrev_u32_e32 v0, 32, v0
	v_cvt_f32_f16_e32 v6, v11
	v_cvt_f32_i32_e32 v0, v0
	v_mov_b32_e32 v11, v3
	v_lshl_add_u64 v[8:9], v[4:5], 0, v[10:11]
	v_mul_f32_e32 v4, v6, v0
	s_waitcnt vmcnt(7)
	v_cvt_f32_i32_e32 v0, v2
	s_waitcnt vmcnt(6)
	v_cvt_f32_i32_e32 v1, v20
	;; [unrolled: 2-line block ×8, first 2 shown]
	v_pk_mul_f32 v[0:1], v[4:5], v[0:1] op_sel_hi:[0,1]
	v_pk_mul_f32 v[2:3], v[4:5], v[2:3] op_sel_hi:[0,1]
	v_pk_mul_f32 v[6:7], v[4:5], v[6:7] op_sel_hi:[0,1]
	v_pk_mul_f32 v[4:5], v[4:5], v[10:11] op_sel_hi:[0,1]
	global_store_dwordx4 v[8:9], v[0:3], off
	global_store_dwordx4 v[8:9], v[4:7], off offset:64
	s_endpgm
	.section	.rodata,"a",@progbits
	.p2align	6, 0x0
	.amdhsa_kernel _ZL23dequantize_block_iq4_xsIfEvPKvPT_
		.amdhsa_group_segment_fixed_size 0
		.amdhsa_private_segment_fixed_size 0
		.amdhsa_kernarg_size 16
		.amdhsa_user_sgpr_count 2
		.amdhsa_user_sgpr_dispatch_ptr 0
		.amdhsa_user_sgpr_queue_ptr 0
		.amdhsa_user_sgpr_kernarg_segment_ptr 1
		.amdhsa_user_sgpr_dispatch_id 0
		.amdhsa_user_sgpr_kernarg_preload_length 0
		.amdhsa_user_sgpr_kernarg_preload_offset 0
		.amdhsa_user_sgpr_private_segment_size 0
		.amdhsa_uses_dynamic_stack 0
		.amdhsa_enable_private_segment 0
		.amdhsa_system_sgpr_workgroup_id_x 1
		.amdhsa_system_sgpr_workgroup_id_y 0
		.amdhsa_system_sgpr_workgroup_id_z 0
		.amdhsa_system_sgpr_workgroup_info 0
		.amdhsa_system_vgpr_workitem_id 0
		.amdhsa_next_free_vgpr 27
		.amdhsa_next_free_sgpr 10
		.amdhsa_accum_offset 28
		.amdhsa_reserve_vcc 0
		.amdhsa_float_round_mode_32 0
		.amdhsa_float_round_mode_16_64 0
		.amdhsa_float_denorm_mode_32 3
		.amdhsa_float_denorm_mode_16_64 3
		.amdhsa_dx10_clamp 1
		.amdhsa_ieee_mode 1
		.amdhsa_fp16_overflow 0
		.amdhsa_tg_split 0
		.amdhsa_exception_fp_ieee_invalid_op 0
		.amdhsa_exception_fp_denorm_src 0
		.amdhsa_exception_fp_ieee_div_zero 0
		.amdhsa_exception_fp_ieee_overflow 0
		.amdhsa_exception_fp_ieee_underflow 0
		.amdhsa_exception_fp_ieee_inexact 0
		.amdhsa_exception_int_div_zero 0
	.end_amdhsa_kernel
	.section	.text._ZL23dequantize_block_iq4_xsIfEvPKvPT_,"axG",@progbits,_ZL23dequantize_block_iq4_xsIfEvPKvPT_,comdat
.Lfunc_end17:
	.size	_ZL23dequantize_block_iq4_xsIfEvPKvPT_, .Lfunc_end17-_ZL23dequantize_block_iq4_xsIfEvPKvPT_
                                        ; -- End function
	.set _ZL23dequantize_block_iq4_xsIfEvPKvPT_.num_vgpr, 27
	.set _ZL23dequantize_block_iq4_xsIfEvPKvPT_.num_agpr, 0
	.set _ZL23dequantize_block_iq4_xsIfEvPKvPT_.numbered_sgpr, 10
	.set _ZL23dequantize_block_iq4_xsIfEvPKvPT_.num_named_barrier, 0
	.set _ZL23dequantize_block_iq4_xsIfEvPKvPT_.private_seg_size, 0
	.set _ZL23dequantize_block_iq4_xsIfEvPKvPT_.uses_vcc, 0
	.set _ZL23dequantize_block_iq4_xsIfEvPKvPT_.uses_flat_scratch, 0
	.set _ZL23dequantize_block_iq4_xsIfEvPKvPT_.has_dyn_sized_stack, 0
	.set _ZL23dequantize_block_iq4_xsIfEvPKvPT_.has_recursion, 0
	.set _ZL23dequantize_block_iq4_xsIfEvPKvPT_.has_indirect_call, 0
	.section	.AMDGPU.csdata,"",@progbits
; Kernel info:
; codeLenInByte = 540
; TotalNumSgprs: 16
; NumVgprs: 27
; NumAgprs: 0
; TotalNumVgprs: 27
; ScratchSize: 0
; MemoryBound: 0
; FloatMode: 240
; IeeeMode: 1
; LDSByteSize: 0 bytes/workgroup (compile time only)
; SGPRBlocks: 1
; VGPRBlocks: 3
; NumSGPRsForWavesPerEU: 16
; NumVGPRsForWavesPerEU: 27
; AccumOffset: 28
; Occupancy: 8
; WaveLimiterHint : 0
; COMPUTE_PGM_RSRC2:SCRATCH_EN: 0
; COMPUTE_PGM_RSRC2:USER_SGPR: 2
; COMPUTE_PGM_RSRC2:TRAP_HANDLER: 0
; COMPUTE_PGM_RSRC2:TGID_X_EN: 1
; COMPUTE_PGM_RSRC2:TGID_Y_EN: 0
; COMPUTE_PGM_RSRC2:TGID_Z_EN: 0
; COMPUTE_PGM_RSRC2:TIDIG_COMP_CNT: 0
; COMPUTE_PGM_RSRC3_GFX90A:ACCUM_OFFSET: 6
; COMPUTE_PGM_RSRC3_GFX90A:TG_SPLIT: 0
	.section	.text._ZL22dequantize_block_iq1_mIfEvPKvPT_,"axG",@progbits,_ZL22dequantize_block_iq1_mIfEvPKvPT_,comdat
	.globl	_ZL22dequantize_block_iq1_mIfEvPKvPT_ ; -- Begin function _ZL22dequantize_block_iq1_mIfEvPKvPT_
	.p2align	8
	.type	_ZL22dequantize_block_iq1_mIfEvPKvPT_,@function
_ZL22dequantize_block_iq1_mIfEvPKvPT_:  ; @_ZL22dequantize_block_iq1_mIfEvPKvPT_
; %bb.0:
	s_load_dwordx4 s[4:7], s[0:1], 0x0
	s_mov_b32 s3, 0
	s_lshl_b64 s[0:1], s[2:3], 10
	s_mul_hi_u32 s3, s2, 56
	s_mul_i32 s2, s2, 56
	s_waitcnt lgkmcnt(0)
	s_add_u32 s0, s6, s0
	s_addc_u32 s1, s7, s1
	v_mov_b32_e32 v3, 0
	v_and_b32_e32 v8, 7, v0
	s_add_u32 s2, s4, s2
	s_addc_u32 s3, s5, s3
	v_lshlrev_b32_e32 v4, 2, v8
	v_mov_b32_e32 v5, v3
	v_lshrrev_b32_e32 v2, 3, v0
	v_lshl_add_u64 v[4:5], s[2:3], 0, v[4:5]
	v_lshlrev_b32_e32 v1, 1, v8
	v_lshrrev_b32_e32 v9, 4, v0
	v_lshl_add_u64 v[4:5], v[4:5], 0, v[2:3]
	v_add_u32_e32 v10, v1, v9
	global_load_ubyte v2, v[4:5], off
	global_load_ubyte v11, v10, s[2:3] offset:32
	global_load_dwordx2 v[6:7], v3, s[2:3] offset:48
	v_add_u16_e32 v1, v1, v9
	v_lshrrev_b16_e32 v1, 1, v1
	v_mov_b32_e32 v5, v3
	v_and_b32_e32 v4, 62, v1
	v_lshrrev_b32_e32 v1, 1, v0
	v_lshl_add_u64 v[4:5], s[2:3], 0, v[4:5]
	v_and_b32_e32 v1, 4, v1
	global_load_ushort v4, v[4:5], off offset:48
	s_movk_i32 s4, 0x700
	s_getpc_b64 s[2:3]
	s_add_u32 s2, s2, _ZL13iq1s_grid_gpu@rel32@lo+4
	s_addc_u32 s3, s3, _ZL13iq1s_grid_gpu@rel32@hi+12
	v_mov_b32_e32 v12, 0xbf900000
	v_mov_b32_e32 v13, 0xbf600000
	s_waitcnt vmcnt(2)
	v_lshrrev_b32_e32 v5, v1, v11
	v_lshlrev_b32_e32 v1, 8, v5
	v_and_or_b32 v1, v1, s4, v2
	v_lshlrev_b32_e32 v1, 3, v1
	global_load_dword v11, v1, s[2:3]
	v_mov_b32_e32 v1, v3
	v_and_b32_e32 v2, 0x3f8, v0
	v_lshlrev_b32_e32 v0, 7, v8
	s_mov_b32 s2, 0x8000c
	v_lshlrev_b32_e32 v2, 2, v2
	v_and_b32_e32 v8, 3, v10
	v_lshl_add_u64 v[0:1], s[0:1], 0, v[0:1]
	s_movk_i32 s3, 0xf0
	v_mul_u32_u24_e32 v10, 3, v8
	v_lshl_add_u64 v[8:9], v[0:1], 0, v[2:3]
	s_waitcnt vmcnt(2)
	v_pk_lshrrev_b16 v0, s2, v6
	v_pk_lshrrev_b16 v1, 4, v7
	v_and_b32_sdwa v2, v0, s3 dst_sel:DWORD dst_unused:UNUSED_PAD src0_sel:WORD_1 src1_sel:DWORD
	v_and_b32_e32 v1, 0xf0000f00, v1
	v_or_b32_e32 v0, v2, v0
	v_or_b32_e32 v0, v0, v1
	v_or_b32_sdwa v0, v0, v1 dst_sel:DWORD dst_unused:UNUSED_PAD src0_sel:DWORD src1_sel:WORD_1
	s_waitcnt vmcnt(1)
	v_lshrrev_b32_e32 v3, v10, v4
	v_cvt_f32_f16_e32 v1, v0
	v_lshlrev_b32_e32 v2, 1, v3
	v_and_or_b32 v2, v2, 14, 1
	v_and_b32_e32 v3, 8, v5
	v_cvt_f32_ubyte0_e32 v2, v2
	v_cmp_eq_u32_e32 vcc, 0, v3
	v_mul_f32_e32 v6, v1, v2
	s_waitcnt vmcnt(0)
	v_and_b32_e32 v1, 0xf0f0f0f, v11
	v_bfe_u32 v2, v11, 8, 4
	v_and_b32_e32 v4, 15, v11
	v_bfe_u32 v7, v11, 16, 4
	v_cndmask_b32_e32 v0, v12, v13, vcc
	v_bfe_u32 v10, v11, 12, 4
	v_bfe_u32 v12, v11, 4, 4
	v_lshrrev_b32_e32 v13, 28, v11
	v_bfe_u32 v14, v11, 20, 4
	v_cvt_f32_ubyte0_e32 v3, v2
	v_cvt_f32_ubyte0_e32 v2, v4
	v_cvt_f32_ubyte3_e32 v5, v1
	v_cvt_f32_ubyte0_e32 v4, v7
	v_cvt_f32_ubyte0_e32 v11, v10
	;; [unrolled: 1-line block ×5, first 2 shown]
	v_pk_add_f32 v[2:3], v[0:1], v[2:3] op_sel_hi:[0,1]
	v_pk_add_f32 v[4:5], v[0:1], v[4:5] op_sel_hi:[0,1]
	v_pk_add_f32 v[10:11], v[0:1], v[10:11] op_sel_hi:[0,1]
	v_pk_add_f32 v[12:13], v[0:1], v[12:13] op_sel_hi:[0,1]
	v_pk_mul_f32 v[0:1], v[6:7], v[2:3] op_sel_hi:[0,1]
	v_pk_mul_f32 v[2:3], v[6:7], v[4:5] op_sel_hi:[0,1]
	;; [unrolled: 1-line block ×4, first 2 shown]
	global_store_dwordx4 v[8:9], v[0:3], off
	global_store_dwordx4 v[8:9], v[4:7], off offset:16
	s_endpgm
	.section	.rodata,"a",@progbits
	.p2align	6, 0x0
	.amdhsa_kernel _ZL22dequantize_block_iq1_mIfEvPKvPT_
		.amdhsa_group_segment_fixed_size 0
		.amdhsa_private_segment_fixed_size 0
		.amdhsa_kernarg_size 16
		.amdhsa_user_sgpr_count 2
		.amdhsa_user_sgpr_dispatch_ptr 0
		.amdhsa_user_sgpr_queue_ptr 0
		.amdhsa_user_sgpr_kernarg_segment_ptr 1
		.amdhsa_user_sgpr_dispatch_id 0
		.amdhsa_user_sgpr_kernarg_preload_length 0
		.amdhsa_user_sgpr_kernarg_preload_offset 0
		.amdhsa_user_sgpr_private_segment_size 0
		.amdhsa_uses_dynamic_stack 0
		.amdhsa_enable_private_segment 0
		.amdhsa_system_sgpr_workgroup_id_x 1
		.amdhsa_system_sgpr_workgroup_id_y 0
		.amdhsa_system_sgpr_workgroup_id_z 0
		.amdhsa_system_sgpr_workgroup_info 0
		.amdhsa_system_vgpr_workitem_id 0
		.amdhsa_next_free_vgpr 15
		.amdhsa_next_free_sgpr 8
		.amdhsa_accum_offset 16
		.amdhsa_reserve_vcc 1
		.amdhsa_float_round_mode_32 0
		.amdhsa_float_round_mode_16_64 0
		.amdhsa_float_denorm_mode_32 3
		.amdhsa_float_denorm_mode_16_64 3
		.amdhsa_dx10_clamp 1
		.amdhsa_ieee_mode 1
		.amdhsa_fp16_overflow 0
		.amdhsa_tg_split 0
		.amdhsa_exception_fp_ieee_invalid_op 0
		.amdhsa_exception_fp_denorm_src 0
		.amdhsa_exception_fp_ieee_div_zero 0
		.amdhsa_exception_fp_ieee_overflow 0
		.amdhsa_exception_fp_ieee_underflow 0
		.amdhsa_exception_fp_ieee_inexact 0
		.amdhsa_exception_int_div_zero 0
	.end_amdhsa_kernel
	.section	.text._ZL22dequantize_block_iq1_mIfEvPKvPT_,"axG",@progbits,_ZL22dequantize_block_iq1_mIfEvPKvPT_,comdat
.Lfunc_end18:
	.size	_ZL22dequantize_block_iq1_mIfEvPKvPT_, .Lfunc_end18-_ZL22dequantize_block_iq1_mIfEvPKvPT_
                                        ; -- End function
	.set _ZL22dequantize_block_iq1_mIfEvPKvPT_.num_vgpr, 15
	.set _ZL22dequantize_block_iq1_mIfEvPKvPT_.num_agpr, 0
	.set _ZL22dequantize_block_iq1_mIfEvPKvPT_.numbered_sgpr, 8
	.set _ZL22dequantize_block_iq1_mIfEvPKvPT_.num_named_barrier, 0
	.set _ZL22dequantize_block_iq1_mIfEvPKvPT_.private_seg_size, 0
	.set _ZL22dequantize_block_iq1_mIfEvPKvPT_.uses_vcc, 1
	.set _ZL22dequantize_block_iq1_mIfEvPKvPT_.uses_flat_scratch, 0
	.set _ZL22dequantize_block_iq1_mIfEvPKvPT_.has_dyn_sized_stack, 0
	.set _ZL22dequantize_block_iq1_mIfEvPKvPT_.has_recursion, 0
	.set _ZL22dequantize_block_iq1_mIfEvPKvPT_.has_indirect_call, 0
	.section	.AMDGPU.csdata,"",@progbits
; Kernel info:
; codeLenInByte = 556
; TotalNumSgprs: 14
; NumVgprs: 15
; NumAgprs: 0
; TotalNumVgprs: 15
; ScratchSize: 0
; MemoryBound: 0
; FloatMode: 240
; IeeeMode: 1
; LDSByteSize: 0 bytes/workgroup (compile time only)
; SGPRBlocks: 1
; VGPRBlocks: 1
; NumSGPRsForWavesPerEU: 14
; NumVGPRsForWavesPerEU: 15
; AccumOffset: 16
; Occupancy: 8
; WaveLimiterHint : 0
; COMPUTE_PGM_RSRC2:SCRATCH_EN: 0
; COMPUTE_PGM_RSRC2:USER_SGPR: 2
; COMPUTE_PGM_RSRC2:TRAP_HANDLER: 0
; COMPUTE_PGM_RSRC2:TGID_X_EN: 1
; COMPUTE_PGM_RSRC2:TGID_Y_EN: 0
; COMPUTE_PGM_RSRC2:TGID_Z_EN: 0
; COMPUTE_PGM_RSRC2:TIDIG_COMP_CNT: 0
; COMPUTE_PGM_RSRC3_GFX90A:ACCUM_OFFSET: 3
; COMPUTE_PGM_RSRC3_GFX90A:TG_SPLIT: 0
	.section	.text._ZL16dequantize_blockILi32ELi2EXadL_ZL15dequantize_q4_0PKviiR7__half2EEN3c104HalfEEvS1_PT2_i,"axG",@progbits,_ZL16dequantize_blockILi32ELi2EXadL_ZL15dequantize_q4_0PKviiR7__half2EEN3c104HalfEEvS1_PT2_i,comdat
	.globl	_ZL16dequantize_blockILi32ELi2EXadL_ZL15dequantize_q4_0PKviiR7__half2EEN3c104HalfEEvS1_PT2_i ; -- Begin function _ZL16dequantize_blockILi32ELi2EXadL_ZL15dequantize_q4_0PKviiR7__half2EEN3c104HalfEEvS1_PT2_i
	.p2align	8
	.type	_ZL16dequantize_blockILi32ELi2EXadL_ZL15dequantize_q4_0PKviiR7__half2EEN3c104HalfEEvS1_PT2_i,@function
_ZL16dequantize_blockILi32ELi2EXadL_ZL15dequantize_q4_0PKviiR7__half2EEN3c104HalfEEvS1_PT2_i: ; @_ZL16dequantize_blockILi32ELi2EXadL_ZL15dequantize_q4_0PKviiR7__half2EEN3c104HalfEEvS1_PT2_i
; %bb.0:
	s_load_dword s3, s[0:1], 0x24
	s_load_dword s4, s[0:1], 0x10
	s_waitcnt lgkmcnt(0)
	s_and_b32 s3, s3, 0xffff
	s_mul_i32 s2, s2, s3
	v_add_lshl_u32 v0, s2, v0, 1
	v_cmp_gt_i32_e32 vcc, s4, v0
	s_and_saveexec_b64 s[2:3], vcc
	s_cbranch_execz .LBB19_2
; %bb.1:
	v_ashrrev_i32_e32 v1, 31, v0
	s_load_dwordx4 s[0:3], s[0:1], 0x0
	v_lshrrev_b32_e32 v1, 27, v1
	v_add_u32_e32 v1, v0, v1
	v_and_b32_e32 v6, 0xffffffe0, v1
	v_sub_u32_e32 v0, v0, v6
	v_ashrrev_i32_e32 v2, 5, v1
	v_ashrrev_i32_e32 v0, 1, v0
	s_waitcnt lgkmcnt(0)
	v_mad_i64_i32 v[2:3], s[0:1], v2, 18, s[0:1]
	v_ashrrev_i32_e32 v1, 31, v0
	v_lshl_add_u64 v[4:5], v[2:3], 0, v[0:1]
	global_load_ushort v7, v[2:3], off
	global_load_ubyte v8, v[4:5], off offset:2
	s_mov_b32 s0, 0xc800
	v_add_u32_e32 v0, v6, v0
	v_ashrrev_i32_e32 v1, 31, v0
	v_lshl_add_u64 v[0:1], v[0:1], 1, s[2:3]
	s_waitcnt vmcnt(1)
	v_lshl_or_b32 v2, v7, 16, v7
	s_waitcnt vmcnt(0)
	v_and_b32_e32 v3, 15, v8
	v_lshrrev_b32_e32 v4, 4, v8
	v_cvt_f32_ubyte0_e32 v3, v3
	v_cvt_f32_ubyte0_e32 v4, v4
	v_cvt_pk_f16_f32 v3, v3, v4
	v_pk_add_f16 v3, v3, s0 op_sel_hi:[1,0]
	s_nop 0
	v_pk_mul_f16 v2, v3, v2
	global_store_short v[0:1], v2, off
	global_store_short_d16_hi v[0:1], v2, off offset:32
.LBB19_2:
	s_endpgm
	.section	.rodata,"a",@progbits
	.p2align	6, 0x0
	.amdhsa_kernel _ZL16dequantize_blockILi32ELi2EXadL_ZL15dequantize_q4_0PKviiR7__half2EEN3c104HalfEEvS1_PT2_i
		.amdhsa_group_segment_fixed_size 0
		.amdhsa_private_segment_fixed_size 0
		.amdhsa_kernarg_size 280
		.amdhsa_user_sgpr_count 2
		.amdhsa_user_sgpr_dispatch_ptr 0
		.amdhsa_user_sgpr_queue_ptr 0
		.amdhsa_user_sgpr_kernarg_segment_ptr 1
		.amdhsa_user_sgpr_dispatch_id 0
		.amdhsa_user_sgpr_kernarg_preload_length 0
		.amdhsa_user_sgpr_kernarg_preload_offset 0
		.amdhsa_user_sgpr_private_segment_size 0
		.amdhsa_uses_dynamic_stack 0
		.amdhsa_enable_private_segment 0
		.amdhsa_system_sgpr_workgroup_id_x 1
		.amdhsa_system_sgpr_workgroup_id_y 0
		.amdhsa_system_sgpr_workgroup_id_z 0
		.amdhsa_system_sgpr_workgroup_info 0
		.amdhsa_system_vgpr_workitem_id 0
		.amdhsa_next_free_vgpr 9
		.amdhsa_next_free_sgpr 5
		.amdhsa_accum_offset 12
		.amdhsa_reserve_vcc 1
		.amdhsa_float_round_mode_32 0
		.amdhsa_float_round_mode_16_64 0
		.amdhsa_float_denorm_mode_32 3
		.amdhsa_float_denorm_mode_16_64 3
		.amdhsa_dx10_clamp 1
		.amdhsa_ieee_mode 1
		.amdhsa_fp16_overflow 0
		.amdhsa_tg_split 0
		.amdhsa_exception_fp_ieee_invalid_op 0
		.amdhsa_exception_fp_denorm_src 0
		.amdhsa_exception_fp_ieee_div_zero 0
		.amdhsa_exception_fp_ieee_overflow 0
		.amdhsa_exception_fp_ieee_underflow 0
		.amdhsa_exception_fp_ieee_inexact 0
		.amdhsa_exception_int_div_zero 0
	.end_amdhsa_kernel
	.section	.text._ZL16dequantize_blockILi32ELi2EXadL_ZL15dequantize_q4_0PKviiR7__half2EEN3c104HalfEEvS1_PT2_i,"axG",@progbits,_ZL16dequantize_blockILi32ELi2EXadL_ZL15dequantize_q4_0PKviiR7__half2EEN3c104HalfEEvS1_PT2_i,comdat
.Lfunc_end19:
	.size	_ZL16dequantize_blockILi32ELi2EXadL_ZL15dequantize_q4_0PKviiR7__half2EEN3c104HalfEEvS1_PT2_i, .Lfunc_end19-_ZL16dequantize_blockILi32ELi2EXadL_ZL15dequantize_q4_0PKviiR7__half2EEN3c104HalfEEvS1_PT2_i
                                        ; -- End function
	.set _ZL16dequantize_blockILi32ELi2EXadL_ZL15dequantize_q4_0PKviiR7__half2EEN3c104HalfEEvS1_PT2_i.num_vgpr, 9
	.set _ZL16dequantize_blockILi32ELi2EXadL_ZL15dequantize_q4_0PKviiR7__half2EEN3c104HalfEEvS1_PT2_i.num_agpr, 0
	.set _ZL16dequantize_blockILi32ELi2EXadL_ZL15dequantize_q4_0PKviiR7__half2EEN3c104HalfEEvS1_PT2_i.numbered_sgpr, 5
	.set _ZL16dequantize_blockILi32ELi2EXadL_ZL15dequantize_q4_0PKviiR7__half2EEN3c104HalfEEvS1_PT2_i.num_named_barrier, 0
	.set _ZL16dequantize_blockILi32ELi2EXadL_ZL15dequantize_q4_0PKviiR7__half2EEN3c104HalfEEvS1_PT2_i.private_seg_size, 0
	.set _ZL16dequantize_blockILi32ELi2EXadL_ZL15dequantize_q4_0PKviiR7__half2EEN3c104HalfEEvS1_PT2_i.uses_vcc, 1
	.set _ZL16dequantize_blockILi32ELi2EXadL_ZL15dequantize_q4_0PKviiR7__half2EEN3c104HalfEEvS1_PT2_i.uses_flat_scratch, 0
	.set _ZL16dequantize_blockILi32ELi2EXadL_ZL15dequantize_q4_0PKviiR7__half2EEN3c104HalfEEvS1_PT2_i.has_dyn_sized_stack, 0
	.set _ZL16dequantize_blockILi32ELi2EXadL_ZL15dequantize_q4_0PKviiR7__half2EEN3c104HalfEEvS1_PT2_i.has_recursion, 0
	.set _ZL16dequantize_blockILi32ELi2EXadL_ZL15dequantize_q4_0PKviiR7__half2EEN3c104HalfEEvS1_PT2_i.has_indirect_call, 0
	.section	.AMDGPU.csdata,"",@progbits
; Kernel info:
; codeLenInByte = 236
; TotalNumSgprs: 11
; NumVgprs: 9
; NumAgprs: 0
; TotalNumVgprs: 9
; ScratchSize: 0
; MemoryBound: 0
; FloatMode: 240
; IeeeMode: 1
; LDSByteSize: 0 bytes/workgroup (compile time only)
; SGPRBlocks: 1
; VGPRBlocks: 1
; NumSGPRsForWavesPerEU: 11
; NumVGPRsForWavesPerEU: 9
; AccumOffset: 12
; Occupancy: 8
; WaveLimiterHint : 0
; COMPUTE_PGM_RSRC2:SCRATCH_EN: 0
; COMPUTE_PGM_RSRC2:USER_SGPR: 2
; COMPUTE_PGM_RSRC2:TRAP_HANDLER: 0
; COMPUTE_PGM_RSRC2:TGID_X_EN: 1
; COMPUTE_PGM_RSRC2:TGID_Y_EN: 0
; COMPUTE_PGM_RSRC2:TGID_Z_EN: 0
; COMPUTE_PGM_RSRC2:TIDIG_COMP_CNT: 0
; COMPUTE_PGM_RSRC3_GFX90A:ACCUM_OFFSET: 2
; COMPUTE_PGM_RSRC3_GFX90A:TG_SPLIT: 0
	.section	.text._ZL16dequantize_blockILi32ELi2EXadL_ZL15dequantize_q4_1PKviiR7__half2EEN3c104HalfEEvS1_PT2_i,"axG",@progbits,_ZL16dequantize_blockILi32ELi2EXadL_ZL15dequantize_q4_1PKviiR7__half2EEN3c104HalfEEvS1_PT2_i,comdat
	.globl	_ZL16dequantize_blockILi32ELi2EXadL_ZL15dequantize_q4_1PKviiR7__half2EEN3c104HalfEEvS1_PT2_i ; -- Begin function _ZL16dequantize_blockILi32ELi2EXadL_ZL15dequantize_q4_1PKviiR7__half2EEN3c104HalfEEvS1_PT2_i
	.p2align	8
	.type	_ZL16dequantize_blockILi32ELi2EXadL_ZL15dequantize_q4_1PKviiR7__half2EEN3c104HalfEEvS1_PT2_i,@function
_ZL16dequantize_blockILi32ELi2EXadL_ZL15dequantize_q4_1PKviiR7__half2EEN3c104HalfEEvS1_PT2_i: ; @_ZL16dequantize_blockILi32ELi2EXadL_ZL15dequantize_q4_1PKviiR7__half2EEN3c104HalfEEvS1_PT2_i
; %bb.0:
	s_load_dword s3, s[0:1], 0x24
	s_load_dword s4, s[0:1], 0x10
	s_waitcnt lgkmcnt(0)
	s_and_b32 s3, s3, 0xffff
	s_mul_i32 s2, s2, s3
	v_add_lshl_u32 v0, s2, v0, 1
	v_cmp_gt_i32_e32 vcc, s4, v0
	s_and_saveexec_b64 s[2:3], vcc
	s_cbranch_execz .LBB20_2
; %bb.1:
	v_ashrrev_i32_e32 v1, 31, v0
	s_load_dwordx4 s[0:3], s[0:1], 0x0
	v_lshrrev_b32_e32 v1, 27, v1
	v_add_u32_e32 v1, v0, v1
	v_and_b32_e32 v4, 0xffffffe0, v1
	v_sub_u32_e32 v0, v0, v4
	v_ashrrev_i32_e32 v2, 5, v1
	v_ashrrev_i32_e32 v0, 1, v0
	s_waitcnt lgkmcnt(0)
	v_mad_i64_i32 v[2:3], s[0:1], v2, 20, s[0:1]
	v_ashrrev_i32_e32 v1, 31, v0
	global_load_dword v5, v[2:3], off
	v_lshl_add_u64 v[2:3], v[2:3], 0, v[0:1]
	global_load_ubyte v2, v[2:3], off offset:4
	s_mov_b32 s0, 0x10001
	s_mov_b32 s1, 0xffff0000
	v_add_u32_e32 v0, v4, v0
	v_ashrrev_i32_e32 v1, 31, v0
	v_lshl_add_u64 v[0:1], v[0:1], 1, s[2:3]
	s_waitcnt vmcnt(1)
	v_lshrrev_b32_e32 v3, 16, v5
	v_mul_u32_u24_sdwa v4, v5, s0 dst_sel:DWORD dst_unused:UNUSED_PAD src0_sel:WORD_0 src1_sel:DWORD
	v_and_or_b32 v3, v5, s1, v3
	s_waitcnt vmcnt(0)
	v_and_b32_e32 v5, 15, v2
	v_lshrrev_b32_e32 v2, 4, v2
	v_cvt_f32_ubyte0_e32 v5, v5
	v_cvt_f32_ubyte0_e32 v2, v2
	v_cvt_pk_f16_f32 v2, v5, v2
	v_pk_fma_f16 v2, v2, v4, v3
	global_store_short v[0:1], v2, off
	global_store_short_d16_hi v[0:1], v2, off offset:32
.LBB20_2:
	s_endpgm
	.section	.rodata,"a",@progbits
	.p2align	6, 0x0
	.amdhsa_kernel _ZL16dequantize_blockILi32ELi2EXadL_ZL15dequantize_q4_1PKviiR7__half2EEN3c104HalfEEvS1_PT2_i
		.amdhsa_group_segment_fixed_size 0
		.amdhsa_private_segment_fixed_size 0
		.amdhsa_kernarg_size 280
		.amdhsa_user_sgpr_count 2
		.amdhsa_user_sgpr_dispatch_ptr 0
		.amdhsa_user_sgpr_queue_ptr 0
		.amdhsa_user_sgpr_kernarg_segment_ptr 1
		.amdhsa_user_sgpr_dispatch_id 0
		.amdhsa_user_sgpr_kernarg_preload_length 0
		.amdhsa_user_sgpr_kernarg_preload_offset 0
		.amdhsa_user_sgpr_private_segment_size 0
		.amdhsa_uses_dynamic_stack 0
		.amdhsa_enable_private_segment 0
		.amdhsa_system_sgpr_workgroup_id_x 1
		.amdhsa_system_sgpr_workgroup_id_y 0
		.amdhsa_system_sgpr_workgroup_id_z 0
		.amdhsa_system_sgpr_workgroup_info 0
		.amdhsa_system_vgpr_workitem_id 0
		.amdhsa_next_free_vgpr 6
		.amdhsa_next_free_sgpr 5
		.amdhsa_accum_offset 8
		.amdhsa_reserve_vcc 1
		.amdhsa_float_round_mode_32 0
		.amdhsa_float_round_mode_16_64 0
		.amdhsa_float_denorm_mode_32 3
		.amdhsa_float_denorm_mode_16_64 3
		.amdhsa_dx10_clamp 1
		.amdhsa_ieee_mode 1
		.amdhsa_fp16_overflow 0
		.amdhsa_tg_split 0
		.amdhsa_exception_fp_ieee_invalid_op 0
		.amdhsa_exception_fp_denorm_src 0
		.amdhsa_exception_fp_ieee_div_zero 0
		.amdhsa_exception_fp_ieee_overflow 0
		.amdhsa_exception_fp_ieee_underflow 0
		.amdhsa_exception_fp_ieee_inexact 0
		.amdhsa_exception_int_div_zero 0
	.end_amdhsa_kernel
	.section	.text._ZL16dequantize_blockILi32ELi2EXadL_ZL15dequantize_q4_1PKviiR7__half2EEN3c104HalfEEvS1_PT2_i,"axG",@progbits,_ZL16dequantize_blockILi32ELi2EXadL_ZL15dequantize_q4_1PKviiR7__half2EEN3c104HalfEEvS1_PT2_i,comdat
.Lfunc_end20:
	.size	_ZL16dequantize_blockILi32ELi2EXadL_ZL15dequantize_q4_1PKviiR7__half2EEN3c104HalfEEvS1_PT2_i, .Lfunc_end20-_ZL16dequantize_blockILi32ELi2EXadL_ZL15dequantize_q4_1PKviiR7__half2EEN3c104HalfEEvS1_PT2_i
                                        ; -- End function
	.set _ZL16dequantize_blockILi32ELi2EXadL_ZL15dequantize_q4_1PKviiR7__half2EEN3c104HalfEEvS1_PT2_i.num_vgpr, 6
	.set _ZL16dequantize_blockILi32ELi2EXadL_ZL15dequantize_q4_1PKviiR7__half2EEN3c104HalfEEvS1_PT2_i.num_agpr, 0
	.set _ZL16dequantize_blockILi32ELi2EXadL_ZL15dequantize_q4_1PKviiR7__half2EEN3c104HalfEEvS1_PT2_i.numbered_sgpr, 5
	.set _ZL16dequantize_blockILi32ELi2EXadL_ZL15dequantize_q4_1PKviiR7__half2EEN3c104HalfEEvS1_PT2_i.num_named_barrier, 0
	.set _ZL16dequantize_blockILi32ELi2EXadL_ZL15dequantize_q4_1PKviiR7__half2EEN3c104HalfEEvS1_PT2_i.private_seg_size, 0
	.set _ZL16dequantize_blockILi32ELi2EXadL_ZL15dequantize_q4_1PKviiR7__half2EEN3c104HalfEEvS1_PT2_i.uses_vcc, 1
	.set _ZL16dequantize_blockILi32ELi2EXadL_ZL15dequantize_q4_1PKviiR7__half2EEN3c104HalfEEvS1_PT2_i.uses_flat_scratch, 0
	.set _ZL16dequantize_blockILi32ELi2EXadL_ZL15dequantize_q4_1PKviiR7__half2EEN3c104HalfEEvS1_PT2_i.has_dyn_sized_stack, 0
	.set _ZL16dequantize_blockILi32ELi2EXadL_ZL15dequantize_q4_1PKviiR7__half2EEN3c104HalfEEvS1_PT2_i.has_recursion, 0
	.set _ZL16dequantize_blockILi32ELi2EXadL_ZL15dequantize_q4_1PKviiR7__half2EEN3c104HalfEEvS1_PT2_i.has_indirect_call, 0
	.section	.AMDGPU.csdata,"",@progbits
; Kernel info:
; codeLenInByte = 244
; TotalNumSgprs: 11
; NumVgprs: 6
; NumAgprs: 0
; TotalNumVgprs: 6
; ScratchSize: 0
; MemoryBound: 0
; FloatMode: 240
; IeeeMode: 1
; LDSByteSize: 0 bytes/workgroup (compile time only)
; SGPRBlocks: 1
; VGPRBlocks: 0
; NumSGPRsForWavesPerEU: 11
; NumVGPRsForWavesPerEU: 6
; AccumOffset: 8
; Occupancy: 8
; WaveLimiterHint : 0
; COMPUTE_PGM_RSRC2:SCRATCH_EN: 0
; COMPUTE_PGM_RSRC2:USER_SGPR: 2
; COMPUTE_PGM_RSRC2:TRAP_HANDLER: 0
; COMPUTE_PGM_RSRC2:TGID_X_EN: 1
; COMPUTE_PGM_RSRC2:TGID_Y_EN: 0
; COMPUTE_PGM_RSRC2:TGID_Z_EN: 0
; COMPUTE_PGM_RSRC2:TIDIG_COMP_CNT: 0
; COMPUTE_PGM_RSRC3_GFX90A:ACCUM_OFFSET: 1
; COMPUTE_PGM_RSRC3_GFX90A:TG_SPLIT: 0
	.section	.text._ZL16dequantize_blockILi32ELi2EXadL_ZL15dequantize_q5_0PKviiR7__half2EEN3c104HalfEEvS1_PT2_i,"axG",@progbits,_ZL16dequantize_blockILi32ELi2EXadL_ZL15dequantize_q5_0PKviiR7__half2EEN3c104HalfEEvS1_PT2_i,comdat
	.globl	_ZL16dequantize_blockILi32ELi2EXadL_ZL15dequantize_q5_0PKviiR7__half2EEN3c104HalfEEvS1_PT2_i ; -- Begin function _ZL16dequantize_blockILi32ELi2EXadL_ZL15dequantize_q5_0PKviiR7__half2EEN3c104HalfEEvS1_PT2_i
	.p2align	8
	.type	_ZL16dequantize_blockILi32ELi2EXadL_ZL15dequantize_q5_0PKviiR7__half2EEN3c104HalfEEvS1_PT2_i,@function
_ZL16dequantize_blockILi32ELi2EXadL_ZL15dequantize_q5_0PKviiR7__half2EEN3c104HalfEEvS1_PT2_i: ; @_ZL16dequantize_blockILi32ELi2EXadL_ZL15dequantize_q5_0PKviiR7__half2EEN3c104HalfEEvS1_PT2_i
; %bb.0:
	s_load_dword s3, s[0:1], 0x24
	s_load_dword s4, s[0:1], 0x10
	s_waitcnt lgkmcnt(0)
	s_and_b32 s3, s3, 0xffff
	s_mul_i32 s2, s2, s3
	v_add_lshl_u32 v0, s2, v0, 1
	v_cmp_gt_i32_e32 vcc, s4, v0
	s_and_saveexec_b64 s[2:3], vcc
	s_cbranch_execz .LBB21_2
; %bb.1:
	s_load_dwordx4 s[0:3], s[0:1], 0x0
	v_ashrrev_i32_e32 v1, 31, v0
	v_lshrrev_b32_e32 v1, 27, v1
	v_add_u32_e32 v1, v0, v1
	v_and_b32_e32 v6, 0xffffffe0, v1
	v_ashrrev_i32_e32 v2, 5, v1
	v_sub_u32_e32 v0, v0, v6
	s_waitcnt lgkmcnt(0)
	v_mad_i64_i32 v[2:3], s[0:1], v2, 22, s[0:1]
	v_ashrrev_i32_e32 v0, 1, v0
	global_load_dword v4, v[2:3], off
	global_load_ushort v5, v[2:3], off offset:4
	v_ashrrev_i32_e32 v1, 31, v0
	v_lshl_add_u64 v[2:3], v[2:3], 0, v[0:1]
	global_load_ubyte v1, v[2:3], off offset:6
	s_mov_b32 s0, 0x1000706
	v_add_u32_e32 v7, 12, v0
	v_add_u32_e32 v2, v6, v0
	s_mov_b32 s1, 0xcc00
	v_ashrrev_i32_e32 v3, 31, v2
	v_lshl_add_u64 v[2:3], v[2:3], 1, s[2:3]
	s_waitcnt vmcnt(2)
	v_and_b32_e32 v6, 0xffff, v4
	s_waitcnt vmcnt(1)
	v_perm_b32 v5, v4, v5, s0
	v_lshrrev_b32_e32 v0, v0, v5
	v_lshrrev_b32_e32 v5, v7, v5
	v_lshl_or_b32 v4, v4, 16, v6
	v_lshlrev_b32_e32 v0, 4, v0
	s_waitcnt vmcnt(0)
	v_and_b32_e32 v6, 15, v1
	v_lshrrev_b16_e32 v1, 4, v1
	v_and_or_b32 v0, v0, 16, v6
	v_and_or_b32 v1, v5, 16, v1
	v_cvt_f32_ubyte0_e32 v0, v0
	v_cvt_f32_ubyte0_e32 v1, v1
	v_cvt_pk_f16_f32 v0, v0, v1
	v_pk_add_f16 v0, v0, s1 op_sel_hi:[1,0]
	s_nop 0
	v_pk_mul_f16 v0, v0, v4
	global_store_short v[2:3], v0, off
	global_store_short_d16_hi v[2:3], v0, off offset:32
.LBB21_2:
	s_endpgm
	.section	.rodata,"a",@progbits
	.p2align	6, 0x0
	.amdhsa_kernel _ZL16dequantize_blockILi32ELi2EXadL_ZL15dequantize_q5_0PKviiR7__half2EEN3c104HalfEEvS1_PT2_i
		.amdhsa_group_segment_fixed_size 0
		.amdhsa_private_segment_fixed_size 0
		.amdhsa_kernarg_size 280
		.amdhsa_user_sgpr_count 2
		.amdhsa_user_sgpr_dispatch_ptr 0
		.amdhsa_user_sgpr_queue_ptr 0
		.amdhsa_user_sgpr_kernarg_segment_ptr 1
		.amdhsa_user_sgpr_dispatch_id 0
		.amdhsa_user_sgpr_kernarg_preload_length 0
		.amdhsa_user_sgpr_kernarg_preload_offset 0
		.amdhsa_user_sgpr_private_segment_size 0
		.amdhsa_uses_dynamic_stack 0
		.amdhsa_enable_private_segment 0
		.amdhsa_system_sgpr_workgroup_id_x 1
		.amdhsa_system_sgpr_workgroup_id_y 0
		.amdhsa_system_sgpr_workgroup_id_z 0
		.amdhsa_system_sgpr_workgroup_info 0
		.amdhsa_system_vgpr_workitem_id 0
		.amdhsa_next_free_vgpr 8
		.amdhsa_next_free_sgpr 5
		.amdhsa_accum_offset 8
		.amdhsa_reserve_vcc 1
		.amdhsa_float_round_mode_32 0
		.amdhsa_float_round_mode_16_64 0
		.amdhsa_float_denorm_mode_32 3
		.amdhsa_float_denorm_mode_16_64 3
		.amdhsa_dx10_clamp 1
		.amdhsa_ieee_mode 1
		.amdhsa_fp16_overflow 0
		.amdhsa_tg_split 0
		.amdhsa_exception_fp_ieee_invalid_op 0
		.amdhsa_exception_fp_denorm_src 0
		.amdhsa_exception_fp_ieee_div_zero 0
		.amdhsa_exception_fp_ieee_overflow 0
		.amdhsa_exception_fp_ieee_underflow 0
		.amdhsa_exception_fp_ieee_inexact 0
		.amdhsa_exception_int_div_zero 0
	.end_amdhsa_kernel
	.section	.text._ZL16dequantize_blockILi32ELi2EXadL_ZL15dequantize_q5_0PKviiR7__half2EEN3c104HalfEEvS1_PT2_i,"axG",@progbits,_ZL16dequantize_blockILi32ELi2EXadL_ZL15dequantize_q5_0PKviiR7__half2EEN3c104HalfEEvS1_PT2_i,comdat
.Lfunc_end21:
	.size	_ZL16dequantize_blockILi32ELi2EXadL_ZL15dequantize_q5_0PKviiR7__half2EEN3c104HalfEEvS1_PT2_i, .Lfunc_end21-_ZL16dequantize_blockILi32ELi2EXadL_ZL15dequantize_q5_0PKviiR7__half2EEN3c104HalfEEvS1_PT2_i
                                        ; -- End function
	.set _ZL16dequantize_blockILi32ELi2EXadL_ZL15dequantize_q5_0PKviiR7__half2EEN3c104HalfEEvS1_PT2_i.num_vgpr, 8
	.set _ZL16dequantize_blockILi32ELi2EXadL_ZL15dequantize_q5_0PKviiR7__half2EEN3c104HalfEEvS1_PT2_i.num_agpr, 0
	.set _ZL16dequantize_blockILi32ELi2EXadL_ZL15dequantize_q5_0PKviiR7__half2EEN3c104HalfEEvS1_PT2_i.numbered_sgpr, 5
	.set _ZL16dequantize_blockILi32ELi2EXadL_ZL15dequantize_q5_0PKviiR7__half2EEN3c104HalfEEvS1_PT2_i.num_named_barrier, 0
	.set _ZL16dequantize_blockILi32ELi2EXadL_ZL15dequantize_q5_0PKviiR7__half2EEN3c104HalfEEvS1_PT2_i.private_seg_size, 0
	.set _ZL16dequantize_blockILi32ELi2EXadL_ZL15dequantize_q5_0PKviiR7__half2EEN3c104HalfEEvS1_PT2_i.uses_vcc, 1
	.set _ZL16dequantize_blockILi32ELi2EXadL_ZL15dequantize_q5_0PKviiR7__half2EEN3c104HalfEEvS1_PT2_i.uses_flat_scratch, 0
	.set _ZL16dequantize_blockILi32ELi2EXadL_ZL15dequantize_q5_0PKviiR7__half2EEN3c104HalfEEvS1_PT2_i.has_dyn_sized_stack, 0
	.set _ZL16dequantize_blockILi32ELi2EXadL_ZL15dequantize_q5_0PKviiR7__half2EEN3c104HalfEEvS1_PT2_i.has_recursion, 0
	.set _ZL16dequantize_blockILi32ELi2EXadL_ZL15dequantize_q5_0PKviiR7__half2EEN3c104HalfEEvS1_PT2_i.has_indirect_call, 0
	.section	.AMDGPU.csdata,"",@progbits
; Kernel info:
; codeLenInByte = 304
; TotalNumSgprs: 11
; NumVgprs: 8
; NumAgprs: 0
; TotalNumVgprs: 8
; ScratchSize: 0
; MemoryBound: 0
; FloatMode: 240
; IeeeMode: 1
; LDSByteSize: 0 bytes/workgroup (compile time only)
; SGPRBlocks: 1
; VGPRBlocks: 0
; NumSGPRsForWavesPerEU: 11
; NumVGPRsForWavesPerEU: 8
; AccumOffset: 8
; Occupancy: 8
; WaveLimiterHint : 0
; COMPUTE_PGM_RSRC2:SCRATCH_EN: 0
; COMPUTE_PGM_RSRC2:USER_SGPR: 2
; COMPUTE_PGM_RSRC2:TRAP_HANDLER: 0
; COMPUTE_PGM_RSRC2:TGID_X_EN: 1
; COMPUTE_PGM_RSRC2:TGID_Y_EN: 0
; COMPUTE_PGM_RSRC2:TGID_Z_EN: 0
; COMPUTE_PGM_RSRC2:TIDIG_COMP_CNT: 0
; COMPUTE_PGM_RSRC3_GFX90A:ACCUM_OFFSET: 1
; COMPUTE_PGM_RSRC3_GFX90A:TG_SPLIT: 0
	.section	.text._ZL16dequantize_blockILi32ELi2EXadL_ZL15dequantize_q5_1PKviiR7__half2EEN3c104HalfEEvS1_PT2_i,"axG",@progbits,_ZL16dequantize_blockILi32ELi2EXadL_ZL15dequantize_q5_1PKviiR7__half2EEN3c104HalfEEvS1_PT2_i,comdat
	.globl	_ZL16dequantize_blockILi32ELi2EXadL_ZL15dequantize_q5_1PKviiR7__half2EEN3c104HalfEEvS1_PT2_i ; -- Begin function _ZL16dequantize_blockILi32ELi2EXadL_ZL15dequantize_q5_1PKviiR7__half2EEN3c104HalfEEvS1_PT2_i
	.p2align	8
	.type	_ZL16dequantize_blockILi32ELi2EXadL_ZL15dequantize_q5_1PKviiR7__half2EEN3c104HalfEEvS1_PT2_i,@function
_ZL16dequantize_blockILi32ELi2EXadL_ZL15dequantize_q5_1PKviiR7__half2EEN3c104HalfEEvS1_PT2_i: ; @_ZL16dequantize_blockILi32ELi2EXadL_ZL15dequantize_q5_1PKviiR7__half2EEN3c104HalfEEvS1_PT2_i
; %bb.0:
	s_load_dword s3, s[0:1], 0x24
	s_load_dword s4, s[0:1], 0x10
	s_waitcnt lgkmcnt(0)
	s_and_b32 s3, s3, 0xffff
	s_mul_i32 s2, s2, s3
	v_add_lshl_u32 v0, s2, v0, 1
	v_cmp_gt_i32_e32 vcc, s4, v0
	s_and_saveexec_b64 s[2:3], vcc
	s_cbranch_execz .LBB22_2
; %bb.1:
	v_ashrrev_i32_e32 v1, 31, v0
	s_load_dwordx4 s[0:3], s[0:1], 0x0
	v_lshrrev_b32_e32 v1, 27, v1
	v_add_u32_e32 v1, v0, v1
	v_and_b32_e32 v6, 0xffffffe0, v1
	v_sub_u32_e32 v0, v0, v6
	v_ashrrev_i32_e32 v2, 5, v1
	v_ashrrev_i32_e32 v0, 1, v0
	s_waitcnt lgkmcnt(0)
	v_mad_i64_i32 v[2:3], s[0:1], v2, 24, s[0:1]
	v_ashrrev_i32_e32 v1, 31, v0
	global_load_dwordx2 v[4:5], v[2:3], off
	v_lshl_add_u64 v[2:3], v[2:3], 0, v[0:1]
	global_load_ubyte v1, v[2:3], off offset:8
	s_mov_b32 s0, 0x10001
	s_mov_b32 s1, 0xffff0000
	v_add_u32_e32 v7, 12, v0
	v_add_u32_e32 v2, v6, v0
	v_ashrrev_i32_e32 v3, 31, v2
	v_lshl_add_u64 v[2:3], v[2:3], 1, s[2:3]
	s_waitcnt vmcnt(1)
	v_lshrrev_b32_e32 v6, 16, v4
	v_lshrrev_b32_e32 v0, v0, v5
	;; [unrolled: 1-line block ×3, first 2 shown]
	v_mul_u32_u24_sdwa v7, v4, s0 dst_sel:DWORD dst_unused:UNUSED_PAD src0_sel:WORD_0 src1_sel:DWORD
	v_lshlrev_b32_e32 v0, 4, v0
	v_and_or_b32 v4, v4, s1, v6
	s_waitcnt vmcnt(0)
	v_and_b32_e32 v6, 15, v1
	v_lshrrev_b16_e32 v1, 4, v1
	v_and_or_b32 v0, v0, 16, v6
	v_and_or_b32 v1, v5, 16, v1
	v_cvt_f32_ubyte0_e32 v0, v0
	v_cvt_f32_ubyte0_e32 v1, v1
	v_cvt_pk_f16_f32 v0, v0, v1
	v_pk_fma_f16 v0, v0, v7, v4
	global_store_short v[2:3], v0, off
	global_store_short_d16_hi v[2:3], v0, off offset:32
.LBB22_2:
	s_endpgm
	.section	.rodata,"a",@progbits
	.p2align	6, 0x0
	.amdhsa_kernel _ZL16dequantize_blockILi32ELi2EXadL_ZL15dequantize_q5_1PKviiR7__half2EEN3c104HalfEEvS1_PT2_i
		.amdhsa_group_segment_fixed_size 0
		.amdhsa_private_segment_fixed_size 0
		.amdhsa_kernarg_size 280
		.amdhsa_user_sgpr_count 2
		.amdhsa_user_sgpr_dispatch_ptr 0
		.amdhsa_user_sgpr_queue_ptr 0
		.amdhsa_user_sgpr_kernarg_segment_ptr 1
		.amdhsa_user_sgpr_dispatch_id 0
		.amdhsa_user_sgpr_kernarg_preload_length 0
		.amdhsa_user_sgpr_kernarg_preload_offset 0
		.amdhsa_user_sgpr_private_segment_size 0
		.amdhsa_uses_dynamic_stack 0
		.amdhsa_enable_private_segment 0
		.amdhsa_system_sgpr_workgroup_id_x 1
		.amdhsa_system_sgpr_workgroup_id_y 0
		.amdhsa_system_sgpr_workgroup_id_z 0
		.amdhsa_system_sgpr_workgroup_info 0
		.amdhsa_system_vgpr_workitem_id 0
		.amdhsa_next_free_vgpr 8
		.amdhsa_next_free_sgpr 5
		.amdhsa_accum_offset 8
		.amdhsa_reserve_vcc 1
		.amdhsa_float_round_mode_32 0
		.amdhsa_float_round_mode_16_64 0
		.amdhsa_float_denorm_mode_32 3
		.amdhsa_float_denorm_mode_16_64 3
		.amdhsa_dx10_clamp 1
		.amdhsa_ieee_mode 1
		.amdhsa_fp16_overflow 0
		.amdhsa_tg_split 0
		.amdhsa_exception_fp_ieee_invalid_op 0
		.amdhsa_exception_fp_denorm_src 0
		.amdhsa_exception_fp_ieee_div_zero 0
		.amdhsa_exception_fp_ieee_overflow 0
		.amdhsa_exception_fp_ieee_underflow 0
		.amdhsa_exception_fp_ieee_inexact 0
		.amdhsa_exception_int_div_zero 0
	.end_amdhsa_kernel
	.section	.text._ZL16dequantize_blockILi32ELi2EXadL_ZL15dequantize_q5_1PKviiR7__half2EEN3c104HalfEEvS1_PT2_i,"axG",@progbits,_ZL16dequantize_blockILi32ELi2EXadL_ZL15dequantize_q5_1PKviiR7__half2EEN3c104HalfEEvS1_PT2_i,comdat
.Lfunc_end22:
	.size	_ZL16dequantize_blockILi32ELi2EXadL_ZL15dequantize_q5_1PKviiR7__half2EEN3c104HalfEEvS1_PT2_i, .Lfunc_end22-_ZL16dequantize_blockILi32ELi2EXadL_ZL15dequantize_q5_1PKviiR7__half2EEN3c104HalfEEvS1_PT2_i
                                        ; -- End function
	.set _ZL16dequantize_blockILi32ELi2EXadL_ZL15dequantize_q5_1PKviiR7__half2EEN3c104HalfEEvS1_PT2_i.num_vgpr, 8
	.set _ZL16dequantize_blockILi32ELi2EXadL_ZL15dequantize_q5_1PKviiR7__half2EEN3c104HalfEEvS1_PT2_i.num_agpr, 0
	.set _ZL16dequantize_blockILi32ELi2EXadL_ZL15dequantize_q5_1PKviiR7__half2EEN3c104HalfEEvS1_PT2_i.numbered_sgpr, 5
	.set _ZL16dequantize_blockILi32ELi2EXadL_ZL15dequantize_q5_1PKviiR7__half2EEN3c104HalfEEvS1_PT2_i.num_named_barrier, 0
	.set _ZL16dequantize_blockILi32ELi2EXadL_ZL15dequantize_q5_1PKviiR7__half2EEN3c104HalfEEvS1_PT2_i.private_seg_size, 0
	.set _ZL16dequantize_blockILi32ELi2EXadL_ZL15dequantize_q5_1PKviiR7__half2EEN3c104HalfEEvS1_PT2_i.uses_vcc, 1
	.set _ZL16dequantize_blockILi32ELi2EXadL_ZL15dequantize_q5_1PKviiR7__half2EEN3c104HalfEEvS1_PT2_i.uses_flat_scratch, 0
	.set _ZL16dequantize_blockILi32ELi2EXadL_ZL15dequantize_q5_1PKviiR7__half2EEN3c104HalfEEvS1_PT2_i.has_dyn_sized_stack, 0
	.set _ZL16dequantize_blockILi32ELi2EXadL_ZL15dequantize_q5_1PKviiR7__half2EEN3c104HalfEEvS1_PT2_i.has_recursion, 0
	.set _ZL16dequantize_blockILi32ELi2EXadL_ZL15dequantize_q5_1PKviiR7__half2EEN3c104HalfEEvS1_PT2_i.has_indirect_call, 0
	.section	.AMDGPU.csdata,"",@progbits
; Kernel info:
; codeLenInByte = 276
; TotalNumSgprs: 11
; NumVgprs: 8
; NumAgprs: 0
; TotalNumVgprs: 8
; ScratchSize: 0
; MemoryBound: 0
; FloatMode: 240
; IeeeMode: 1
; LDSByteSize: 0 bytes/workgroup (compile time only)
; SGPRBlocks: 1
; VGPRBlocks: 0
; NumSGPRsForWavesPerEU: 11
; NumVGPRsForWavesPerEU: 8
; AccumOffset: 8
; Occupancy: 8
; WaveLimiterHint : 0
; COMPUTE_PGM_RSRC2:SCRATCH_EN: 0
; COMPUTE_PGM_RSRC2:USER_SGPR: 2
; COMPUTE_PGM_RSRC2:TRAP_HANDLER: 0
; COMPUTE_PGM_RSRC2:TGID_X_EN: 1
; COMPUTE_PGM_RSRC2:TGID_Y_EN: 0
; COMPUTE_PGM_RSRC2:TGID_Z_EN: 0
; COMPUTE_PGM_RSRC2:TIDIG_COMP_CNT: 0
; COMPUTE_PGM_RSRC3_GFX90A:ACCUM_OFFSET: 1
; COMPUTE_PGM_RSRC3_GFX90A:TG_SPLIT: 0
	.section	.text._ZL16dequantize_blockILi32ELi1EXadL_ZL15dequantize_q8_0PKviiR7__half2EEN3c104HalfEEvS1_PT2_i,"axG",@progbits,_ZL16dequantize_blockILi32ELi1EXadL_ZL15dequantize_q8_0PKviiR7__half2EEN3c104HalfEEvS1_PT2_i,comdat
	.globl	_ZL16dequantize_blockILi32ELi1EXadL_ZL15dequantize_q8_0PKviiR7__half2EEN3c104HalfEEvS1_PT2_i ; -- Begin function _ZL16dequantize_blockILi32ELi1EXadL_ZL15dequantize_q8_0PKviiR7__half2EEN3c104HalfEEvS1_PT2_i
	.p2align	8
	.type	_ZL16dequantize_blockILi32ELi1EXadL_ZL15dequantize_q8_0PKviiR7__half2EEN3c104HalfEEvS1_PT2_i,@function
_ZL16dequantize_blockILi32ELi1EXadL_ZL15dequantize_q8_0PKviiR7__half2EEN3c104HalfEEvS1_PT2_i: ; @_ZL16dequantize_blockILi32ELi1EXadL_ZL15dequantize_q8_0PKviiR7__half2EEN3c104HalfEEvS1_PT2_i
; %bb.0:
	s_load_dword s3, s[0:1], 0x24
	s_load_dword s4, s[0:1], 0x10
	s_waitcnt lgkmcnt(0)
	s_and_b32 s3, s3, 0xffff
	s_mul_i32 s2, s2, s3
	v_add_lshl_u32 v0, s2, v0, 1
	v_cmp_gt_i32_e32 vcc, s4, v0
	s_and_saveexec_b64 s[2:3], vcc
	s_cbranch_execz .LBB23_2
; %bb.1:
	s_load_dwordx4 s[0:3], s[0:1], 0x0
	v_ashrrev_i32_e32 v1, 31, v0
	v_lshrrev_b32_e32 v2, 27, v1
	v_add_u32_e32 v2, v0, v2
	v_ashrrev_i32_e32 v3, 5, v2
	v_and_b32_e32 v2, 0xffffffe0, v2
	v_sub_u32_e32 v2, v0, v2
	s_waitcnt lgkmcnt(0)
	v_mad_i64_i32 v[4:5], s[0:1], v3, 34, s[0:1]
	v_ashrrev_i32_e32 v3, 31, v2
	v_lshl_add_u64 v[2:3], v[4:5], 0, v[2:3]
	global_load_ushort v6, v[4:5], off
	global_load_ushort v7, v[2:3], off offset:2
	v_lshl_add_u64 v[0:1], v[0:1], 1, s[2:3]
	s_waitcnt vmcnt(1)
	v_lshl_or_b32 v2, v6, 16, v6
	s_waitcnt vmcnt(0)
	v_cvt_f16_i16_sdwa v3, sext(v7) dst_sel:DWORD dst_unused:UNUSED_PAD src0_sel:BYTE_1
	v_cvt_f16_i16_sdwa v4, sext(v7) dst_sel:DWORD dst_unused:UNUSED_PAD src0_sel:BYTE_0
	v_pack_b32_f16 v3, v4, v3
	v_pk_mul_f16 v2, v3, v2
	global_store_dword v[0:1], v2, off
.LBB23_2:
	s_endpgm
	.section	.rodata,"a",@progbits
	.p2align	6, 0x0
	.amdhsa_kernel _ZL16dequantize_blockILi32ELi1EXadL_ZL15dequantize_q8_0PKviiR7__half2EEN3c104HalfEEvS1_PT2_i
		.amdhsa_group_segment_fixed_size 0
		.amdhsa_private_segment_fixed_size 0
		.amdhsa_kernarg_size 280
		.amdhsa_user_sgpr_count 2
		.amdhsa_user_sgpr_dispatch_ptr 0
		.amdhsa_user_sgpr_queue_ptr 0
		.amdhsa_user_sgpr_kernarg_segment_ptr 1
		.amdhsa_user_sgpr_dispatch_id 0
		.amdhsa_user_sgpr_kernarg_preload_length 0
		.amdhsa_user_sgpr_kernarg_preload_offset 0
		.amdhsa_user_sgpr_private_segment_size 0
		.amdhsa_uses_dynamic_stack 0
		.amdhsa_enable_private_segment 0
		.amdhsa_system_sgpr_workgroup_id_x 1
		.amdhsa_system_sgpr_workgroup_id_y 0
		.amdhsa_system_sgpr_workgroup_id_z 0
		.amdhsa_system_sgpr_workgroup_info 0
		.amdhsa_system_vgpr_workitem_id 0
		.amdhsa_next_free_vgpr 8
		.amdhsa_next_free_sgpr 5
		.amdhsa_accum_offset 8
		.amdhsa_reserve_vcc 1
		.amdhsa_float_round_mode_32 0
		.amdhsa_float_round_mode_16_64 0
		.amdhsa_float_denorm_mode_32 3
		.amdhsa_float_denorm_mode_16_64 3
		.amdhsa_dx10_clamp 1
		.amdhsa_ieee_mode 1
		.amdhsa_fp16_overflow 0
		.amdhsa_tg_split 0
		.amdhsa_exception_fp_ieee_invalid_op 0
		.amdhsa_exception_fp_denorm_src 0
		.amdhsa_exception_fp_ieee_div_zero 0
		.amdhsa_exception_fp_ieee_overflow 0
		.amdhsa_exception_fp_ieee_underflow 0
		.amdhsa_exception_fp_ieee_inexact 0
		.amdhsa_exception_int_div_zero 0
	.end_amdhsa_kernel
	.section	.text._ZL16dequantize_blockILi32ELi1EXadL_ZL15dequantize_q8_0PKviiR7__half2EEN3c104HalfEEvS1_PT2_i,"axG",@progbits,_ZL16dequantize_blockILi32ELi1EXadL_ZL15dequantize_q8_0PKviiR7__half2EEN3c104HalfEEvS1_PT2_i,comdat
.Lfunc_end23:
	.size	_ZL16dequantize_blockILi32ELi1EXadL_ZL15dequantize_q8_0PKviiR7__half2EEN3c104HalfEEvS1_PT2_i, .Lfunc_end23-_ZL16dequantize_blockILi32ELi1EXadL_ZL15dequantize_q8_0PKviiR7__half2EEN3c104HalfEEvS1_PT2_i
                                        ; -- End function
	.set _ZL16dequantize_blockILi32ELi1EXadL_ZL15dequantize_q8_0PKviiR7__half2EEN3c104HalfEEvS1_PT2_i.num_vgpr, 8
	.set _ZL16dequantize_blockILi32ELi1EXadL_ZL15dequantize_q8_0PKviiR7__half2EEN3c104HalfEEvS1_PT2_i.num_agpr, 0
	.set _ZL16dequantize_blockILi32ELi1EXadL_ZL15dequantize_q8_0PKviiR7__half2EEN3c104HalfEEvS1_PT2_i.numbered_sgpr, 5
	.set _ZL16dequantize_blockILi32ELi1EXadL_ZL15dequantize_q8_0PKviiR7__half2EEN3c104HalfEEvS1_PT2_i.num_named_barrier, 0
	.set _ZL16dequantize_blockILi32ELi1EXadL_ZL15dequantize_q8_0PKviiR7__half2EEN3c104HalfEEvS1_PT2_i.private_seg_size, 0
	.set _ZL16dequantize_blockILi32ELi1EXadL_ZL15dequantize_q8_0PKviiR7__half2EEN3c104HalfEEvS1_PT2_i.uses_vcc, 1
	.set _ZL16dequantize_blockILi32ELi1EXadL_ZL15dequantize_q8_0PKviiR7__half2EEN3c104HalfEEvS1_PT2_i.uses_flat_scratch, 0
	.set _ZL16dequantize_blockILi32ELi1EXadL_ZL15dequantize_q8_0PKviiR7__half2EEN3c104HalfEEvS1_PT2_i.has_dyn_sized_stack, 0
	.set _ZL16dequantize_blockILi32ELi1EXadL_ZL15dequantize_q8_0PKviiR7__half2EEN3c104HalfEEvS1_PT2_i.has_recursion, 0
	.set _ZL16dequantize_blockILi32ELi1EXadL_ZL15dequantize_q8_0PKviiR7__half2EEN3c104HalfEEvS1_PT2_i.has_indirect_call, 0
	.section	.AMDGPU.csdata,"",@progbits
; Kernel info:
; codeLenInByte = 196
; TotalNumSgprs: 11
; NumVgprs: 8
; NumAgprs: 0
; TotalNumVgprs: 8
; ScratchSize: 0
; MemoryBound: 0
; FloatMode: 240
; IeeeMode: 1
; LDSByteSize: 0 bytes/workgroup (compile time only)
; SGPRBlocks: 1
; VGPRBlocks: 0
; NumSGPRsForWavesPerEU: 11
; NumVGPRsForWavesPerEU: 8
; AccumOffset: 8
; Occupancy: 8
; WaveLimiterHint : 0
; COMPUTE_PGM_RSRC2:SCRATCH_EN: 0
; COMPUTE_PGM_RSRC2:USER_SGPR: 2
; COMPUTE_PGM_RSRC2:TRAP_HANDLER: 0
; COMPUTE_PGM_RSRC2:TGID_X_EN: 1
; COMPUTE_PGM_RSRC2:TGID_Y_EN: 0
; COMPUTE_PGM_RSRC2:TGID_Z_EN: 0
; COMPUTE_PGM_RSRC2:TIDIG_COMP_CNT: 0
; COMPUTE_PGM_RSRC3_GFX90A:ACCUM_OFFSET: 1
; COMPUTE_PGM_RSRC3_GFX90A:TG_SPLIT: 0
	.section	.text._ZL21dequantize_block_q2_KIN3c104HalfEEvPKvPT_,"axG",@progbits,_ZL21dequantize_block_q2_KIN3c104HalfEEvPKvPT_,comdat
	.globl	_ZL21dequantize_block_q2_KIN3c104HalfEEvPKvPT_ ; -- Begin function _ZL21dequantize_block_q2_KIN3c104HalfEEvPKvPT_
	.p2align	8
	.type	_ZL21dequantize_block_q2_KIN3c104HalfEEvPKvPT_,@function
_ZL21dequantize_block_q2_KIN3c104HalfEEvPKvPT_: ; @_ZL21dequantize_block_q2_KIN3c104HalfEEvPKvPT_
; %bb.0:
	s_load_dwordx4 s[4:7], s[0:1], 0x0
	s_mul_i32 s0, s2, 0x54
	v_lshrrev_b32_e32 v2, 5, v0
	v_bfe_u32 v1, v0, 4, 1
	s_mul_hi_u32 s1, s2, 0x54
	s_waitcnt lgkmcnt(0)
	s_add_u32 s0, s4, s0
	v_lshl_or_b32 v1, v2, 3, v1
	s_addc_u32 s1, s5, s1
	global_load_ubyte v4, v1, s[0:1]
	global_load_ubyte v5, v0, s[0:1] offset:16
	global_load_ubyte v6, v1, s[0:1] offset:2
	;; [unrolled: 1-line block ×4, first 2 shown]
	s_load_dword s3, s[0:1], 0x50
	s_mov_b32 s1, 0
	s_lshl_b32 s0, s2, 8
	s_lshl_b64 s[0:1], s[0:1], 1
	s_add_u32 s0, s6, s0
	v_mov_b32_e32 v1, 0
	v_and_b32_e32 v9, 31, v0
	v_lshlrev_b32_e32 v0, 8, v2
	s_addc_u32 s1, s7, s1
	v_lshl_add_u64 v[2:3], s[0:1], 0, v[0:1]
	v_lshlrev_b32_e32 v0, 1, v9
	v_lshl_add_u64 v[0:1], v[2:3], 0, v[0:1]
	s_waitcnt lgkmcnt(0)
	s_lshr_b32 s0, s3, 16
	s_waitcnt vmcnt(4)
	v_and_b32_e32 v2, 15, v4
	s_waitcnt vmcnt(3)
	v_and_b32_e32 v3, 3, v5
	v_lshrrev_b16_e32 v4, 4, v4
	s_waitcnt vmcnt(2)
	v_and_b32_e32 v9, 15, v6
	v_bfe_u32 v10, v5, 2, 2
	s_waitcnt vmcnt(1)
	v_and_b32_e32 v11, 15, v7
	v_bfe_u32 v12, v5, 4, 2
	s_waitcnt vmcnt(0)
	v_and_b32_e32 v13, 15, v8
	v_lshrrev_b32_e32 v5, 6, v5
	v_mul_u32_u24_sdwa v2, v3, v2 dst_sel:DWORD dst_unused:UNUSED_PAD src0_sel:DWORD src1_sel:WORD_0
	v_cvt_f16_u16_e32 v3, v4
	v_mul_u32_u24_sdwa v4, v10, v9 dst_sel:DWORD dst_unused:UNUSED_PAD src0_sel:DWORD src1_sel:WORD_0
	v_mul_u32_u24_sdwa v9, v12, v11 dst_sel:DWORD dst_unused:UNUSED_PAD src0_sel:DWORD src1_sel:WORD_0
	;; [unrolled: 1-line block ×3, first 2 shown]
	v_cvt_f32_ubyte0_e32 v2, v2
	v_cvt_f32_ubyte0_e32 v4, v4
	;; [unrolled: 1-line block ×4, first 2 shown]
	v_cvt_f16_f32_e32 v2, v2
	v_cvt_f16_f32_e32 v4, v4
	;; [unrolled: 1-line block ×4, first 2 shown]
	v_lshrrev_b16_e32 v6, 4, v6
	v_lshrrev_b16_e32 v7, 4, v7
	;; [unrolled: 1-line block ×3, first 2 shown]
	v_cvt_f16_u16_e32 v6, v6
	v_cvt_f16_u16_e32 v7, v7
	;; [unrolled: 1-line block ×3, first 2 shown]
	v_mul_f16_e32 v3, s0, v3
	v_mul_f16_e32 v6, s0, v6
	;; [unrolled: 1-line block ×4, first 2 shown]
	v_fma_f16 v2, s3, v2, -v3
	v_fma_f16 v3, s3, v4, -v6
	;; [unrolled: 1-line block ×4, first 2 shown]
	global_store_short v[0:1], v2, off
	global_store_short v[0:1], v3, off offset:64
	global_store_short v[0:1], v4, off offset:128
	;; [unrolled: 1-line block ×3, first 2 shown]
	s_endpgm
	.section	.rodata,"a",@progbits
	.p2align	6, 0x0
	.amdhsa_kernel _ZL21dequantize_block_q2_KIN3c104HalfEEvPKvPT_
		.amdhsa_group_segment_fixed_size 0
		.amdhsa_private_segment_fixed_size 0
		.amdhsa_kernarg_size 16
		.amdhsa_user_sgpr_count 2
		.amdhsa_user_sgpr_dispatch_ptr 0
		.amdhsa_user_sgpr_queue_ptr 0
		.amdhsa_user_sgpr_kernarg_segment_ptr 1
		.amdhsa_user_sgpr_dispatch_id 0
		.amdhsa_user_sgpr_kernarg_preload_length 0
		.amdhsa_user_sgpr_kernarg_preload_offset 0
		.amdhsa_user_sgpr_private_segment_size 0
		.amdhsa_uses_dynamic_stack 0
		.amdhsa_enable_private_segment 0
		.amdhsa_system_sgpr_workgroup_id_x 1
		.amdhsa_system_sgpr_workgroup_id_y 0
		.amdhsa_system_sgpr_workgroup_id_z 0
		.amdhsa_system_sgpr_workgroup_info 0
		.amdhsa_system_vgpr_workitem_id 0
		.amdhsa_next_free_vgpr 14
		.amdhsa_next_free_sgpr 8
		.amdhsa_accum_offset 16
		.amdhsa_reserve_vcc 0
		.amdhsa_float_round_mode_32 0
		.amdhsa_float_round_mode_16_64 0
		.amdhsa_float_denorm_mode_32 3
		.amdhsa_float_denorm_mode_16_64 3
		.amdhsa_dx10_clamp 1
		.amdhsa_ieee_mode 1
		.amdhsa_fp16_overflow 0
		.amdhsa_tg_split 0
		.amdhsa_exception_fp_ieee_invalid_op 0
		.amdhsa_exception_fp_denorm_src 0
		.amdhsa_exception_fp_ieee_div_zero 0
		.amdhsa_exception_fp_ieee_overflow 0
		.amdhsa_exception_fp_ieee_underflow 0
		.amdhsa_exception_fp_ieee_inexact 0
		.amdhsa_exception_int_div_zero 0
	.end_amdhsa_kernel
	.section	.text._ZL21dequantize_block_q2_KIN3c104HalfEEvPKvPT_,"axG",@progbits,_ZL21dequantize_block_q2_KIN3c104HalfEEvPKvPT_,comdat
.Lfunc_end24:
	.size	_ZL21dequantize_block_q2_KIN3c104HalfEEvPKvPT_, .Lfunc_end24-_ZL21dequantize_block_q2_KIN3c104HalfEEvPKvPT_
                                        ; -- End function
	.set _ZL21dequantize_block_q2_KIN3c104HalfEEvPKvPT_.num_vgpr, 14
	.set _ZL21dequantize_block_q2_KIN3c104HalfEEvPKvPT_.num_agpr, 0
	.set _ZL21dequantize_block_q2_KIN3c104HalfEEvPKvPT_.numbered_sgpr, 8
	.set _ZL21dequantize_block_q2_KIN3c104HalfEEvPKvPT_.num_named_barrier, 0
	.set _ZL21dequantize_block_q2_KIN3c104HalfEEvPKvPT_.private_seg_size, 0
	.set _ZL21dequantize_block_q2_KIN3c104HalfEEvPKvPT_.uses_vcc, 0
	.set _ZL21dequantize_block_q2_KIN3c104HalfEEvPKvPT_.uses_flat_scratch, 0
	.set _ZL21dequantize_block_q2_KIN3c104HalfEEvPKvPT_.has_dyn_sized_stack, 0
	.set _ZL21dequantize_block_q2_KIN3c104HalfEEvPKvPT_.has_recursion, 0
	.set _ZL21dequantize_block_q2_KIN3c104HalfEEvPKvPT_.has_indirect_call, 0
	.section	.AMDGPU.csdata,"",@progbits
; Kernel info:
; codeLenInByte = 404
; TotalNumSgprs: 14
; NumVgprs: 14
; NumAgprs: 0
; TotalNumVgprs: 14
; ScratchSize: 0
; MemoryBound: 0
; FloatMode: 240
; IeeeMode: 1
; LDSByteSize: 0 bytes/workgroup (compile time only)
; SGPRBlocks: 1
; VGPRBlocks: 1
; NumSGPRsForWavesPerEU: 14
; NumVGPRsForWavesPerEU: 14
; AccumOffset: 16
; Occupancy: 8
; WaveLimiterHint : 0
; COMPUTE_PGM_RSRC2:SCRATCH_EN: 0
; COMPUTE_PGM_RSRC2:USER_SGPR: 2
; COMPUTE_PGM_RSRC2:TRAP_HANDLER: 0
; COMPUTE_PGM_RSRC2:TGID_X_EN: 1
; COMPUTE_PGM_RSRC2:TGID_Y_EN: 0
; COMPUTE_PGM_RSRC2:TGID_Z_EN: 0
; COMPUTE_PGM_RSRC2:TIDIG_COMP_CNT: 0
; COMPUTE_PGM_RSRC3_GFX90A:ACCUM_OFFSET: 3
; COMPUTE_PGM_RSRC3_GFX90A:TG_SPLIT: 0
	.section	.text._ZL21dequantize_block_q3_KIN3c104HalfEEvPKvPT_,"axG",@progbits,_ZL21dequantize_block_q3_KIN3c104HalfEEvPKvPT_,comdat
	.globl	_ZL21dequantize_block_q3_KIN3c104HalfEEvPKvPT_ ; -- Begin function _ZL21dequantize_block_q3_KIN3c104HalfEEvPKvPT_
	.p2align	8
	.type	_ZL21dequantize_block_q3_KIN3c104HalfEEvPKvPT_,@function
_ZL21dequantize_block_q3_KIN3c104HalfEEvPKvPT_: ; @_ZL21dequantize_block_q3_KIN3c104HalfEEvPKvPT_
; %bb.0:
	v_lshrrev_b32_e32 v8, 5, v0
	v_lshrrev_b32_e32 v6, 3, v0
	v_lshlrev_b32_e32 v1, 2, v8
	s_load_dwordx4 s[4:7], s[0:1], 0x0
	v_sub_u32_e32 v7, v6, v1
	v_lshlrev_b32_e32 v1, 1, v7
	v_bfe_u32 v9, v0, 2, 1
	v_lshl_add_u32 v11, v8, 3, v1
	v_or_b32_e32 v4, v11, v9
	s_mov_b32 s3, 0
	v_cmp_lt_i32_e32 vcc, 3, v4
	v_mov_b64_e32 v[2:3], s[2:3]
                                        ; implicit-def: $vgpr10
                                        ; implicit-def: $vgpr5
	s_and_saveexec_b64 s[0:1], vcc
	s_xor_b64 s[0:1], exec, s[0:1]
	s_cbranch_execz .LBB25_10
; %bb.1:
	v_cmp_lt_u32_e32 vcc, 7, v11
	v_mov_b64_e32 v[2:3], s[2:3]
                                        ; implicit-def: $vgpr10
                                        ; implicit-def: $vgpr5
	s_and_saveexec_b64 s[8:9], vcc
	s_xor_b64 s[8:9], exec, s[8:9]
	s_cbranch_execz .LBB25_7
; %bb.2:
	s_mul_i32 s10, s2, 0x6e
	s_mul_hi_u32 s3, s2, 0x6e
	s_waitcnt lgkmcnt(0)
	s_add_u32 s10, s4, s10
	s_addc_u32 s11, s5, s3
	global_load_ubyte v10, v4, s[10:11] offset:88
	v_mov_b32_e32 v5, 0
	v_cmp_lt_u32_e32 vcc, 11, v11
	s_mov_b32 s3, 0
	v_lshl_add_u64 v[2:3], s[10:11], 0, v[4:5]
                                        ; implicit-def: $vgpr5
	s_and_saveexec_b64 s[10:11], vcc
	s_xor_b64 s[10:11], exec, s[10:11]
	s_cbranch_execz .LBB25_4
; %bb.3:
	global_load_ubyte v2, v[2:3], off offset:92
	s_waitcnt vmcnt(0)
	v_lshrrev_b16_e32 v5, 2, v2
                                        ; implicit-def: $vgpr2_vgpr3
.LBB25_4:
	s_andn2_saveexec_b64 s[10:11], s[10:11]
	s_cbranch_execz .LBB25_6
; %bb.5:
	global_load_ubyte v5, v[2:3], off offset:96
.LBB25_6:
	s_or_b64 exec, exec, s[10:11]
	s_waitcnt vmcnt(0)
	v_lshrrev_b16_e32 v10, 4, v10
	v_mov_b64_e32 v[2:3], s[2:3]
                                        ; implicit-def: $vgpr4
.LBB25_7:
	s_andn2_saveexec_b64 s[8:9], s[8:9]
	s_cbranch_execz .LBB25_9
; %bb.8:
	s_mul_i32 s10, s2, 0x6e
	s_mul_hi_u32 s3, s2, 0x6e
	s_waitcnt lgkmcnt(0)
	s_add_u32 s10, s4, s10
	s_addc_u32 s11, s5, s3
	global_load_ubyte v3, v4, s[10:11] offset:96
	global_load_ubyte v5, v4, s[10:11] offset:100
	s_waitcnt vmcnt(1)
	v_and_b32_e32 v10, 15, v3
	s_waitcnt vmcnt(0)
	v_lshlrev_b16_e32 v5, 2, v5
.LBB25_9:
	s_or_b64 exec, exec, s[8:9]
                                        ; implicit-def: $vgpr4
.LBB25_10:
	s_andn2_saveexec_b64 s[0:1], s[0:1]
	s_cbranch_execz .LBB25_12
; %bb.11:
	s_mul_i32 s8, s2, 0x6e
	s_mul_hi_u32 s3, s2, 0x6e
	s_waitcnt lgkmcnt(0)
	s_add_u32 s8, s4, s8
	s_addc_u32 s9, s5, s3
	v_ashrrev_i32_e32 v5, 31, v4
	v_lshl_add_u64 v[4:5], s[8:9], 0, v[4:5]
	global_load_ubyte v3, v[4:5], off offset:96
	global_load_ubyte v11, v[4:5], off offset:104
	s_waitcnt vmcnt(1)
	v_and_b32_e32 v10, 15, v3
	s_waitcnt vmcnt(0)
	v_lshlrev_b16_e32 v5, 4, v11
.LBB25_12:
	s_or_b64 exec, exec, s[0:1]
	v_lshlrev_b32_e32 v3, 2, v0
	v_and_b32_e32 v3, 12, v3
	s_movk_i32 s0, 0x6e
	s_waitcnt lgkmcnt(0)
	v_mov_b64_e32 v[14:15], s[4:5]
	v_lshl_or_b32 v12, v9, 4, v3
	v_mad_u64_u32 v[2:3], s[0:1], v2, s0, v[14:15]
	s_lshl_b32 s0, s2, 8
	s_mov_b32 s1, 0
	s_lshl_b64 s[0:1], s[0:1], 1
	s_add_u32 s0, s6, s0
	s_addc_u32 s1, s7, s1
	v_lshlrev_b32_e32 v8, 8, v8
	v_mov_b32_e32 v9, 0
	v_lshl_add_u64 v[14:15], s[0:1], 0, v[8:9]
	v_and_b32_e32 v8, 0x3e0, v0
	v_lshl_add_u64 v[16:17], v[2:3], 0, v[8:9]
	v_mov_b32_e32 v13, v9
	v_lshl_add_u64 v[16:17], v[16:17], 0, v[12:13]
	global_load_dword v0, v[16:17], off offset:32
	v_lshl_add_u64 v[16:17], v[2:3], 0, v[12:13]
	global_load_dword v4, v[16:17], off
	global_load_ushort v11, v[2:3], off offset:108
	v_bitop3_b16 v3, v5, v10, 48 bitop3:0xec
	v_mov_b32_e32 v5, 32
	v_lshlrev_b32_e32 v2, 5, v7
	v_sub_u32_sdwa v3, v3, v5 dst_sel:DWORD dst_unused:UNUSED_PAD src0_sel:BYTE_0 src1_sel:DWORD
	v_lshlrev_b32_e64 v6, v6, 1
	v_cvt_f32_i32_e32 v5, v3
	v_ashrrev_i32_e32 v3, 31, v2
	v_lshl_add_u64 v[2:3], v[2:3], 1, v[14:15]
	v_lshlrev_b32_e32 v8, 1, v12
	v_cvt_f16_f32_e32 v5, v5
	s_waitcnt vmcnt(2)
	v_lshrrev_b32_sdwa v7, v1, v0 dst_sel:DWORD dst_unused:UNUSED_PAD src0_sel:DWORD src1_sel:BYTE_1
	s_waitcnt vmcnt(1)
	v_and_b32_sdwa v14, v6, v4 dst_sel:DWORD dst_unused:UNUSED_PAD src0_sel:DWORD src1_sel:BYTE_1
	v_lshrrev_b32_sdwa v10, v1, v0 dst_sel:DWORD dst_unused:UNUSED_PAD src0_sel:DWORD src1_sel:BYTE_0
	v_lshrrev_b32_sdwa v12, v1, v0 dst_sel:DWORD dst_unused:UNUSED_PAD src0_sel:DWORD src1_sel:BYTE_3
	v_lshrrev_b32_sdwa v0, v1, v0 dst_sel:DWORD dst_unused:UNUSED_PAD src0_sel:DWORD src1_sel:BYTE_2
	v_and_b32_sdwa v1, v6, v4 dst_sel:DWORD dst_unused:UNUSED_PAD src0_sel:DWORD src1_sel:BYTE_3
	v_and_b32_sdwa v13, v6, v4 dst_sel:DWORD dst_unused:UNUSED_PAD src0_sel:DWORD src1_sel:BYTE_2
	v_and_b32_sdwa v4, v6, v4 dst_sel:DWORD dst_unused:UNUSED_PAD src0_sel:DWORD src1_sel:BYTE_0
	v_cmp_ne_u32_e32 vcc, 0, v14
	s_nop 1
	v_cndmask_b32_e64 v6, -4, 0, vcc
	v_cmp_ne_u32_e32 vcc, 0, v4
	v_and_or_b32 v6, v7, 3, v6
	v_cvt_f32_i32_e32 v6, v6
	v_cndmask_b32_e64 v4, -4, 0, vcc
	v_cmp_ne_u32_e32 vcc, 0, v1
	v_and_or_b32 v4, v10, 3, v4
	v_cvt_f32_i32_e32 v4, v4
	v_cndmask_b32_e64 v1, -4, 0, vcc
	v_cmp_ne_u32_e32 vcc, 0, v13
	v_and_or_b32 v1, v12, 3, v1
	v_cvt_f32_i32_e32 v1, v1
	v_cndmask_b32_e64 v13, -4, 0, vcc
	v_and_or_b32 v0, v0, 3, v13
	v_cvt_f32_i32_e32 v0, v0
	v_cvt_f16_f32_e32 v6, v6
	v_cvt_f16_f32_e32 v7, v1
	;; [unrolled: 1-line block ×4, first 2 shown]
	v_lshl_add_u64 v[0:1], v[2:3], 0, v[8:9]
	s_waitcnt vmcnt(0)
	v_mul_f16_e32 v2, v11, v5
	v_pack_b32_f16 v4, v4, v6
	v_pack_b32_f16 v3, v10, v7
	v_pk_mul_f16 v3, v2, v3 op_sel_hi:[0,1]
	v_pk_mul_f16 v2, v2, v4 op_sel_hi:[0,1]
	global_store_dwordx2 v[0:1], v[2:3], off
	s_endpgm
	.section	.rodata,"a",@progbits
	.p2align	6, 0x0
	.amdhsa_kernel _ZL21dequantize_block_q3_KIN3c104HalfEEvPKvPT_
		.amdhsa_group_segment_fixed_size 0
		.amdhsa_private_segment_fixed_size 0
		.amdhsa_kernarg_size 16
		.amdhsa_user_sgpr_count 2
		.amdhsa_user_sgpr_dispatch_ptr 0
		.amdhsa_user_sgpr_queue_ptr 0
		.amdhsa_user_sgpr_kernarg_segment_ptr 1
		.amdhsa_user_sgpr_dispatch_id 0
		.amdhsa_user_sgpr_kernarg_preload_length 0
		.amdhsa_user_sgpr_kernarg_preload_offset 0
		.amdhsa_user_sgpr_private_segment_size 0
		.amdhsa_uses_dynamic_stack 0
		.amdhsa_enable_private_segment 0
		.amdhsa_system_sgpr_workgroup_id_x 1
		.amdhsa_system_sgpr_workgroup_id_y 0
		.amdhsa_system_sgpr_workgroup_id_z 0
		.amdhsa_system_sgpr_workgroup_info 0
		.amdhsa_system_vgpr_workitem_id 0
		.amdhsa_next_free_vgpr 18
		.amdhsa_next_free_sgpr 12
		.amdhsa_accum_offset 20
		.amdhsa_reserve_vcc 1
		.amdhsa_float_round_mode_32 0
		.amdhsa_float_round_mode_16_64 0
		.amdhsa_float_denorm_mode_32 3
		.amdhsa_float_denorm_mode_16_64 3
		.amdhsa_dx10_clamp 1
		.amdhsa_ieee_mode 1
		.amdhsa_fp16_overflow 0
		.amdhsa_tg_split 0
		.amdhsa_exception_fp_ieee_invalid_op 0
		.amdhsa_exception_fp_denorm_src 0
		.amdhsa_exception_fp_ieee_div_zero 0
		.amdhsa_exception_fp_ieee_overflow 0
		.amdhsa_exception_fp_ieee_underflow 0
		.amdhsa_exception_fp_ieee_inexact 0
		.amdhsa_exception_int_div_zero 0
	.end_amdhsa_kernel
	.section	.text._ZL21dequantize_block_q3_KIN3c104HalfEEvPKvPT_,"axG",@progbits,_ZL21dequantize_block_q3_KIN3c104HalfEEvPKvPT_,comdat
.Lfunc_end25:
	.size	_ZL21dequantize_block_q3_KIN3c104HalfEEvPKvPT_, .Lfunc_end25-_ZL21dequantize_block_q3_KIN3c104HalfEEvPKvPT_
                                        ; -- End function
	.set _ZL21dequantize_block_q3_KIN3c104HalfEEvPKvPT_.num_vgpr, 18
	.set _ZL21dequantize_block_q3_KIN3c104HalfEEvPKvPT_.num_agpr, 0
	.set _ZL21dequantize_block_q3_KIN3c104HalfEEvPKvPT_.numbered_sgpr, 12
	.set _ZL21dequantize_block_q3_KIN3c104HalfEEvPKvPT_.num_named_barrier, 0
	.set _ZL21dequantize_block_q3_KIN3c104HalfEEvPKvPT_.private_seg_size, 0
	.set _ZL21dequantize_block_q3_KIN3c104HalfEEvPKvPT_.uses_vcc, 1
	.set _ZL21dequantize_block_q3_KIN3c104HalfEEvPKvPT_.uses_flat_scratch, 0
	.set _ZL21dequantize_block_q3_KIN3c104HalfEEvPKvPT_.has_dyn_sized_stack, 0
	.set _ZL21dequantize_block_q3_KIN3c104HalfEEvPKvPT_.has_recursion, 0
	.set _ZL21dequantize_block_q3_KIN3c104HalfEEvPKvPT_.has_indirect_call, 0
	.section	.AMDGPU.csdata,"",@progbits
; Kernel info:
; codeLenInByte = 800
; TotalNumSgprs: 18
; NumVgprs: 18
; NumAgprs: 0
; TotalNumVgprs: 18
; ScratchSize: 0
; MemoryBound: 0
; FloatMode: 240
; IeeeMode: 1
; LDSByteSize: 0 bytes/workgroup (compile time only)
; SGPRBlocks: 2
; VGPRBlocks: 2
; NumSGPRsForWavesPerEU: 18
; NumVGPRsForWavesPerEU: 18
; AccumOffset: 20
; Occupancy: 8
; WaveLimiterHint : 0
; COMPUTE_PGM_RSRC2:SCRATCH_EN: 0
; COMPUTE_PGM_RSRC2:USER_SGPR: 2
; COMPUTE_PGM_RSRC2:TRAP_HANDLER: 0
; COMPUTE_PGM_RSRC2:TGID_X_EN: 1
; COMPUTE_PGM_RSRC2:TGID_Y_EN: 0
; COMPUTE_PGM_RSRC2:TGID_Z_EN: 0
; COMPUTE_PGM_RSRC2:TIDIG_COMP_CNT: 0
; COMPUTE_PGM_RSRC3_GFX90A:ACCUM_OFFSET: 4
; COMPUTE_PGM_RSRC3_GFX90A:TG_SPLIT: 0
	.section	.text._ZL21dequantize_block_q4_KIN3c104HalfEEvPKvPT_,"axG",@progbits,_ZL21dequantize_block_q4_KIN3c104HalfEEvPKvPT_,comdat
	.globl	_ZL21dequantize_block_q4_KIN3c104HalfEEvPKvPT_ ; -- Begin function _ZL21dequantize_block_q4_KIN3c104HalfEEvPKvPT_
	.p2align	8
	.type	_ZL21dequantize_block_q4_KIN3c104HalfEEvPKvPT_,@function
_ZL21dequantize_block_q4_KIN3c104HalfEEvPKvPT_: ; @_ZL21dequantize_block_q4_KIN3c104HalfEEvPKvPT_
; %bb.0:
	s_load_dwordx2 s[4:5], s[0:1], 0x0
	s_mul_i32 s6, s2, 0x90
	v_lshrrev_b32_e32 v1, 3, v0
	s_mul_hi_u32 s3, s2, 0x90
	v_lshlrev_b32_e32 v2, 1, v1
	s_waitcnt lgkmcnt(0)
	s_add_u32 s4, s4, s6
	s_addc_u32 s5, s5, s3
	v_mov_b32_e32 v3, 0
	v_cmp_lt_u32_e32 vcc, 15, v0
	v_lshl_add_u64 v[2:3], s[4:5], 0, v[2:3]
                                        ; implicit-def: $vgpr5
                                        ; implicit-def: $vgpr4
	s_and_saveexec_b64 s[6:7], vcc
	s_xor_b64 s[6:7], exec, s[6:7]
	s_cbranch_execz .LBB26_2
; %bb.1:
	global_load_ubyte v4, v[2:3], off offset:8
	global_load_ubyte v5, v[2:3], off
	global_load_ubyte v6, v[2:3], off offset:4
	s_waitcnt vmcnt(2)
	v_and_b32_e32 v7, 15, v4
	s_waitcnt vmcnt(1)
	v_lshrrev_b16_e32 v5, 2, v5
	v_lshrrev_b16_e32 v8, 4, v4
	s_waitcnt vmcnt(0)
	v_lshrrev_b16_e32 v6, 2, v6
	v_bitop3_b16 v4, v5, v7, 48 bitop3:0xec
	v_bitop3_b16 v5, v6, v8, 48 bitop3:0xec
.LBB26_2:
	s_andn2_saveexec_b64 s[6:7], s[6:7]
	s_cbranch_execz .LBB26_4
; %bb.3:
	global_load_ubyte v4, v[2:3], off offset:4
	global_load_ubyte v5, v[2:3], off offset:8
	s_waitcnt vmcnt(1)
	v_and_b32_e32 v4, 63, v4
	s_waitcnt vmcnt(0)
	v_and_b32_e32 v5, 63, v5
.LBB26_4:
	s_or_b64 exec, exec, s[6:7]
	s_load_dwordx2 s[6:7], s[0:1], 0x8
	s_load_dword s3, s[4:5], 0x0
                                        ; implicit-def: $vgpr7
                                        ; implicit-def: $vgpr6
	s_and_saveexec_b64 s[0:1], vcc
	s_xor_b64 s[0:1], exec, s[0:1]
	s_cbranch_execz .LBB26_6
; %bb.5:
	global_load_ubyte v6, v[2:3], off offset:9
	global_load_ubyte v7, v[2:3], off offset:1
	;; [unrolled: 1-line block ×3, first 2 shown]
	s_waitcnt vmcnt(2)
	v_and_b32_e32 v2, 15, v6
	s_waitcnt vmcnt(1)
	v_lshrrev_b16_e32 v3, 2, v7
	v_lshrrev_b16_e32 v7, 4, v6
	s_waitcnt vmcnt(0)
	v_lshrrev_b16_e32 v8, 2, v8
	v_bitop3_b16 v6, v3, v2, 48 bitop3:0xec
	v_bitop3_b16 v7, v8, v7, 48 bitop3:0xec
                                        ; implicit-def: $vgpr2_vgpr3
.LBB26_6:
	s_andn2_saveexec_b64 s[0:1], s[0:1]
	s_cbranch_execz .LBB26_8
; %bb.7:
	global_load_ubyte v6, v[2:3], off offset:5
	global_load_ubyte v7, v[2:3], off offset:9
	s_waitcnt vmcnt(1)
	v_and_b32_e32 v6, 63, v6
	s_waitcnt vmcnt(0)
	v_and_b32_e32 v7, 63, v7
.LBB26_8:
	s_or_b64 exec, exec, s[0:1]
	v_lshlrev_b32_e32 v2, 5, v1
	v_mov_b32_e32 v3, 0
	v_lshlrev_b32_e32 v0, 2, v0
	v_lshl_add_u64 v[8:9], s[4:5], 0, v[2:3]
	v_and_b32_e32 v2, 28, v0
	v_lshl_add_u64 v[8:9], v[8:9], 0, v[2:3]
	global_load_dword v8, v[8:9], off offset:16
	s_mov_b32 s1, 0
	s_lshl_b32 s0, s2, 8
	s_waitcnt lgkmcnt(0)
	s_lshr_b32 s4, s3, 16
	s_lshl_b64 s[0:1], s[0:1], 1
	s_add_u32 s0, s6, s0
	v_lshlrev_b32_e32 v0, 7, v1
	v_mov_b32_e32 v1, v3
	s_addc_u32 s1, s7, s1
	v_lshlrev_b32_e32 v2, 1, v2
	v_lshl_add_u64 v[0:1], s[0:1], 0, v[0:1]
	v_mov_b32_e32 v9, 15
	v_lshl_add_u64 v[0:1], v[0:1], 0, v[2:3]
	v_cvt_f16_u16_sdwa v5, v5 dst_sel:DWORD dst_unused:UNUSED_PAD src0_sel:BYTE_0
	v_cvt_f16_u16_sdwa v4, v4 dst_sel:DWORD dst_unused:UNUSED_PAD src0_sel:BYTE_0
	;; [unrolled: 1-line block ×4, first 2 shown]
	v_mul_f16_e32 v5, s4, v5
	v_mul_f16_e32 v4, s3, v4
	;; [unrolled: 1-line block ×4, first 2 shown]
	s_waitcnt vmcnt(0)
	v_lshrrev_b32_e32 v2, 8, v8
	v_and_b32_e32 v3, 15, v8
	v_and_b32_sdwa v10, v8, v9 dst_sel:DWORD dst_unused:UNUSED_PAD src0_sel:WORD_1 src1_sel:DWORD
	v_and_b32_sdwa v9, v8, v9 dst_sel:DWORD dst_unused:UNUSED_PAD src0_sel:BYTE_3 src1_sel:DWORD
	v_lshrrev_b32_e32 v11, 20, v8
	v_lshrrev_b16_e32 v13, 4, v8
	v_and_b32_e32 v2, 15, v2
	v_lshrrev_b32_e32 v12, 28, v8
	v_lshrrev_b16_e32 v8, 12, v8
	v_cvt_f16_u16_e32 v3, v3
	v_cvt_f16_u16_e32 v9, v9
	;; [unrolled: 1-line block ×3, first 2 shown]
	v_and_b32_e32 v11, 15, v11
	v_and_b32_e32 v13, 15, v13
	v_cvt_f16_u16_e32 v2, v2
	v_cvt_f16_u16_e32 v8, v8
	;; [unrolled: 1-line block ×3, first 2 shown]
	v_pack_b32_f16 v9, v10, v9
	v_cvt_f16_u16_e32 v10, v13
	v_cvt_f16_u16_e32 v11, v11
	v_pack_b32_f16 v2, v3, v2
	v_pk_fma_f16 v3, v4, v9, v5 op_sel_hi:[0,1,0] neg_lo:[0,0,1] neg_hi:[0,0,1]
	v_pack_b32_f16 v9, v11, v12
	v_pack_b32_f16 v8, v10, v8
	v_pk_fma_f16 v2, v4, v2, v5 op_sel_hi:[0,1,0] neg_lo:[0,0,1] neg_hi:[0,0,1]
	v_pk_fma_f16 v5, v6, v9, v7 op_sel_hi:[0,1,0] neg_lo:[0,0,1] neg_hi:[0,0,1]
	;; [unrolled: 1-line block ×3, first 2 shown]
	global_store_dwordx2 v[0:1], v[2:3], off
	global_store_dwordx2 v[0:1], v[4:5], off offset:64
	s_endpgm
	.section	.rodata,"a",@progbits
	.p2align	6, 0x0
	.amdhsa_kernel _ZL21dequantize_block_q4_KIN3c104HalfEEvPKvPT_
		.amdhsa_group_segment_fixed_size 0
		.amdhsa_private_segment_fixed_size 0
		.amdhsa_kernarg_size 16
		.amdhsa_user_sgpr_count 2
		.amdhsa_user_sgpr_dispatch_ptr 0
		.amdhsa_user_sgpr_queue_ptr 0
		.amdhsa_user_sgpr_kernarg_segment_ptr 1
		.amdhsa_user_sgpr_dispatch_id 0
		.amdhsa_user_sgpr_kernarg_preload_length 0
		.amdhsa_user_sgpr_kernarg_preload_offset 0
		.amdhsa_user_sgpr_private_segment_size 0
		.amdhsa_uses_dynamic_stack 0
		.amdhsa_enable_private_segment 0
		.amdhsa_system_sgpr_workgroup_id_x 1
		.amdhsa_system_sgpr_workgroup_id_y 0
		.amdhsa_system_sgpr_workgroup_id_z 0
		.amdhsa_system_sgpr_workgroup_info 0
		.amdhsa_system_vgpr_workitem_id 0
		.amdhsa_next_free_vgpr 14
		.amdhsa_next_free_sgpr 8
		.amdhsa_accum_offset 16
		.amdhsa_reserve_vcc 1
		.amdhsa_float_round_mode_32 0
		.amdhsa_float_round_mode_16_64 0
		.amdhsa_float_denorm_mode_32 3
		.amdhsa_float_denorm_mode_16_64 3
		.amdhsa_dx10_clamp 1
		.amdhsa_ieee_mode 1
		.amdhsa_fp16_overflow 0
		.amdhsa_tg_split 0
		.amdhsa_exception_fp_ieee_invalid_op 0
		.amdhsa_exception_fp_denorm_src 0
		.amdhsa_exception_fp_ieee_div_zero 0
		.amdhsa_exception_fp_ieee_overflow 0
		.amdhsa_exception_fp_ieee_underflow 0
		.amdhsa_exception_fp_ieee_inexact 0
		.amdhsa_exception_int_div_zero 0
	.end_amdhsa_kernel
	.section	.text._ZL21dequantize_block_q4_KIN3c104HalfEEvPKvPT_,"axG",@progbits,_ZL21dequantize_block_q4_KIN3c104HalfEEvPKvPT_,comdat
.Lfunc_end26:
	.size	_ZL21dequantize_block_q4_KIN3c104HalfEEvPKvPT_, .Lfunc_end26-_ZL21dequantize_block_q4_KIN3c104HalfEEvPKvPT_
                                        ; -- End function
	.set _ZL21dequantize_block_q4_KIN3c104HalfEEvPKvPT_.num_vgpr, 14
	.set _ZL21dequantize_block_q4_KIN3c104HalfEEvPKvPT_.num_agpr, 0
	.set _ZL21dequantize_block_q4_KIN3c104HalfEEvPKvPT_.numbered_sgpr, 8
	.set _ZL21dequantize_block_q4_KIN3c104HalfEEvPKvPT_.num_named_barrier, 0
	.set _ZL21dequantize_block_q4_KIN3c104HalfEEvPKvPT_.private_seg_size, 0
	.set _ZL21dequantize_block_q4_KIN3c104HalfEEvPKvPT_.uses_vcc, 1
	.set _ZL21dequantize_block_q4_KIN3c104HalfEEvPKvPT_.uses_flat_scratch, 0
	.set _ZL21dequantize_block_q4_KIN3c104HalfEEvPKvPT_.has_dyn_sized_stack, 0
	.set _ZL21dequantize_block_q4_KIN3c104HalfEEvPKvPT_.has_recursion, 0
	.set _ZL21dequantize_block_q4_KIN3c104HalfEEvPKvPT_.has_indirect_call, 0
	.section	.AMDGPU.csdata,"",@progbits
; Kernel info:
; codeLenInByte = 644
; TotalNumSgprs: 14
; NumVgprs: 14
; NumAgprs: 0
; TotalNumVgprs: 14
; ScratchSize: 0
; MemoryBound: 0
; FloatMode: 240
; IeeeMode: 1
; LDSByteSize: 0 bytes/workgroup (compile time only)
; SGPRBlocks: 1
; VGPRBlocks: 1
; NumSGPRsForWavesPerEU: 14
; NumVGPRsForWavesPerEU: 14
; AccumOffset: 16
; Occupancy: 8
; WaveLimiterHint : 0
; COMPUTE_PGM_RSRC2:SCRATCH_EN: 0
; COMPUTE_PGM_RSRC2:USER_SGPR: 2
; COMPUTE_PGM_RSRC2:TRAP_HANDLER: 0
; COMPUTE_PGM_RSRC2:TGID_X_EN: 1
; COMPUTE_PGM_RSRC2:TGID_Y_EN: 0
; COMPUTE_PGM_RSRC2:TGID_Z_EN: 0
; COMPUTE_PGM_RSRC2:TIDIG_COMP_CNT: 0
; COMPUTE_PGM_RSRC3_GFX90A:ACCUM_OFFSET: 3
; COMPUTE_PGM_RSRC3_GFX90A:TG_SPLIT: 0
	.section	.text._ZL21dequantize_block_q5_KIN3c104HalfEEvPKvPT_,"axG",@progbits,_ZL21dequantize_block_q5_KIN3c104HalfEEvPKvPT_,comdat
	.globl	_ZL21dequantize_block_q5_KIN3c104HalfEEvPKvPT_ ; -- Begin function _ZL21dequantize_block_q5_KIN3c104HalfEEvPKvPT_
	.p2align	8
	.type	_ZL21dequantize_block_q5_KIN3c104HalfEEvPKvPT_,@function
_ZL21dequantize_block_q5_KIN3c104HalfEEvPKvPT_: ; @_ZL21dequantize_block_q5_KIN3c104HalfEEvPKvPT_
; %bb.0:
	s_load_dwordx2 s[4:5], s[0:1], 0x0
	s_mul_i32 s6, s2, 0xb0
	v_lshrrev_b32_e32 v1, 4, v0
	s_mul_hi_u32 s3, s2, 0xb0
	v_lshlrev_b32_e32 v2, 1, v1
	s_waitcnt lgkmcnt(0)
	s_add_u32 s4, s4, s6
	s_addc_u32 s5, s5, s3
	v_mov_b32_e32 v3, 0
	v_cmp_lt_u32_e32 vcc, 31, v0
	v_lshl_add_u64 v[4:5], s[4:5], 0, v[2:3]
                                        ; implicit-def: $vgpr6
                                        ; implicit-def: $vgpr3
	s_and_saveexec_b64 s[6:7], vcc
	s_xor_b64 s[6:7], exec, s[6:7]
	s_cbranch_execz .LBB27_2
; %bb.1:
	global_load_ubyte v3, v[4:5], off offset:8
	global_load_ubyte v6, v[4:5], off
	global_load_ubyte v7, v[4:5], off offset:4
	s_waitcnt vmcnt(2)
	v_and_b32_e32 v8, 15, v3
	s_waitcnt vmcnt(1)
	v_lshrrev_b16_e32 v6, 2, v6
	v_lshrrev_b16_e32 v9, 4, v3
	s_waitcnt vmcnt(0)
	v_lshrrev_b16_e32 v7, 2, v7
	v_bitop3_b16 v3, v6, v8, 48 bitop3:0xec
	v_bitop3_b16 v6, v7, v9, 48 bitop3:0xec
.LBB27_2:
	s_andn2_saveexec_b64 s[6:7], s[6:7]
	s_cbranch_execz .LBB27_4
; %bb.3:
	global_load_ubyte v3, v[4:5], off offset:4
	global_load_ubyte v6, v[4:5], off offset:8
	s_waitcnt vmcnt(1)
	v_and_b32_e32 v3, 63, v3
	s_waitcnt vmcnt(0)
	v_and_b32_e32 v6, 63, v6
.LBB27_4:
	s_or_b64 exec, exec, s[6:7]
	s_load_dwordx2 s[6:7], s[0:1], 0x8
	s_load_dword s3, s[4:5], 0x0
                                        ; implicit-def: $vgpr8
                                        ; implicit-def: $vgpr7
	s_and_saveexec_b64 s[0:1], vcc
	s_xor_b64 s[0:1], exec, s[0:1]
	s_cbranch_execz .LBB27_6
; %bb.5:
	global_load_ubyte v7, v[4:5], off offset:9
	global_load_ubyte v8, v[4:5], off offset:1
	;; [unrolled: 1-line block ×3, first 2 shown]
	s_waitcnt vmcnt(2)
	v_and_b32_e32 v4, 15, v7
	s_waitcnt vmcnt(1)
	v_lshrrev_b16_e32 v5, 2, v8
	v_lshrrev_b16_e32 v8, 4, v7
	s_waitcnt vmcnt(0)
	v_lshrrev_b16_e32 v9, 2, v9
	v_bitop3_b16 v7, v5, v4, 48 bitop3:0xec
	v_bitop3_b16 v8, v9, v8, 48 bitop3:0xec
                                        ; implicit-def: $vgpr4_vgpr5
.LBB27_6:
	s_andn2_saveexec_b64 s[0:1], s[0:1]
	s_cbranch_execz .LBB27_8
; %bb.7:
	global_load_ubyte v7, v[4:5], off offset:5
	global_load_ubyte v8, v[4:5], off offset:9
	s_waitcnt vmcnt(1)
	v_and_b32_e32 v7, 63, v7
	s_waitcnt vmcnt(0)
	v_and_b32_e32 v8, 63, v8
.LBB27_8:
	s_or_b64 exec, exec, s[0:1]
	v_mov_b32_e32 v5, 0
	v_lshlrev_b32_e32 v0, 1, v0
	v_lshlrev_b32_e32 v10, 5, v1
	v_mov_b32_e32 v11, v5
	v_and_b32_e32 v4, 30, v0
	v_lshl_add_u64 v[10:11], s[4:5], 0, v[10:11]
	v_lshl_add_u64 v[10:11], v[10:11], 0, v[4:5]
	global_load_ushort v9, v[10:11], off offset:48
	global_load_ushort v12, v4, s[4:5] offset:16
	s_mov_b32 s1, 0
	s_lshl_b32 s0, s2, 8
	s_waitcnt lgkmcnt(0)
	s_lshr_b32 s4, s3, 16
	s_lshl_b64 s[0:1], s[0:1], 1
	s_add_u32 s0, s6, s0
	v_lshlrev_b32_e32 v0, 7, v1
	v_mov_b32_e32 v1, v5
	s_addc_u32 s1, s7, s1
	v_lshlrev_b32_e64 v10, v2, 1
	v_mov_b32_e32 v11, 15
	v_lshlrev_b32_e32 v4, 1, v4
	v_lshl_add_u64 v[0:1], s[0:1], 0, v[0:1]
	v_lshl_add_u64 v[0:1], v[0:1], 0, v[4:5]
	v_lshlrev_b32_e64 v2, v2, 2
	v_cvt_f16_u16_sdwa v6, v6 dst_sel:DWORD dst_unused:UNUSED_PAD src0_sel:BYTE_0
	v_cvt_f16_u16_sdwa v3, v3 dst_sel:DWORD dst_unused:UNUSED_PAD src0_sel:BYTE_0
	;; [unrolled: 1-line block ×4, first 2 shown]
	v_mul_f16_e32 v6, s4, v6
	v_mul_f16_e32 v3, s3, v3
	;; [unrolled: 1-line block ×4, first 2 shown]
	s_waitcnt vmcnt(1)
	v_and_b32_sdwa v4, v9, v11 dst_sel:DWORD dst_unused:UNUSED_PAD src0_sel:BYTE_1 src1_sel:DWORD
	s_waitcnt vmcnt(0)
	v_and_b32_sdwa v11, v10, v12 dst_sel:DWORD dst_unused:UNUSED_PAD src0_sel:DWORD src1_sel:BYTE_1
	v_and_b32_sdwa v10, v10, v12 dst_sel:DWORD dst_unused:UNUSED_PAD src0_sel:DWORD src1_sel:BYTE_0
	v_cmp_eq_u32_e32 vcc, 0, v11
	v_and_b32_sdwa v14, v2, v12 dst_sel:DWORD dst_unused:UNUSED_PAD src0_sel:DWORD src1_sel:BYTE_1
	v_lshrrev_b16_e32 v13, 4, v9
	v_cndmask_b32_e64 v11, 16, 0, vcc
	v_cmp_eq_u32_e32 vcc, 0, v10
	v_and_b32_sdwa v2, v2, v12 dst_sel:DWORD dst_unused:UNUSED_PAD src0_sel:DWORD src1_sel:BYTE_0
	v_and_b32_e32 v5, 15, v9
	v_cndmask_b32_e64 v10, 16, 0, vcc
	v_cmp_eq_u32_e32 vcc, 0, v14
	v_and_b32_e32 v12, 15, v13
	v_lshrrev_b16_e32 v9, 12, v9
	v_cndmask_b32_e64 v13, 16, 0, vcc
	v_cmp_eq_u32_e32 vcc, 0, v2
	v_or_b32_sdwa v4, v11, v4 dst_sel:DWORD dst_unused:UNUSED_PAD src0_sel:DWORD src1_sel:WORD_0
	v_or_b32_sdwa v5, v10, v5 dst_sel:DWORD dst_unused:UNUSED_PAD src0_sel:DWORD src1_sel:WORD_0
	v_cndmask_b32_e64 v2, 16, 0, vcc
	v_or_b32_e32 v9, v13, v9
	v_or_b32_sdwa v2, v2, v12 dst_sel:DWORD dst_unused:UNUSED_PAD src0_sel:DWORD src1_sel:WORD_0
	v_cvt_f32_ubyte0_e32 v4, v4
	v_cvt_f32_ubyte0_e32 v5, v5
	;; [unrolled: 1-line block ×4, first 2 shown]
	v_cvt_pk_f16_f32 v4, v5, v4
	v_cvt_pk_f16_f32 v2, v2, v9
	v_pk_fma_f16 v3, v3, v4, v6 op_sel_hi:[0,1,0] neg_lo:[0,0,1] neg_hi:[0,0,1]
	v_pk_fma_f16 v2, v7, v2, v8 op_sel_hi:[0,1,0] neg_lo:[0,0,1] neg_hi:[0,0,1]
	global_store_dword v[0:1], v3, off
	global_store_dword v[0:1], v2, off offset:64
	s_endpgm
	.section	.rodata,"a",@progbits
	.p2align	6, 0x0
	.amdhsa_kernel _ZL21dequantize_block_q5_KIN3c104HalfEEvPKvPT_
		.amdhsa_group_segment_fixed_size 0
		.amdhsa_private_segment_fixed_size 0
		.amdhsa_kernarg_size 16
		.amdhsa_user_sgpr_count 2
		.amdhsa_user_sgpr_dispatch_ptr 0
		.amdhsa_user_sgpr_queue_ptr 0
		.amdhsa_user_sgpr_kernarg_segment_ptr 1
		.amdhsa_user_sgpr_dispatch_id 0
		.amdhsa_user_sgpr_kernarg_preload_length 0
		.amdhsa_user_sgpr_kernarg_preload_offset 0
		.amdhsa_user_sgpr_private_segment_size 0
		.amdhsa_uses_dynamic_stack 0
		.amdhsa_enable_private_segment 0
		.amdhsa_system_sgpr_workgroup_id_x 1
		.amdhsa_system_sgpr_workgroup_id_y 0
		.amdhsa_system_sgpr_workgroup_id_z 0
		.amdhsa_system_sgpr_workgroup_info 0
		.amdhsa_system_vgpr_workitem_id 0
		.amdhsa_next_free_vgpr 15
		.amdhsa_next_free_sgpr 8
		.amdhsa_accum_offset 16
		.amdhsa_reserve_vcc 1
		.amdhsa_float_round_mode_32 0
		.amdhsa_float_round_mode_16_64 0
		.amdhsa_float_denorm_mode_32 3
		.amdhsa_float_denorm_mode_16_64 3
		.amdhsa_dx10_clamp 1
		.amdhsa_ieee_mode 1
		.amdhsa_fp16_overflow 0
		.amdhsa_tg_split 0
		.amdhsa_exception_fp_ieee_invalid_op 0
		.amdhsa_exception_fp_denorm_src 0
		.amdhsa_exception_fp_ieee_div_zero 0
		.amdhsa_exception_fp_ieee_overflow 0
		.amdhsa_exception_fp_ieee_underflow 0
		.amdhsa_exception_fp_ieee_inexact 0
		.amdhsa_exception_int_div_zero 0
	.end_amdhsa_kernel
	.section	.text._ZL21dequantize_block_q5_KIN3c104HalfEEvPKvPT_,"axG",@progbits,_ZL21dequantize_block_q5_KIN3c104HalfEEvPKvPT_,comdat
.Lfunc_end27:
	.size	_ZL21dequantize_block_q5_KIN3c104HalfEEvPKvPT_, .Lfunc_end27-_ZL21dequantize_block_q5_KIN3c104HalfEEvPKvPT_
                                        ; -- End function
	.set _ZL21dequantize_block_q5_KIN3c104HalfEEvPKvPT_.num_vgpr, 15
	.set _ZL21dequantize_block_q5_KIN3c104HalfEEvPKvPT_.num_agpr, 0
	.set _ZL21dequantize_block_q5_KIN3c104HalfEEvPKvPT_.numbered_sgpr, 8
	.set _ZL21dequantize_block_q5_KIN3c104HalfEEvPKvPT_.num_named_barrier, 0
	.set _ZL21dequantize_block_q5_KIN3c104HalfEEvPKvPT_.private_seg_size, 0
	.set _ZL21dequantize_block_q5_KIN3c104HalfEEvPKvPT_.uses_vcc, 1
	.set _ZL21dequantize_block_q5_KIN3c104HalfEEvPKvPT_.uses_flat_scratch, 0
	.set _ZL21dequantize_block_q5_KIN3c104HalfEEvPKvPT_.has_dyn_sized_stack, 0
	.set _ZL21dequantize_block_q5_KIN3c104HalfEEvPKvPT_.has_recursion, 0
	.set _ZL21dequantize_block_q5_KIN3c104HalfEEvPKvPT_.has_indirect_call, 0
	.section	.AMDGPU.csdata,"",@progbits
; Kernel info:
; codeLenInByte = 708
; TotalNumSgprs: 14
; NumVgprs: 15
; NumAgprs: 0
; TotalNumVgprs: 15
; ScratchSize: 0
; MemoryBound: 0
; FloatMode: 240
; IeeeMode: 1
; LDSByteSize: 0 bytes/workgroup (compile time only)
; SGPRBlocks: 1
; VGPRBlocks: 1
; NumSGPRsForWavesPerEU: 14
; NumVGPRsForWavesPerEU: 15
; AccumOffset: 16
; Occupancy: 8
; WaveLimiterHint : 0
; COMPUTE_PGM_RSRC2:SCRATCH_EN: 0
; COMPUTE_PGM_RSRC2:USER_SGPR: 2
; COMPUTE_PGM_RSRC2:TRAP_HANDLER: 0
; COMPUTE_PGM_RSRC2:TGID_X_EN: 1
; COMPUTE_PGM_RSRC2:TGID_Y_EN: 0
; COMPUTE_PGM_RSRC2:TGID_Z_EN: 0
; COMPUTE_PGM_RSRC2:TIDIG_COMP_CNT: 0
; COMPUTE_PGM_RSRC3_GFX90A:ACCUM_OFFSET: 3
; COMPUTE_PGM_RSRC3_GFX90A:TG_SPLIT: 0
	.section	.text._ZL21dequantize_block_q6_KIN3c104HalfEEvPKvPT_,"axG",@progbits,_ZL21dequantize_block_q6_KIN3c104HalfEEvPKvPT_,comdat
	.globl	_ZL21dequantize_block_q6_KIN3c104HalfEEvPKvPT_ ; -- Begin function _ZL21dequantize_block_q6_KIN3c104HalfEEvPKvPT_
	.p2align	8
	.type	_ZL21dequantize_block_q6_KIN3c104HalfEEvPKvPT_,@function
_ZL21dequantize_block_q6_KIN3c104HalfEEvPKvPT_: ; @_ZL21dequantize_block_q6_KIN3c104HalfEEvPKvPT_
; %bb.0:
	s_load_dwordx4 s[4:7], s[0:1], 0x0
	s_lshl_b32 s0, s2, 8
	s_mov_b32 s1, 0
	s_lshl_b64 s[0:1], s[0:1], 1
	v_lshrrev_b32_e32 v1, 5, v0
	s_waitcnt lgkmcnt(0)
	s_add_u32 s0, s6, s0
	s_addc_u32 s1, s7, s1
	v_lshlrev_b32_e32 v4, 8, v1
	v_mov_b32_e32 v5, 0
	v_lshl_add_u64 v[6:7], s[0:1], 0, v[4:5]
	s_mul_hi_u32 s1, s2, 0xd2
	s_mulk_i32 s2, 0xd2
	v_and_b32_e32 v2, 31, v0
	s_add_u32 s0, s4, s2
	v_lshlrev_b32_e32 v4, 1, v2
	s_addc_u32 s1, s5, s1
	global_load_ubyte v10, v0, s[0:1] offset:128
	v_lshl_add_u64 v[6:7], v[6:7], 0, v[4:5]
	v_lshlrev_b32_e32 v4, 6, v1
	v_mov_b32_e32 v3, v5
	v_lshl_add_u64 v[8:9], s[0:1], 0, v[4:5]
	v_lshl_add_u64 v[2:3], v[8:9], 0, v[2:3]
	global_load_ubyte v4, v[2:3], off
	global_load_ubyte v8, v[2:3], off offset:32
	v_bfe_u32 v0, v0, 4, 1
	v_lshl_or_b32 v0, v1, 3, v0
	global_load_sbyte v1, v0, s[0:1] offset:192
	global_load_sbyte v2, v0, s[0:1] offset:194
	global_load_sbyte v3, v0, s[0:1] offset:196
	global_load_sbyte v9, v0, s[0:1] offset:198
	global_load_ushort v11, v5, s[0:1] offset:208
	v_mov_b32_e32 v0, 32
	s_waitcnt vmcnt(7)
	v_lshlrev_b16_e32 v5, 4, v10
	v_lshlrev_b16_e32 v12, 2, v10
	v_and_b32_e32 v5, 48, v5
	v_and_b32_e32 v12, 48, v12
	v_lshrrev_b16_e32 v13, 2, v10
	s_waitcnt vmcnt(6)
	v_bitop3_b16 v5, v4, v5, 15 bitop3:0xec
	v_lshrrev_b16_e32 v4, 4, v4
	s_waitcnt vmcnt(5)
	v_bitop3_b16 v12, v8, v12, 15 bitop3:0xec
	v_lshrrev_b16_e32 v8, 4, v8
	v_sub_u32_sdwa v5, v5, v0 dst_sel:DWORD dst_unused:UNUSED_PAD src0_sel:WORD_0 src1_sel:DWORD
	v_bitop3_b16 v4, v4, v10, 48 bitop3:0xf8
	v_sub_u32_sdwa v12, v12, v0 dst_sel:DWORD dst_unused:UNUSED_PAD src0_sel:WORD_0 src1_sel:DWORD
	v_bitop3_b16 v8, v8, v13, 48 bitop3:0xf8
	s_waitcnt vmcnt(4)
	v_mul_i32_i24_e32 v1, v5, v1
	v_sub_u32_sdwa v4, v4, v0 dst_sel:DWORD dst_unused:UNUSED_PAD src0_sel:WORD_0 src1_sel:DWORD
	s_waitcnt vmcnt(3)
	v_mul_i32_i24_e32 v2, v12, v2
	v_sub_u32_sdwa v0, v8, v0 dst_sel:DWORD dst_unused:UNUSED_PAD src0_sel:WORD_0 src1_sel:DWORD
	v_cvt_f32_i32_e32 v1, v1
	s_waitcnt vmcnt(2)
	v_mul_i32_i24_e32 v3, v4, v3
	v_cvt_f32_i32_e32 v2, v2
	s_waitcnt vmcnt(1)
	v_mul_i32_i24_e32 v0, v0, v9
	v_cvt_f32_i32_e32 v3, v3
	v_cvt_f32_i32_e32 v0, v0
	v_cvt_f16_f32_e32 v1, v1
	v_cvt_f16_f32_e32 v2, v2
	;; [unrolled: 1-line block ×4, first 2 shown]
	s_waitcnt vmcnt(0)
	v_mul_f16_e32 v1, v11, v1
	v_mul_f16_e32 v2, v11, v2
	global_store_short v[6:7], v1, off
	global_store_short v[6:7], v2, off offset:64
	v_mul_f16_e32 v1, v11, v3
	v_mul_f16_e32 v0, v11, v0
	global_store_short v[6:7], v1, off offset:128
	global_store_short v[6:7], v0, off offset:192
	s_endpgm
	.section	.rodata,"a",@progbits
	.p2align	6, 0x0
	.amdhsa_kernel _ZL21dequantize_block_q6_KIN3c104HalfEEvPKvPT_
		.amdhsa_group_segment_fixed_size 0
		.amdhsa_private_segment_fixed_size 0
		.amdhsa_kernarg_size 16
		.amdhsa_user_sgpr_count 2
		.amdhsa_user_sgpr_dispatch_ptr 0
		.amdhsa_user_sgpr_queue_ptr 0
		.amdhsa_user_sgpr_kernarg_segment_ptr 1
		.amdhsa_user_sgpr_dispatch_id 0
		.amdhsa_user_sgpr_kernarg_preload_length 0
		.amdhsa_user_sgpr_kernarg_preload_offset 0
		.amdhsa_user_sgpr_private_segment_size 0
		.amdhsa_uses_dynamic_stack 0
		.amdhsa_enable_private_segment 0
		.amdhsa_system_sgpr_workgroup_id_x 1
		.amdhsa_system_sgpr_workgroup_id_y 0
		.amdhsa_system_sgpr_workgroup_id_z 0
		.amdhsa_system_sgpr_workgroup_info 0
		.amdhsa_system_vgpr_workitem_id 0
		.amdhsa_next_free_vgpr 14
		.amdhsa_next_free_sgpr 8
		.amdhsa_accum_offset 16
		.amdhsa_reserve_vcc 0
		.amdhsa_float_round_mode_32 0
		.amdhsa_float_round_mode_16_64 0
		.amdhsa_float_denorm_mode_32 3
		.amdhsa_float_denorm_mode_16_64 3
		.amdhsa_dx10_clamp 1
		.amdhsa_ieee_mode 1
		.amdhsa_fp16_overflow 0
		.amdhsa_tg_split 0
		.amdhsa_exception_fp_ieee_invalid_op 0
		.amdhsa_exception_fp_denorm_src 0
		.amdhsa_exception_fp_ieee_div_zero 0
		.amdhsa_exception_fp_ieee_overflow 0
		.amdhsa_exception_fp_ieee_underflow 0
		.amdhsa_exception_fp_ieee_inexact 0
		.amdhsa_exception_int_div_zero 0
	.end_amdhsa_kernel
	.section	.text._ZL21dequantize_block_q6_KIN3c104HalfEEvPKvPT_,"axG",@progbits,_ZL21dequantize_block_q6_KIN3c104HalfEEvPKvPT_,comdat
.Lfunc_end28:
	.size	_ZL21dequantize_block_q6_KIN3c104HalfEEvPKvPT_, .Lfunc_end28-_ZL21dequantize_block_q6_KIN3c104HalfEEvPKvPT_
                                        ; -- End function
	.set _ZL21dequantize_block_q6_KIN3c104HalfEEvPKvPT_.num_vgpr, 14
	.set _ZL21dequantize_block_q6_KIN3c104HalfEEvPKvPT_.num_agpr, 0
	.set _ZL21dequantize_block_q6_KIN3c104HalfEEvPKvPT_.numbered_sgpr, 8
	.set _ZL21dequantize_block_q6_KIN3c104HalfEEvPKvPT_.num_named_barrier, 0
	.set _ZL21dequantize_block_q6_KIN3c104HalfEEvPKvPT_.private_seg_size, 0
	.set _ZL21dequantize_block_q6_KIN3c104HalfEEvPKvPT_.uses_vcc, 0
	.set _ZL21dequantize_block_q6_KIN3c104HalfEEvPKvPT_.uses_flat_scratch, 0
	.set _ZL21dequantize_block_q6_KIN3c104HalfEEvPKvPT_.has_dyn_sized_stack, 0
	.set _ZL21dequantize_block_q6_KIN3c104HalfEEvPKvPT_.has_recursion, 0
	.set _ZL21dequantize_block_q6_KIN3c104HalfEEvPKvPT_.has_indirect_call, 0
	.section	.AMDGPU.csdata,"",@progbits
; Kernel info:
; codeLenInByte = 420
; TotalNumSgprs: 14
; NumVgprs: 14
; NumAgprs: 0
; TotalNumVgprs: 14
; ScratchSize: 0
; MemoryBound: 0
; FloatMode: 240
; IeeeMode: 1
; LDSByteSize: 0 bytes/workgroup (compile time only)
; SGPRBlocks: 1
; VGPRBlocks: 1
; NumSGPRsForWavesPerEU: 14
; NumVGPRsForWavesPerEU: 14
; AccumOffset: 16
; Occupancy: 8
; WaveLimiterHint : 0
; COMPUTE_PGM_RSRC2:SCRATCH_EN: 0
; COMPUTE_PGM_RSRC2:USER_SGPR: 2
; COMPUTE_PGM_RSRC2:TRAP_HANDLER: 0
; COMPUTE_PGM_RSRC2:TGID_X_EN: 1
; COMPUTE_PGM_RSRC2:TGID_Y_EN: 0
; COMPUTE_PGM_RSRC2:TGID_Z_EN: 0
; COMPUTE_PGM_RSRC2:TIDIG_COMP_CNT: 0
; COMPUTE_PGM_RSRC3_GFX90A:ACCUM_OFFSET: 3
; COMPUTE_PGM_RSRC3_GFX90A:TG_SPLIT: 0
	.section	.text._ZL24dequantize_block_iq2_xxsIN3c104HalfEEvPKvPT_,"axG",@progbits,_ZL24dequantize_block_iq2_xxsIN3c104HalfEEvPKvPT_,comdat
	.globl	_ZL24dequantize_block_iq2_xxsIN3c104HalfEEvPKvPT_ ; -- Begin function _ZL24dequantize_block_iq2_xxsIN3c104HalfEEvPKvPT_
	.p2align	8
	.type	_ZL24dequantize_block_iq2_xxsIN3c104HalfEEvPKvPT_,@function
_ZL24dequantize_block_iq2_xxsIN3c104HalfEEvPKvPT_: ; @_ZL24dequantize_block_iq2_xxsIN3c104HalfEEvPKvPT_
; %bb.0:
	s_load_dwordx4 s[4:7], s[0:1], 0x0
	s_lshl_b32 s0, s2, 8
	s_mov_b32 s1, 0
	s_lshl_b64 s[0:1], s[0:1], 1
	v_and_b32_e32 v1, 7, v0
	s_waitcnt lgkmcnt(0)
	s_add_u32 s0, s6, s0
	s_addc_u32 s1, s7, s1
	v_lshlrev_b32_e32 v2, 6, v1
	v_mov_b32_e32 v3, 0
	v_lshl_add_u64 v[4:5], s[0:1], 0, v[2:3]
	v_and_b32_e32 v2, 0x3f8, v0
	s_mul_hi_u32 s1, s2, 0x42
	s_mulk_i32 s2, 0x42
	v_lshlrev_b32_e32 v2, 1, v2
	s_add_u32 s0, s4, s2
	v_lshl_add_u64 v[4:5], v[4:5], 0, v[2:3]
	s_addc_u32 s1, s5, s1
	v_lshlrev_b32_e32 v2, 3, v1
	global_load_dword v8, v2, s[0:1] offset:6
	v_lshrrev_b32_e32 v0, 3, v0
	v_lshl_add_u64 v[6:7], s[0:1], 0, v[2:3]
	v_mov_b32_e32 v1, v3
	v_lshl_add_u64 v[6:7], v[6:7], 0, v[0:1]
	global_load_ubyte v1, v[6:7], off offset:2
	global_load_ushort v2, v3, s[0:1]
	v_mul_u32_u24_e32 v0, 7, v0
	s_getpc_b64 s[0:1]
	s_add_u32 s0, s0, _ZL12ksigns_iq2xs@rel32@lo+4
	s_addc_u32 s1, s1, _ZL12ksigns_iq2xs@rel32@hi+12
	s_waitcnt vmcnt(2)
	v_bfe_u32 v3, v8, v0, 7
	global_load_sbyte v6, v3, s[0:1]
	s_getpc_b64 s[0:1]
	s_add_u32 s0, s0, _ZL11iq2xxs_grid@rel32@lo+4
	s_addc_u32 s1, s1, _ZL11iq2xxs_grid@rel32@hi+12
	v_lshrrev_b32_e32 v7, 28, v8
	s_waitcnt vmcnt(2)
	v_lshlrev_b32_e32 v0, 3, v1
	global_load_dwordx2 v[0:1], v0, s[0:1]
	s_waitcnt vmcnt(2)
	v_cvt_f32_f16_e32 v2, v2
	v_cvt_f32_ubyte0_e32 v7, v7
	v_add_f32_e32 v7, 0.5, v7
	v_mul_f32_e32 v2, v7, v2
	v_mul_f32_e32 v2, 0x3e800000, v2
	s_waitcnt vmcnt(1)
	v_and_b32_e32 v7, 1, v6
	v_and_b32_e32 v8, 2, v6
	v_cmp_eq_u16_e32 vcc, 0, v7
	v_and_b32_e32 v9, 4, v6
	s_waitcnt vmcnt(0)
	v_cvt_f32_ubyte0_e32 v13, v0
	v_cvt_f32_ubyte1_e32 v14, v0
	v_mul_f32_e32 v13, v2, v13
	v_cvt_f32_ubyte2_e32 v15, v0
	v_mul_f32_e32 v14, v2, v14
	v_cndmask_b32_e64 v7, -v13, v13, vcc
	v_cmp_eq_u16_e32 vcc, 0, v8
	v_and_b32_e32 v10, 8, v6
	v_cvt_f32_ubyte3_e32 v0, v0
	v_mul_f32_e32 v15, v2, v15
	v_cndmask_b32_e64 v8, -v14, v14, vcc
	v_cmp_eq_u16_e32 vcc, 0, v9
	v_and_b32_e32 v11, 16, v6
	v_cvt_f32_ubyte0_e32 v16, v1
	v_mul_f32_e32 v0, v2, v0
	v_cndmask_b32_e64 v9, -v15, v15, vcc
	v_cmp_eq_u16_e32 vcc, 0, v10
	v_and_b32_e32 v12, 32, v6
	v_cvt_f32_ubyte1_e32 v17, v1
	v_cvt_f32_ubyte2_e32 v18, v1
	v_cvt_f32_ubyte3_e32 v1, v1
	v_mul_f32_e32 v16, v2, v16
	v_cndmask_b32_e64 v0, -v0, v0, vcc
	v_cmp_eq_u16_e32 vcc, 0, v11
	v_mul_f32_e32 v17, v2, v17
	v_mul_f32_e32 v18, v2, v18
	;; [unrolled: 1-line block ×3, first 2 shown]
	v_cndmask_b32_e64 v2, -v16, v16, vcc
	v_cmp_eq_u16_e32 vcc, 0, v12
	s_nop 1
	v_cndmask_b32_e64 v10, -v17, v17, vcc
	v_cmp_gt_u32_e32 vcc, 64, v3
	v_cvt_pk_f16_f32 v2, v2, v10
	s_nop 0
	v_cndmask_b32_e64 v3, -v18, v18, vcc
	v_cmp_gt_i16_e32 vcc, 0, v6
	s_nop 1
	v_cndmask_b32_e64 v1, v1, -v1, vcc
	v_cvt_pk_f16_f32 v3, v3, v1
	v_cvt_pk_f16_f32 v1, v9, v0
	;; [unrolled: 1-line block ×3, first 2 shown]
	global_store_dwordx4 v[4:5], v[0:3], off
	s_endpgm
	.section	.rodata,"a",@progbits
	.p2align	6, 0x0
	.amdhsa_kernel _ZL24dequantize_block_iq2_xxsIN3c104HalfEEvPKvPT_
		.amdhsa_group_segment_fixed_size 0
		.amdhsa_private_segment_fixed_size 0
		.amdhsa_kernarg_size 16
		.amdhsa_user_sgpr_count 2
		.amdhsa_user_sgpr_dispatch_ptr 0
		.amdhsa_user_sgpr_queue_ptr 0
		.amdhsa_user_sgpr_kernarg_segment_ptr 1
		.amdhsa_user_sgpr_dispatch_id 0
		.amdhsa_user_sgpr_kernarg_preload_length 0
		.amdhsa_user_sgpr_kernarg_preload_offset 0
		.amdhsa_user_sgpr_private_segment_size 0
		.amdhsa_uses_dynamic_stack 0
		.amdhsa_enable_private_segment 0
		.amdhsa_system_sgpr_workgroup_id_x 1
		.amdhsa_system_sgpr_workgroup_id_y 0
		.amdhsa_system_sgpr_workgroup_id_z 0
		.amdhsa_system_sgpr_workgroup_info 0
		.amdhsa_system_vgpr_workitem_id 0
		.amdhsa_next_free_vgpr 19
		.amdhsa_next_free_sgpr 8
		.amdhsa_accum_offset 20
		.amdhsa_reserve_vcc 1
		.amdhsa_float_round_mode_32 0
		.amdhsa_float_round_mode_16_64 0
		.amdhsa_float_denorm_mode_32 3
		.amdhsa_float_denorm_mode_16_64 3
		.amdhsa_dx10_clamp 1
		.amdhsa_ieee_mode 1
		.amdhsa_fp16_overflow 0
		.amdhsa_tg_split 0
		.amdhsa_exception_fp_ieee_invalid_op 0
		.amdhsa_exception_fp_denorm_src 0
		.amdhsa_exception_fp_ieee_div_zero 0
		.amdhsa_exception_fp_ieee_overflow 0
		.amdhsa_exception_fp_ieee_underflow 0
		.amdhsa_exception_fp_ieee_inexact 0
		.amdhsa_exception_int_div_zero 0
	.end_amdhsa_kernel
	.section	.text._ZL24dequantize_block_iq2_xxsIN3c104HalfEEvPKvPT_,"axG",@progbits,_ZL24dequantize_block_iq2_xxsIN3c104HalfEEvPKvPT_,comdat
.Lfunc_end29:
	.size	_ZL24dequantize_block_iq2_xxsIN3c104HalfEEvPKvPT_, .Lfunc_end29-_ZL24dequantize_block_iq2_xxsIN3c104HalfEEvPKvPT_
                                        ; -- End function
	.set _ZL24dequantize_block_iq2_xxsIN3c104HalfEEvPKvPT_.num_vgpr, 19
	.set _ZL24dequantize_block_iq2_xxsIN3c104HalfEEvPKvPT_.num_agpr, 0
	.set _ZL24dequantize_block_iq2_xxsIN3c104HalfEEvPKvPT_.numbered_sgpr, 8
	.set _ZL24dequantize_block_iq2_xxsIN3c104HalfEEvPKvPT_.num_named_barrier, 0
	.set _ZL24dequantize_block_iq2_xxsIN3c104HalfEEvPKvPT_.private_seg_size, 0
	.set _ZL24dequantize_block_iq2_xxsIN3c104HalfEEvPKvPT_.uses_vcc, 1
	.set _ZL24dequantize_block_iq2_xxsIN3c104HalfEEvPKvPT_.uses_flat_scratch, 0
	.set _ZL24dequantize_block_iq2_xxsIN3c104HalfEEvPKvPT_.has_dyn_sized_stack, 0
	.set _ZL24dequantize_block_iq2_xxsIN3c104HalfEEvPKvPT_.has_recursion, 0
	.set _ZL24dequantize_block_iq2_xxsIN3c104HalfEEvPKvPT_.has_indirect_call, 0
	.section	.AMDGPU.csdata,"",@progbits
; Kernel info:
; codeLenInByte = 504
; TotalNumSgprs: 14
; NumVgprs: 19
; NumAgprs: 0
; TotalNumVgprs: 19
; ScratchSize: 0
; MemoryBound: 0
; FloatMode: 240
; IeeeMode: 1
; LDSByteSize: 0 bytes/workgroup (compile time only)
; SGPRBlocks: 1
; VGPRBlocks: 2
; NumSGPRsForWavesPerEU: 14
; NumVGPRsForWavesPerEU: 19
; AccumOffset: 20
; Occupancy: 8
; WaveLimiterHint : 0
; COMPUTE_PGM_RSRC2:SCRATCH_EN: 0
; COMPUTE_PGM_RSRC2:USER_SGPR: 2
; COMPUTE_PGM_RSRC2:TRAP_HANDLER: 0
; COMPUTE_PGM_RSRC2:TGID_X_EN: 1
; COMPUTE_PGM_RSRC2:TGID_Y_EN: 0
; COMPUTE_PGM_RSRC2:TGID_Z_EN: 0
; COMPUTE_PGM_RSRC2:TIDIG_COMP_CNT: 0
; COMPUTE_PGM_RSRC3_GFX90A:ACCUM_OFFSET: 4
; COMPUTE_PGM_RSRC3_GFX90A:TG_SPLIT: 0
	.section	.text._ZL23dequantize_block_iq2_xsIN3c104HalfEEvPKvPT_,"axG",@progbits,_ZL23dequantize_block_iq2_xsIN3c104HalfEEvPKvPT_,comdat
	.globl	_ZL23dequantize_block_iq2_xsIN3c104HalfEEvPKvPT_ ; -- Begin function _ZL23dequantize_block_iq2_xsIN3c104HalfEEvPKvPT_
	.p2align	8
	.type	_ZL23dequantize_block_iq2_xsIN3c104HalfEEvPKvPT_,@function
_ZL23dequantize_block_iq2_xsIN3c104HalfEEvPKvPT_: ; @_ZL23dequantize_block_iq2_xsIN3c104HalfEEvPKvPT_
; %bb.0:
	s_load_dwordx4 s[4:7], s[0:1], 0x0
	s_lshl_b32 s0, s2, 8
	s_mov_b32 s1, 0
	s_lshl_b64 s[0:1], s[0:1], 1
	v_and_b32_e32 v8, 7, v0
	s_waitcnt lgkmcnt(0)
	s_add_u32 s0, s6, s0
	s_addc_u32 s1, s7, s1
	v_lshlrev_b32_e32 v2, 6, v8
	v_mov_b32_e32 v3, 0
	v_lshl_add_u64 v[4:5], s[0:1], 0, v[2:3]
	v_and_b32_e32 v1, 0x3f8, v0
	s_mul_hi_u32 s1, s2, 0x4a
	s_mulk_i32 s2, 0x4a
	v_lshlrev_b32_e32 v2, 1, v1
	s_add_u32 s0, s4, s2
	v_lshl_add_u64 v[4:5], v[4:5], 0, v[2:3]
	s_addc_u32 s1, s5, s1
	v_lshlrev_b32_e32 v2, 3, v8
	v_lshrrev_b32_e32 v9, 2, v0
	v_lshl_add_u64 v[6:7], s[0:1], 0, v[2:3]
	v_and_b32_e32 v2, 0xfe, v9
	v_lshl_add_u64 v[0:1], v[6:7], 0, v[2:3]
	global_load_ushort v6, v[0:1], off offset:2
	global_load_ushort v7, v3, s[0:1]
	global_load_ubyte v10, v8, s[0:1] offset:66
	v_mov_b32_e32 v0, 3
	s_getpc_b64 s[2:3]
	s_add_u32 s2, s2, _ZL10iq2xs_grid@rel32@lo+4
	s_addc_u32 s3, s3, _ZL10iq2xs_grid@rel32@hi+12
	s_getpc_b64 s[4:5]
	s_add_u32 s4, s4, _ZL12ksigns_iq2xs@rel32@lo+4
	s_addc_u32 s5, s5, _ZL12ksigns_iq2xs@rel32@hi+12
	s_waitcnt vmcnt(2)
	v_and_b32_e32 v1, 0x1ff, v6
	v_lshrrev_b16_e32 v2, 9, v6
	v_lshlrev_b32_sdwa v8, v0, v1 dst_sel:DWORD dst_unused:UNUSED_PAD src0_sel:DWORD src1_sel:WORD_0
	v_lshl_add_u64 v[0:1], s[4:5], 0, v[2:3]
	global_load_dwordx2 v[2:3], v8, s[2:3]
	global_load_sbyte v11, v[0:1], off
	v_and_b32_e32 v0, 0xfc, v9
	s_waitcnt vmcnt(3)
	v_cvt_f32_f16_e32 v1, v7
	s_waitcnt vmcnt(2)
	v_bfe_u32 v0, v10, v0, 4
	v_cvt_f32_ubyte0_e32 v0, v0
	v_add_f32_e32 v0, 0.5, v0
	v_mul_f32_e32 v0, v0, v1
	v_mul_f32_e32 v0, 0x3e800000, v0
	s_waitcnt vmcnt(1)
	v_cvt_f32_ubyte0_e32 v1, v2
	s_waitcnt vmcnt(0)
	v_and_b32_e32 v7, 1, v11
	v_cvt_f32_ubyte1_e32 v8, v2
	v_and_b32_e32 v9, 2, v11
	v_mul_f32_e32 v1, v0, v1
	v_cmp_eq_u16_e32 vcc, 0, v7
	v_cvt_f32_ubyte2_e32 v10, v2
	v_and_b32_e32 v12, 4, v11
	v_mul_f32_e32 v8, v0, v8
	v_cndmask_b32_e64 v7, -v1, v1, vcc
	v_cmp_eq_u16_e32 vcc, 0, v9
	v_cvt_f32_ubyte3_e32 v2, v2
	v_and_b32_e32 v13, 8, v11
	v_mul_f32_e32 v10, v0, v10
	v_cndmask_b32_e64 v8, -v8, v8, vcc
	v_cmp_eq_u16_e32 vcc, 0, v12
	v_cvt_f32_ubyte0_e32 v14, v3
	v_and_b32_e32 v15, 16, v11
	v_mul_f32_e32 v2, v0, v2
	v_cndmask_b32_e64 v1, -v10, v10, vcc
	v_cmp_eq_u16_e32 vcc, 0, v13
	v_cvt_f32_ubyte1_e32 v16, v3
	v_and_b32_e32 v17, 32, v11
	v_mul_f32_e32 v14, v0, v14
	v_cndmask_b32_e64 v9, -v2, v2, vcc
	v_cmp_eq_u16_e32 vcc, 0, v15
	v_cvt_f32_ubyte2_e32 v18, v3
	v_mul_f32_e32 v16, v0, v16
	v_cndmask_b32_e64 v2, -v14, v14, vcc
	v_cmp_eq_u16_e32 vcc, 0, v17
	v_cvt_f32_ubyte3_e32 v3, v3
	v_mul_f32_e32 v18, v0, v18
	v_cndmask_b32_e64 v10, -v16, v16, vcc
	v_cmp_gt_i16_e32 vcc, 0, v6
	v_mul_f32_e32 v0, v0, v3
	v_cvt_pk_f16_f32 v2, v2, v10
	v_cndmask_b32_e64 v3, v18, -v18, vcc
	v_cmp_gt_i16_e32 vcc, 0, v11
	v_cvt_pk_f16_f32 v1, v1, v9
	s_nop 0
	v_cndmask_b32_e64 v0, v0, -v0, vcc
	v_cvt_pk_f16_f32 v3, v3, v0
	v_cvt_pk_f16_f32 v0, v7, v8
	global_store_dwordx4 v[4:5], v[0:3], off
	s_endpgm
	.section	.rodata,"a",@progbits
	.p2align	6, 0x0
	.amdhsa_kernel _ZL23dequantize_block_iq2_xsIN3c104HalfEEvPKvPT_
		.amdhsa_group_segment_fixed_size 0
		.amdhsa_private_segment_fixed_size 0
		.amdhsa_kernarg_size 16
		.amdhsa_user_sgpr_count 2
		.amdhsa_user_sgpr_dispatch_ptr 0
		.amdhsa_user_sgpr_queue_ptr 0
		.amdhsa_user_sgpr_kernarg_segment_ptr 1
		.amdhsa_user_sgpr_dispatch_id 0
		.amdhsa_user_sgpr_kernarg_preload_length 0
		.amdhsa_user_sgpr_kernarg_preload_offset 0
		.amdhsa_user_sgpr_private_segment_size 0
		.amdhsa_uses_dynamic_stack 0
		.amdhsa_enable_private_segment 0
		.amdhsa_system_sgpr_workgroup_id_x 1
		.amdhsa_system_sgpr_workgroup_id_y 0
		.amdhsa_system_sgpr_workgroup_id_z 0
		.amdhsa_system_sgpr_workgroup_info 0
		.amdhsa_system_vgpr_workitem_id 0
		.amdhsa_next_free_vgpr 19
		.amdhsa_next_free_sgpr 8
		.amdhsa_accum_offset 20
		.amdhsa_reserve_vcc 1
		.amdhsa_float_round_mode_32 0
		.amdhsa_float_round_mode_16_64 0
		.amdhsa_float_denorm_mode_32 3
		.amdhsa_float_denorm_mode_16_64 3
		.amdhsa_dx10_clamp 1
		.amdhsa_ieee_mode 1
		.amdhsa_fp16_overflow 0
		.amdhsa_tg_split 0
		.amdhsa_exception_fp_ieee_invalid_op 0
		.amdhsa_exception_fp_denorm_src 0
		.amdhsa_exception_fp_ieee_div_zero 0
		.amdhsa_exception_fp_ieee_overflow 0
		.amdhsa_exception_fp_ieee_underflow 0
		.amdhsa_exception_fp_ieee_inexact 0
		.amdhsa_exception_int_div_zero 0
	.end_amdhsa_kernel
	.section	.text._ZL23dequantize_block_iq2_xsIN3c104HalfEEvPKvPT_,"axG",@progbits,_ZL23dequantize_block_iq2_xsIN3c104HalfEEvPKvPT_,comdat
.Lfunc_end30:
	.size	_ZL23dequantize_block_iq2_xsIN3c104HalfEEvPKvPT_, .Lfunc_end30-_ZL23dequantize_block_iq2_xsIN3c104HalfEEvPKvPT_
                                        ; -- End function
	.set _ZL23dequantize_block_iq2_xsIN3c104HalfEEvPKvPT_.num_vgpr, 19
	.set _ZL23dequantize_block_iq2_xsIN3c104HalfEEvPKvPT_.num_agpr, 0
	.set _ZL23dequantize_block_iq2_xsIN3c104HalfEEvPKvPT_.numbered_sgpr, 8
	.set _ZL23dequantize_block_iq2_xsIN3c104HalfEEvPKvPT_.num_named_barrier, 0
	.set _ZL23dequantize_block_iq2_xsIN3c104HalfEEvPKvPT_.private_seg_size, 0
	.set _ZL23dequantize_block_iq2_xsIN3c104HalfEEvPKvPT_.uses_vcc, 1
	.set _ZL23dequantize_block_iq2_xsIN3c104HalfEEvPKvPT_.uses_flat_scratch, 0
	.set _ZL23dequantize_block_iq2_xsIN3c104HalfEEvPKvPT_.has_dyn_sized_stack, 0
	.set _ZL23dequantize_block_iq2_xsIN3c104HalfEEvPKvPT_.has_recursion, 0
	.set _ZL23dequantize_block_iq2_xsIN3c104HalfEEvPKvPT_.has_indirect_call, 0
	.section	.AMDGPU.csdata,"",@progbits
; Kernel info:
; codeLenInByte = 528
; TotalNumSgprs: 14
; NumVgprs: 19
; NumAgprs: 0
; TotalNumVgprs: 19
; ScratchSize: 0
; MemoryBound: 0
; FloatMode: 240
; IeeeMode: 1
; LDSByteSize: 0 bytes/workgroup (compile time only)
; SGPRBlocks: 1
; VGPRBlocks: 2
; NumSGPRsForWavesPerEU: 14
; NumVGPRsForWavesPerEU: 19
; AccumOffset: 20
; Occupancy: 8
; WaveLimiterHint : 0
; COMPUTE_PGM_RSRC2:SCRATCH_EN: 0
; COMPUTE_PGM_RSRC2:USER_SGPR: 2
; COMPUTE_PGM_RSRC2:TRAP_HANDLER: 0
; COMPUTE_PGM_RSRC2:TGID_X_EN: 1
; COMPUTE_PGM_RSRC2:TGID_Y_EN: 0
; COMPUTE_PGM_RSRC2:TGID_Z_EN: 0
; COMPUTE_PGM_RSRC2:TIDIG_COMP_CNT: 0
; COMPUTE_PGM_RSRC3_GFX90A:ACCUM_OFFSET: 4
; COMPUTE_PGM_RSRC3_GFX90A:TG_SPLIT: 0
	.section	.text._ZL24dequantize_block_iq3_xxsIN3c104HalfEEvPKvPT_,"axG",@progbits,_ZL24dequantize_block_iq3_xxsIN3c104HalfEEvPKvPT_,comdat
	.globl	_ZL24dequantize_block_iq3_xxsIN3c104HalfEEvPKvPT_ ; -- Begin function _ZL24dequantize_block_iq3_xxsIN3c104HalfEEvPKvPT_
	.p2align	8
	.type	_ZL24dequantize_block_iq3_xxsIN3c104HalfEEvPKvPT_,@function
_ZL24dequantize_block_iq3_xxsIN3c104HalfEEvPKvPT_: ; @_ZL24dequantize_block_iq3_xxsIN3c104HalfEEvPKvPT_
; %bb.0:
	s_load_dwordx4 s[4:7], s[0:1], 0x0
	s_lshl_b32 s0, s2, 8
	s_mov_b32 s1, 0
	s_lshl_b64 s[0:1], s[0:1], 1
	v_and_b32_e32 v7, 7, v0
	s_waitcnt lgkmcnt(0)
	s_add_u32 s0, s6, s0
	s_addc_u32 s1, s7, s1
	v_lshlrev_b32_e32 v2, 6, v7
	v_mov_b32_e32 v3, 0
	v_lshrrev_b32_e32 v6, 3, v0
	v_lshl_add_u64 v[4:5], s[0:1], 0, v[2:3]
	v_and_b32_e32 v0, 0x3f8, v0
	s_mul_hi_u32 s1, s2, 0x62
	s_mulk_i32 s2, 0x62
	v_lshlrev_b32_e32 v2, 1, v0
	s_add_u32 s0, s4, s2
	v_lshl_add_u64 v[4:5], v[4:5], 0, v[2:3]
	s_addc_u32 s1, s5, s1
	v_lshlrev_b32_e32 v2, 3, v7
	v_lshl_add_u64 v[0:1], s[0:1], 0, v[2:3]
	v_lshlrev_b32_e32 v2, 1, v6
	v_lshl_add_u64 v[0:1], v[0:1], 0, v[2:3]
	v_lshlrev_b32_e32 v7, 2, v7
	global_load_ushort v2, v[0:1], off offset:2
	global_load_ushort v8, v3, s[0:1]
	global_load_dword v9, v7, s[0:1] offset:66
	v_mov_b32_e32 v0, 2
	s_getpc_b64 s[0:1]
	s_add_u32 s0, s0, _ZL11iq3xxs_grid@rel32@lo+4
	s_addc_u32 s1, s1, _ZL11iq3xxs_grid@rel32@hi+12
	v_mul_u32_u24_e32 v1, 7, v6
	s_getpc_b64 s[2:3]
	s_add_u32 s2, s2, _ZL12ksigns_iq2xs@rel32@lo+4
	s_addc_u32 s3, s3, _ZL12ksigns_iq2xs@rel32@hi+12
	s_waitcnt vmcnt(2)
	v_lshlrev_b32_sdwa v3, v0, v2 dst_sel:DWORD dst_unused:UNUSED_PAD src0_sel:DWORD src1_sel:BYTE_0
	v_lshlrev_b32_sdwa v0, v0, v2 dst_sel:DWORD dst_unused:UNUSED_PAD src0_sel:DWORD src1_sel:BYTE_1
	s_waitcnt vmcnt(0)
	v_bfe_u32 v1, v9, v1, 7
	global_load_dword v2, v3, s[0:1]
	global_load_sbyte v6, v1, s[2:3]
	global_load_dword v7, v0, s[0:1]
	v_cvt_f32_f16_e32 v0, v8
	v_lshrrev_b32_e32 v3, 28, v9
	v_cvt_f32_ubyte0_e32 v3, v3
	v_add_f32_e32 v3, 0.5, v3
	v_mul_f32_e32 v0, v3, v0
	v_mul_f32_e32 v0, 0.5, v0
	s_waitcnt vmcnt(2)
	v_cvt_f32_ubyte0_e32 v3, v2
	s_waitcnt vmcnt(1)
	v_and_b32_e32 v8, 1, v6
	s_waitcnt vmcnt(0)
	v_cvt_f32_ubyte0_e32 v9, v7
	v_and_b32_e32 v10, 16, v6
	v_cvt_f32_ubyte1_e32 v11, v2
	v_cvt_f32_ubyte1_e32 v13, v7
	v_cvt_f32_ubyte2_e32 v15, v2
	v_cvt_f32_ubyte2_e32 v17, v7
	v_cvt_f32_ubyte3_e32 v2, v2
	v_cvt_f32_ubyte3_e32 v7, v7
	v_mul_f32_e32 v3, v0, v3
	v_cmp_eq_u16_e32 vcc, 0, v8
	v_and_b32_e32 v12, 2, v6
	v_mul_f32_e32 v9, v0, v9
	v_mul_f32_e32 v11, v0, v11
	;; [unrolled: 1-line block ×7, first 2 shown]
	v_cndmask_b32_e64 v7, -v3, v3, vcc
	v_cmp_eq_u16_e32 vcc, 0, v10
	v_and_b32_e32 v14, 32, v6
	v_and_b32_e32 v16, 4, v6
	v_cndmask_b32_e64 v8, -v9, v9, vcc
	v_cmp_eq_u16_e32 vcc, 0, v12
	v_and_b32_e32 v18, 8, v6
	s_nop 0
	v_cndmask_b32_e64 v9, -v11, v11, vcc
	v_cmp_eq_u16_e32 vcc, 0, v14
	s_nop 1
	v_cndmask_b32_e64 v10, -v13, v13, vcc
	v_cmp_eq_u16_e32 vcc, 0, v16
	s_nop 1
	v_cndmask_b32_e64 v11, -v15, v15, vcc
	v_cmp_gt_u32_e32 vcc, 64, v1
	s_nop 1
	v_cndmask_b32_e64 v1, -v17, v17, vcc
	v_cmp_eq_u16_e32 vcc, 0, v18
	s_nop 1
	v_cndmask_b32_e64 v12, -v2, v2, vcc
	v_cmp_gt_i16_e32 vcc, 0, v6
	v_cvt_pk_f16_f32 v2, v8, v10
	s_nop 0
	v_cndmask_b32_e64 v0, v0, -v0, vcc
	v_cvt_pk_f16_f32 v3, v1, v0
	v_cvt_pk_f16_f32 v1, v11, v12
	;; [unrolled: 1-line block ×3, first 2 shown]
	global_store_dwordx4 v[4:5], v[0:3], off
	s_endpgm
	.section	.rodata,"a",@progbits
	.p2align	6, 0x0
	.amdhsa_kernel _ZL24dequantize_block_iq3_xxsIN3c104HalfEEvPKvPT_
		.amdhsa_group_segment_fixed_size 0
		.amdhsa_private_segment_fixed_size 0
		.amdhsa_kernarg_size 16
		.amdhsa_user_sgpr_count 2
		.amdhsa_user_sgpr_dispatch_ptr 0
		.amdhsa_user_sgpr_queue_ptr 0
		.amdhsa_user_sgpr_kernarg_segment_ptr 1
		.amdhsa_user_sgpr_dispatch_id 0
		.amdhsa_user_sgpr_kernarg_preload_length 0
		.amdhsa_user_sgpr_kernarg_preload_offset 0
		.amdhsa_user_sgpr_private_segment_size 0
		.amdhsa_uses_dynamic_stack 0
		.amdhsa_enable_private_segment 0
		.amdhsa_system_sgpr_workgroup_id_x 1
		.amdhsa_system_sgpr_workgroup_id_y 0
		.amdhsa_system_sgpr_workgroup_id_z 0
		.amdhsa_system_sgpr_workgroup_info 0
		.amdhsa_system_vgpr_workitem_id 0
		.amdhsa_next_free_vgpr 19
		.amdhsa_next_free_sgpr 8
		.amdhsa_accum_offset 20
		.amdhsa_reserve_vcc 1
		.amdhsa_float_round_mode_32 0
		.amdhsa_float_round_mode_16_64 0
		.amdhsa_float_denorm_mode_32 3
		.amdhsa_float_denorm_mode_16_64 3
		.amdhsa_dx10_clamp 1
		.amdhsa_ieee_mode 1
		.amdhsa_fp16_overflow 0
		.amdhsa_tg_split 0
		.amdhsa_exception_fp_ieee_invalid_op 0
		.amdhsa_exception_fp_denorm_src 0
		.amdhsa_exception_fp_ieee_div_zero 0
		.amdhsa_exception_fp_ieee_overflow 0
		.amdhsa_exception_fp_ieee_underflow 0
		.amdhsa_exception_fp_ieee_inexact 0
		.amdhsa_exception_int_div_zero 0
	.end_amdhsa_kernel
	.section	.text._ZL24dequantize_block_iq3_xxsIN3c104HalfEEvPKvPT_,"axG",@progbits,_ZL24dequantize_block_iq3_xxsIN3c104HalfEEvPKvPT_,comdat
.Lfunc_end31:
	.size	_ZL24dequantize_block_iq3_xxsIN3c104HalfEEvPKvPT_, .Lfunc_end31-_ZL24dequantize_block_iq3_xxsIN3c104HalfEEvPKvPT_
                                        ; -- End function
	.set _ZL24dequantize_block_iq3_xxsIN3c104HalfEEvPKvPT_.num_vgpr, 19
	.set _ZL24dequantize_block_iq3_xxsIN3c104HalfEEvPKvPT_.num_agpr, 0
	.set _ZL24dequantize_block_iq3_xxsIN3c104HalfEEvPKvPT_.numbered_sgpr, 8
	.set _ZL24dequantize_block_iq3_xxsIN3c104HalfEEvPKvPT_.num_named_barrier, 0
	.set _ZL24dequantize_block_iq3_xxsIN3c104HalfEEvPKvPT_.private_seg_size, 0
	.set _ZL24dequantize_block_iq3_xxsIN3c104HalfEEvPKvPT_.uses_vcc, 1
	.set _ZL24dequantize_block_iq3_xxsIN3c104HalfEEvPKvPT_.uses_flat_scratch, 0
	.set _ZL24dequantize_block_iq3_xxsIN3c104HalfEEvPKvPT_.has_dyn_sized_stack, 0
	.set _ZL24dequantize_block_iq3_xxsIN3c104HalfEEvPKvPT_.has_recursion, 0
	.set _ZL24dequantize_block_iq3_xxsIN3c104HalfEEvPKvPT_.has_indirect_call, 0
	.section	.AMDGPU.csdata,"",@progbits
; Kernel info:
; codeLenInByte = 540
; TotalNumSgprs: 14
; NumVgprs: 19
; NumAgprs: 0
; TotalNumVgprs: 19
; ScratchSize: 0
; MemoryBound: 0
; FloatMode: 240
; IeeeMode: 1
; LDSByteSize: 0 bytes/workgroup (compile time only)
; SGPRBlocks: 1
; VGPRBlocks: 2
; NumSGPRsForWavesPerEU: 14
; NumVGPRsForWavesPerEU: 19
; AccumOffset: 20
; Occupancy: 8
; WaveLimiterHint : 0
; COMPUTE_PGM_RSRC2:SCRATCH_EN: 0
; COMPUTE_PGM_RSRC2:USER_SGPR: 2
; COMPUTE_PGM_RSRC2:TRAP_HANDLER: 0
; COMPUTE_PGM_RSRC2:TGID_X_EN: 1
; COMPUTE_PGM_RSRC2:TGID_Y_EN: 0
; COMPUTE_PGM_RSRC2:TGID_Z_EN: 0
; COMPUTE_PGM_RSRC2:TIDIG_COMP_CNT: 0
; COMPUTE_PGM_RSRC3_GFX90A:ACCUM_OFFSET: 4
; COMPUTE_PGM_RSRC3_GFX90A:TG_SPLIT: 0
	.section	.text._ZL22dequantize_block_iq1_sIN3c104HalfEEvPKvPT_,"axG",@progbits,_ZL22dequantize_block_iq1_sIN3c104HalfEEvPKvPT_,comdat
	.globl	_ZL22dequantize_block_iq1_sIN3c104HalfEEvPKvPT_ ; -- Begin function _ZL22dequantize_block_iq1_sIN3c104HalfEEvPKvPT_
	.p2align	8
	.type	_ZL22dequantize_block_iq1_sIN3c104HalfEEvPKvPT_,@function
_ZL22dequantize_block_iq1_sIN3c104HalfEEvPKvPT_: ; @_ZL22dequantize_block_iq1_sIN3c104HalfEEvPKvPT_
; %bb.0:
	s_load_dwordx4 s[4:7], s[0:1], 0x0
	s_mov_b32 s3, 0
	s_lshl_b64 s[0:1], s[2:3], 9
	s_mul_hi_u32 s3, s2, 50
	s_mul_i32 s2, s2, 50
	s_waitcnt lgkmcnt(0)
	s_add_u32 s0, s6, s0
	s_addc_u32 s1, s7, s1
	v_mov_b32_e32 v3, 0
	v_and_b32_e32 v8, 7, v0
	s_add_u32 s2, s4, s2
	s_addc_u32 s3, s5, s3
	v_lshlrev_b32_e32 v4, 1, v8
	v_mov_b32_e32 v5, v3
	v_lshl_add_u64 v[6:7], s[2:3], 0, v[4:5]
	v_lshrrev_b32_e32 v2, 3, v0
	v_lshl_add_u64 v[6:7], v[6:7], 0, v[4:5]
	v_lshl_add_u64 v[6:7], v[6:7], 0, v[2:3]
	global_load_ushort v9, v4, s[2:3] offset:34
	global_load_ushort v10, v3, s[2:3]
	global_load_ubyte v1, v[6:7], off offset:2
	v_mul_u32_u24_e32 v2, 3, v2
	s_movk_i32 s4, 0x700
	s_getpc_b64 s[2:3]
	s_add_u32 s2, s2, _ZL13iq1s_grid_gpu@rel32@lo+4
	s_addc_u32 s3, s3, _ZL13iq1s_grid_gpu@rel32@hi+12
	v_mov_b32_e32 v7, 0xbf900000
	v_mov_b32_e32 v11, 0xbf600000
	s_waitcnt vmcnt(2)
	v_lshrrev_b32_sdwa v2, v2, v9 dst_sel:DWORD dst_unused:UNUSED_PAD src0_sel:DWORD src1_sel:WORD_0
	v_lshlrev_b32_e32 v2, 8, v2
	s_waitcnt vmcnt(0)
	v_and_or_b32 v1, v2, s4, v1
	v_lshlrev_b32_e32 v1, 3, v1
	global_load_dword v6, v1, s[2:3]
	v_mov_b32_e32 v1, v3
	v_and_b32_e32 v2, 0x3f8, v0
	v_lshlrev_b32_e32 v0, 6, v8
	v_lshlrev_b32_e32 v2, 1, v2
	v_lshl_add_u64 v[0:1], s[0:1], 0, v[0:1]
	v_lshl_add_u64 v[4:5], v[0:1], 0, v[2:3]
	v_cvt_f32_f16_e32 v1, v10
	v_lshrrev_b16_e32 v2, 11, v9
	v_bitop3_b16 v2, v2, 1, 14 bitop3:0xec
	v_cmp_lt_i16_e32 vcc, -1, v9
	v_cvt_f32_ubyte0_e32 v2, v2
	v_mul_f32_e32 v2, v1, v2
	v_cndmask_b32_e32 v0, v7, v11, vcc
	s_waitcnt vmcnt(0)
	v_and_b32_e32 v1, 0xf0f0f0f, v6
	v_bfe_u32 v3, v6, 8, 4
	v_and_b32_e32 v8, 15, v6
	v_bfe_u32 v10, v6, 16, 4
	v_bfe_u32 v11, v6, 4, 4
	;; [unrolled: 1-line block ×4, first 2 shown]
	v_lshrrev_b32_e32 v14, 28, v6
	v_cvt_f32_ubyte0_e32 v7, v3
	v_cvt_f32_ubyte0_e32 v6, v8
	v_cvt_f32_ubyte3_e32 v9, v1
	v_cvt_f32_ubyte0_e32 v8, v10
	v_cvt_f32_ubyte0_e32 v1, v11
	;; [unrolled: 1-line block ×5, first 2 shown]
	v_pk_add_f32 v[8:9], v[0:1], v[8:9] op_sel_hi:[0,1]
	v_pk_add_f32 v[6:7], v[0:1], v[6:7] op_sel_hi:[0,1]
	;; [unrolled: 1-line block ×3, first 2 shown]
	v_add_f32_e32 v12, v0, v1
	v_add_f32_e32 v13, v0, v3
	v_pk_mul_f32 v[6:7], v[2:3], v[6:7] op_sel_hi:[0,1]
	v_pk_mul_f32 v[0:1], v[2:3], v[8:9] op_sel_hi:[0,1]
	;; [unrolled: 1-line block ×3, first 2 shown]
	v_cvt_pk_f16_f32 v1, v0, v1
	v_cvt_pk_f16_f32 v0, v6, v7
	;; [unrolled: 1-line block ×3, first 2 shown]
	v_fma_mixlo_f16 v12, v2, v12, 0
	v_lshrrev_b32_e32 v3, 16, v6
	v_fma_mixhi_f16 v3, v2, v13, 0
	v_pack_b32_f16 v2, v12, v6
	global_store_dwordx4 v[4:5], v[0:3], off
	s_endpgm
	.section	.rodata,"a",@progbits
	.p2align	6, 0x0
	.amdhsa_kernel _ZL22dequantize_block_iq1_sIN3c104HalfEEvPKvPT_
		.amdhsa_group_segment_fixed_size 0
		.amdhsa_private_segment_fixed_size 0
		.amdhsa_kernarg_size 16
		.amdhsa_user_sgpr_count 2
		.amdhsa_user_sgpr_dispatch_ptr 0
		.amdhsa_user_sgpr_queue_ptr 0
		.amdhsa_user_sgpr_kernarg_segment_ptr 1
		.amdhsa_user_sgpr_dispatch_id 0
		.amdhsa_user_sgpr_kernarg_preload_length 0
		.amdhsa_user_sgpr_kernarg_preload_offset 0
		.amdhsa_user_sgpr_private_segment_size 0
		.amdhsa_uses_dynamic_stack 0
		.amdhsa_enable_private_segment 0
		.amdhsa_system_sgpr_workgroup_id_x 1
		.amdhsa_system_sgpr_workgroup_id_y 0
		.amdhsa_system_sgpr_workgroup_id_z 0
		.amdhsa_system_sgpr_workgroup_info 0
		.amdhsa_system_vgpr_workitem_id 0
		.amdhsa_next_free_vgpr 15
		.amdhsa_next_free_sgpr 8
		.amdhsa_accum_offset 16
		.amdhsa_reserve_vcc 1
		.amdhsa_float_round_mode_32 0
		.amdhsa_float_round_mode_16_64 0
		.amdhsa_float_denorm_mode_32 3
		.amdhsa_float_denorm_mode_16_64 3
		.amdhsa_dx10_clamp 1
		.amdhsa_ieee_mode 1
		.amdhsa_fp16_overflow 0
		.amdhsa_tg_split 0
		.amdhsa_exception_fp_ieee_invalid_op 0
		.amdhsa_exception_fp_denorm_src 0
		.amdhsa_exception_fp_ieee_div_zero 0
		.amdhsa_exception_fp_ieee_overflow 0
		.amdhsa_exception_fp_ieee_underflow 0
		.amdhsa_exception_fp_ieee_inexact 0
		.amdhsa_exception_int_div_zero 0
	.end_amdhsa_kernel
	.section	.text._ZL22dequantize_block_iq1_sIN3c104HalfEEvPKvPT_,"axG",@progbits,_ZL22dequantize_block_iq1_sIN3c104HalfEEvPKvPT_,comdat
.Lfunc_end32:
	.size	_ZL22dequantize_block_iq1_sIN3c104HalfEEvPKvPT_, .Lfunc_end32-_ZL22dequantize_block_iq1_sIN3c104HalfEEvPKvPT_
                                        ; -- End function
	.set _ZL22dequantize_block_iq1_sIN3c104HalfEEvPKvPT_.num_vgpr, 15
	.set _ZL22dequantize_block_iq1_sIN3c104HalfEEvPKvPT_.num_agpr, 0
	.set _ZL22dequantize_block_iq1_sIN3c104HalfEEvPKvPT_.numbered_sgpr, 8
	.set _ZL22dequantize_block_iq1_sIN3c104HalfEEvPKvPT_.num_named_barrier, 0
	.set _ZL22dequantize_block_iq1_sIN3c104HalfEEvPKvPT_.private_seg_size, 0
	.set _ZL22dequantize_block_iq1_sIN3c104HalfEEvPKvPT_.uses_vcc, 1
	.set _ZL22dequantize_block_iq1_sIN3c104HalfEEvPKvPT_.uses_flat_scratch, 0
	.set _ZL22dequantize_block_iq1_sIN3c104HalfEEvPKvPT_.has_dyn_sized_stack, 0
	.set _ZL22dequantize_block_iq1_sIN3c104HalfEEvPKvPT_.has_recursion, 0
	.set _ZL22dequantize_block_iq1_sIN3c104HalfEEvPKvPT_.has_indirect_call, 0
	.section	.AMDGPU.csdata,"",@progbits
; Kernel info:
; codeLenInByte = 476
; TotalNumSgprs: 14
; NumVgprs: 15
; NumAgprs: 0
; TotalNumVgprs: 15
; ScratchSize: 0
; MemoryBound: 0
; FloatMode: 240
; IeeeMode: 1
; LDSByteSize: 0 bytes/workgroup (compile time only)
; SGPRBlocks: 1
; VGPRBlocks: 1
; NumSGPRsForWavesPerEU: 14
; NumVGPRsForWavesPerEU: 15
; AccumOffset: 16
; Occupancy: 8
; WaveLimiterHint : 0
; COMPUTE_PGM_RSRC2:SCRATCH_EN: 0
; COMPUTE_PGM_RSRC2:USER_SGPR: 2
; COMPUTE_PGM_RSRC2:TRAP_HANDLER: 0
; COMPUTE_PGM_RSRC2:TGID_X_EN: 1
; COMPUTE_PGM_RSRC2:TGID_Y_EN: 0
; COMPUTE_PGM_RSRC2:TGID_Z_EN: 0
; COMPUTE_PGM_RSRC2:TIDIG_COMP_CNT: 0
; COMPUTE_PGM_RSRC3_GFX90A:ACCUM_OFFSET: 3
; COMPUTE_PGM_RSRC3_GFX90A:TG_SPLIT: 0
	.section	.text._ZL23dequantize_block_iq4_nlIN3c104HalfEEvPKvPT_,"axG",@progbits,_ZL23dequantize_block_iq4_nlIN3c104HalfEEvPKvPT_,comdat
	.globl	_ZL23dequantize_block_iq4_nlIN3c104HalfEEvPKvPT_ ; -- Begin function _ZL23dequantize_block_iq4_nlIN3c104HalfEEvPKvPT_
	.p2align	8
	.type	_ZL23dequantize_block_iq4_nlIN3c104HalfEEvPKvPT_,@function
_ZL23dequantize_block_iq4_nlIN3c104HalfEEvPKvPT_: ; @_ZL23dequantize_block_iq4_nlIN3c104HalfEEvPKvPT_
; %bb.0:
	s_load_dwordx4 s[4:7], s[0:1], 0x0
	s_lshl_b32 s0, s2, 3
	s_mul_i32 s1, s2, 0x90
	s_mul_hi_u32 s3, s0, 18
	v_and_b32_e32 v1, 7, v0
	s_waitcnt lgkmcnt(0)
	s_add_u32 s0, s4, s1
	s_addc_u32 s1, s5, s3
	s_lshl_b32 s2, s2, 8
	s_mov_b32 s3, 0
	s_lshl_b64 s[4:5], s[2:3], 1
	s_add_u32 s4, s6, s4
	s_addc_u32 s5, s7, s5
	v_lshlrev_b32_e32 v2, 6, v1
	v_mov_b32_e32 v3, 0
	v_lshrrev_b32_e32 v0, 1, v0
	v_lshl_add_u64 v[4:5], s[4:5], 0, v[2:3]
	v_and_b32_e32 v2, 0x1fc, v0
	v_mad_u64_u32 v[0:1], s[0:1], v1, 18, s[0:1]
	v_lshl_add_u64 v[6:7], v[0:1], 0, v[2:3]
	global_load_dword v9, v[6:7], off offset:2
	global_load_ushort v12, v[0:1], off
	v_mov_b32_e32 v0, 4
	s_getpc_b64 s[0:1]
	s_add_u32 s0, s0, _ZL13kvalues_iq4nl@rel32@lo+4
	s_addc_u32 s1, s1, _ZL13kvalues_iq4nl@rel32@hi+12
	v_lshlrev_b32_e32 v8, 1, v2
	v_mov_b32_e32 v1, s3
	v_mov_b32_e32 v7, s3
	s_waitcnt vmcnt(1)
	v_lshrrev_b32_e32 v6, 8, v9
	v_and_b32_e32 v10, 15, v9
	v_lshrrev_b16_e32 v11, 4, v9
	v_lshrrev_b16_sdwa v2, v0, v9 dst_sel:DWORD dst_unused:UNUSED_PAD src0_sel:DWORD src1_sel:BYTE_3
	global_load_sbyte v17, v10, s[0:1]
	v_and_b32_e32 v0, 15, v11
	v_lshrrev_b16_e32 v6, 4, v6
	v_lshl_add_u64 v[10:11], s[0:1], 0, v[2:3]
	v_and_b32_e32 v0, 0xffff, v0
	v_and_b32_e32 v2, 15, v6
	v_lshl_add_u64 v[0:1], s[0:1], 0, v[0:1]
	v_and_b32_e32 v6, 0xffff, v2
	v_bfe_u32 v13, v9, 8, 4
	global_load_sbyte v2, v[0:1], off
	global_load_sbyte v18, v13, s[0:1]
	v_lshl_add_u64 v[0:1], s[0:1], 0, v[6:7]
	v_bfe_u32 v14, v9, 16, 4
	v_bfe_u32 v15, v9, 20, 4
	;; [unrolled: 1-line block ×3, first 2 shown]
	global_load_sbyte v6, v[0:1], off
	global_load_sbyte v7, v14, s[0:1]
	global_load_sbyte v13, v15, s[0:1]
	;; [unrolled: 1-line block ×3, first 2 shown]
	global_load_sbyte v20, v[10:11], off
	v_mov_b32_e32 v9, v3
	s_waitcnt vmcnt(8)
	v_cvt_f32_f16_e32 v3, v12
	v_lshl_add_u64 v[0:1], v[4:5], 0, v[8:9]
	s_waitcnt vmcnt(7)
	v_cvt_f32_i32_e32 v10, v17
	v_mul_f32_e32 v5, v3, v10
	s_waitcnt vmcnt(6)
	v_cvt_f32_i32_e32 v2, v2
	s_waitcnt vmcnt(5)
	v_cvt_f32_i32_e32 v4, v18
	;; [unrolled: 2-line block ×7, first 2 shown]
	v_mul_f32_e32 v11, v3, v2
	v_mul_f32_e32 v2, v3, v4
	;; [unrolled: 1-line block ×6, first 2 shown]
	v_cvt_pk_f16_f32 v2, v5, v2
	v_mul_f32_e32 v5, v3, v10
	v_cvt_pk_f16_f32 v3, v6, v8
	v_cvt_pk_f16_f32 v5, v7, v5
	;; [unrolled: 1-line block ×3, first 2 shown]
	global_store_dwordx2 v[0:1], v[2:3], off
	global_store_dwordx2 v[0:1], v[4:5], off offset:32
	s_endpgm
	.section	.rodata,"a",@progbits
	.p2align	6, 0x0
	.amdhsa_kernel _ZL23dequantize_block_iq4_nlIN3c104HalfEEvPKvPT_
		.amdhsa_group_segment_fixed_size 0
		.amdhsa_private_segment_fixed_size 0
		.amdhsa_kernarg_size 16
		.amdhsa_user_sgpr_count 2
		.amdhsa_user_sgpr_dispatch_ptr 0
		.amdhsa_user_sgpr_queue_ptr 0
		.amdhsa_user_sgpr_kernarg_segment_ptr 1
		.amdhsa_user_sgpr_dispatch_id 0
		.amdhsa_user_sgpr_kernarg_preload_length 0
		.amdhsa_user_sgpr_kernarg_preload_offset 0
		.amdhsa_user_sgpr_private_segment_size 0
		.amdhsa_uses_dynamic_stack 0
		.amdhsa_enable_private_segment 0
		.amdhsa_system_sgpr_workgroup_id_x 1
		.amdhsa_system_sgpr_workgroup_id_y 0
		.amdhsa_system_sgpr_workgroup_id_z 0
		.amdhsa_system_sgpr_workgroup_info 0
		.amdhsa_system_vgpr_workitem_id 0
		.amdhsa_next_free_vgpr 21
		.amdhsa_next_free_sgpr 8
		.amdhsa_accum_offset 24
		.amdhsa_reserve_vcc 0
		.amdhsa_float_round_mode_32 0
		.amdhsa_float_round_mode_16_64 0
		.amdhsa_float_denorm_mode_32 3
		.amdhsa_float_denorm_mode_16_64 3
		.amdhsa_dx10_clamp 1
		.amdhsa_ieee_mode 1
		.amdhsa_fp16_overflow 0
		.amdhsa_tg_split 0
		.amdhsa_exception_fp_ieee_invalid_op 0
		.amdhsa_exception_fp_denorm_src 0
		.amdhsa_exception_fp_ieee_div_zero 0
		.amdhsa_exception_fp_ieee_overflow 0
		.amdhsa_exception_fp_ieee_underflow 0
		.amdhsa_exception_fp_ieee_inexact 0
		.amdhsa_exception_int_div_zero 0
	.end_amdhsa_kernel
	.section	.text._ZL23dequantize_block_iq4_nlIN3c104HalfEEvPKvPT_,"axG",@progbits,_ZL23dequantize_block_iq4_nlIN3c104HalfEEvPKvPT_,comdat
.Lfunc_end33:
	.size	_ZL23dequantize_block_iq4_nlIN3c104HalfEEvPKvPT_, .Lfunc_end33-_ZL23dequantize_block_iq4_nlIN3c104HalfEEvPKvPT_
                                        ; -- End function
	.set _ZL23dequantize_block_iq4_nlIN3c104HalfEEvPKvPT_.num_vgpr, 21
	.set _ZL23dequantize_block_iq4_nlIN3c104HalfEEvPKvPT_.num_agpr, 0
	.set _ZL23dequantize_block_iq4_nlIN3c104HalfEEvPKvPT_.numbered_sgpr, 8
	.set _ZL23dequantize_block_iq4_nlIN3c104HalfEEvPKvPT_.num_named_barrier, 0
	.set _ZL23dequantize_block_iq4_nlIN3c104HalfEEvPKvPT_.private_seg_size, 0
	.set _ZL23dequantize_block_iq4_nlIN3c104HalfEEvPKvPT_.uses_vcc, 0
	.set _ZL23dequantize_block_iq4_nlIN3c104HalfEEvPKvPT_.uses_flat_scratch, 0
	.set _ZL23dequantize_block_iq4_nlIN3c104HalfEEvPKvPT_.has_dyn_sized_stack, 0
	.set _ZL23dequantize_block_iq4_nlIN3c104HalfEEvPKvPT_.has_recursion, 0
	.set _ZL23dequantize_block_iq4_nlIN3c104HalfEEvPKvPT_.has_indirect_call, 0
	.section	.AMDGPU.csdata,"",@progbits
; Kernel info:
; codeLenInByte = 496
; TotalNumSgprs: 14
; NumVgprs: 21
; NumAgprs: 0
; TotalNumVgprs: 21
; ScratchSize: 0
; MemoryBound: 0
; FloatMode: 240
; IeeeMode: 1
; LDSByteSize: 0 bytes/workgroup (compile time only)
; SGPRBlocks: 1
; VGPRBlocks: 2
; NumSGPRsForWavesPerEU: 14
; NumVGPRsForWavesPerEU: 21
; AccumOffset: 24
; Occupancy: 8
; WaveLimiterHint : 0
; COMPUTE_PGM_RSRC2:SCRATCH_EN: 0
; COMPUTE_PGM_RSRC2:USER_SGPR: 2
; COMPUTE_PGM_RSRC2:TRAP_HANDLER: 0
; COMPUTE_PGM_RSRC2:TGID_X_EN: 1
; COMPUTE_PGM_RSRC2:TGID_Y_EN: 0
; COMPUTE_PGM_RSRC2:TGID_Z_EN: 0
; COMPUTE_PGM_RSRC2:TIDIG_COMP_CNT: 0
; COMPUTE_PGM_RSRC3_GFX90A:ACCUM_OFFSET: 5
; COMPUTE_PGM_RSRC3_GFX90A:TG_SPLIT: 0
	.section	.text._ZL22dequantize_block_iq3_sIN3c104HalfEEvPKvPT_,"axG",@progbits,_ZL22dequantize_block_iq3_sIN3c104HalfEEvPKvPT_,comdat
	.globl	_ZL22dequantize_block_iq3_sIN3c104HalfEEvPKvPT_ ; -- Begin function _ZL22dequantize_block_iq3_sIN3c104HalfEEvPKvPT_
	.p2align	8
	.type	_ZL22dequantize_block_iq3_sIN3c104HalfEEvPKvPT_,@function
_ZL22dequantize_block_iq3_sIN3c104HalfEEvPKvPT_: ; @_ZL22dequantize_block_iq3_sIN3c104HalfEEvPKvPT_
; %bb.0:
	s_load_dwordx4 s[4:7], s[0:1], 0x0
	s_lshl_b32 s0, s2, 8
	s_mov_b32 s1, 0
	s_lshl_b64 s[0:1], s[0:1], 1
	v_and_b32_e32 v8, 7, v0
	s_waitcnt lgkmcnt(0)
	s_add_u32 s0, s6, s0
	s_addc_u32 s1, s7, s1
	v_lshlrev_b32_e32 v4, 6, v8
	v_mov_b32_e32 v5, 0
	v_lshl_add_u64 v[2:3], s[0:1], 0, v[4:5]
	v_and_b32_e32 v4, 0x3f8, v0
	s_mul_hi_u32 s1, s2, 0x6e
	s_mulk_i32 s2, 0x6e
	v_lshlrev_b32_e32 v4, 1, v4
	s_add_u32 s0, s4, s2
	v_lshrrev_b32_e32 v1, 3, v0
	v_lshl_add_u64 v[2:3], v[2:3], 0, v[4:5]
	s_addc_u32 s1, s5, s1
	v_lshlrev_b32_e32 v4, 3, v8
	v_lshl_add_u64 v[6:7], s[0:1], 0, v[4:5]
	v_lshlrev_b32_e32 v4, 1, v1
	v_lshl_add_u64 v[6:7], v[6:7], 0, v[4:5]
	v_bfe_u32 v9, v0, 1, 2
	v_lshl_add_u32 v1, v8, 2, v1
	global_load_ushort v10, v[6:7], off offset:2
	global_load_ubyte v11, v9, s[0:1] offset:106
	global_load_sbyte v12, v1, s[0:1] offset:74
	global_load_ubyte v13, v8, s[0:1] offset:66
	global_load_ushort v14, v5, s[0:1]
	v_sub_u32_e32 v1, 8, v4
	s_movk_i32 s2, 0x100
	v_sub_u32_e32 v4, 7, v4
	s_getpc_b64 s[0:1]
	s_add_u32 s0, s0, _ZL10iq3xs_grid@rel32@lo+4
	s_addc_u32 s1, s1, _ZL10iq3xs_grid@rel32@hi+12
	v_lshlrev_b32_e32 v0, 2, v0
	v_and_b32_e32 v0, 4, v0
	s_waitcnt vmcnt(4)
	v_and_b32_e32 v5, 0xff, v10
	v_lshrrev_b16_e32 v6, 8, v10
	s_waitcnt vmcnt(3)
	v_bfe_u32 v0, v11, v0, 4
	s_waitcnt vmcnt(1)
	v_lshlrev_b32_e32 v1, v1, v13
	v_lshlrev_b32_e32 v4, v4, v13
	v_and_or_b32 v1, v1, s2, v5
	v_and_or_b32 v4, v4, s2, v6
	v_lshlrev_b32_e32 v1, 2, v1
	v_lshlrev_b32_e32 v4, 2, v4
	global_load_dword v5, v1, s[0:1]
	global_load_dword v6, v4, s[0:1]
	s_waitcnt vmcnt(2)
	v_cvt_f32_f16_e32 v1, v14
	v_cvt_f32_ubyte0_e32 v0, v0
	v_add_f32_e32 v0, 0.5, v0
	v_and_b32_e32 v4, 1, v12
	v_mul_f32_e32 v0, v0, v1
	v_mul_f32_e32 v0, 0.5, v0
	v_and_b32_e32 v7, 16, v12
	v_cmp_eq_u16_e32 vcc, 0, v4
	v_and_b32_e32 v8, 2, v12
	v_and_b32_e32 v9, 32, v12
	;; [unrolled: 1-line block ×5, first 2 shown]
	s_waitcnt vmcnt(1)
	v_cvt_f32_ubyte0_e32 v1, v5
	s_waitcnt vmcnt(0)
	v_cvt_f32_ubyte0_e32 v14, v6
	v_mul_f32_e32 v1, v0, v1
	v_cvt_f32_ubyte1_e32 v15, v5
	v_mul_f32_e32 v14, v0, v14
	v_cndmask_b32_e64 v1, -v1, v1, vcc
	v_cmp_eq_u16_e32 vcc, 0, v7
	v_cvt_f32_ubyte1_e32 v16, v6
	v_mul_f32_e32 v15, v0, v15
	v_cndmask_b32_e64 v4, -v14, v14, vcc
	v_cmp_eq_u16_e32 vcc, 0, v8
	v_cvt_f32_ubyte2_e32 v17, v5
	v_cvt_f32_ubyte2_e32 v18, v6
	v_cvt_f32_ubyte3_e32 v5, v5
	v_cvt_f32_ubyte3_e32 v6, v6
	v_mul_f32_e32 v16, v0, v16
	v_cndmask_b32_e64 v8, -v15, v15, vcc
	v_cmp_eq_u16_e32 vcc, 0, v9
	v_mul_f32_e32 v17, v0, v17
	v_mul_f32_e32 v18, v0, v18
	;; [unrolled: 1-line block ×4, first 2 shown]
	v_cndmask_b32_e64 v6, -v16, v16, vcc
	v_cmp_eq_u16_e32 vcc, 0, v10
	v_cvt_pk_f16_f32 v6, v4, v6
	v_cvt_pk_f16_f32 v4, v1, v8
	v_cndmask_b32_e64 v9, -v17, v17, vcc
	v_cmp_eq_u16_e32 vcc, 0, v11
	s_nop 1
	v_cndmask_b32_e64 v7, -v18, v18, vcc
	v_cmp_eq_u16_e32 vcc, 0, v13
	s_nop 1
	v_cndmask_b32_e64 v5, -v5, v5, vcc
	v_cmp_gt_i16_e32 vcc, 0, v12
	v_cvt_pk_f16_f32 v5, v9, v5
	s_nop 0
	v_cndmask_b32_e64 v0, v0, -v0, vcc
	v_cvt_pk_f16_f32 v7, v7, v0
	global_store_dwordx4 v[2:3], v[4:7], off
	s_endpgm
	.section	.rodata,"a",@progbits
	.p2align	6, 0x0
	.amdhsa_kernel _ZL22dequantize_block_iq3_sIN3c104HalfEEvPKvPT_
		.amdhsa_group_segment_fixed_size 0
		.amdhsa_private_segment_fixed_size 0
		.amdhsa_kernarg_size 16
		.amdhsa_user_sgpr_count 2
		.amdhsa_user_sgpr_dispatch_ptr 0
		.amdhsa_user_sgpr_queue_ptr 0
		.amdhsa_user_sgpr_kernarg_segment_ptr 1
		.amdhsa_user_sgpr_dispatch_id 0
		.amdhsa_user_sgpr_kernarg_preload_length 0
		.amdhsa_user_sgpr_kernarg_preload_offset 0
		.amdhsa_user_sgpr_private_segment_size 0
		.amdhsa_uses_dynamic_stack 0
		.amdhsa_enable_private_segment 0
		.amdhsa_system_sgpr_workgroup_id_x 1
		.amdhsa_system_sgpr_workgroup_id_y 0
		.amdhsa_system_sgpr_workgroup_id_z 0
		.amdhsa_system_sgpr_workgroup_info 0
		.amdhsa_system_vgpr_workitem_id 0
		.amdhsa_next_free_vgpr 19
		.amdhsa_next_free_sgpr 8
		.amdhsa_accum_offset 20
		.amdhsa_reserve_vcc 1
		.amdhsa_float_round_mode_32 0
		.amdhsa_float_round_mode_16_64 0
		.amdhsa_float_denorm_mode_32 3
		.amdhsa_float_denorm_mode_16_64 3
		.amdhsa_dx10_clamp 1
		.amdhsa_ieee_mode 1
		.amdhsa_fp16_overflow 0
		.amdhsa_tg_split 0
		.amdhsa_exception_fp_ieee_invalid_op 0
		.amdhsa_exception_fp_denorm_src 0
		.amdhsa_exception_fp_ieee_div_zero 0
		.amdhsa_exception_fp_ieee_overflow 0
		.amdhsa_exception_fp_ieee_underflow 0
		.amdhsa_exception_fp_ieee_inexact 0
		.amdhsa_exception_int_div_zero 0
	.end_amdhsa_kernel
	.section	.text._ZL22dequantize_block_iq3_sIN3c104HalfEEvPKvPT_,"axG",@progbits,_ZL22dequantize_block_iq3_sIN3c104HalfEEvPKvPT_,comdat
.Lfunc_end34:
	.size	_ZL22dequantize_block_iq3_sIN3c104HalfEEvPKvPT_, .Lfunc_end34-_ZL22dequantize_block_iq3_sIN3c104HalfEEvPKvPT_
                                        ; -- End function
	.set _ZL22dequantize_block_iq3_sIN3c104HalfEEvPKvPT_.num_vgpr, 19
	.set _ZL22dequantize_block_iq3_sIN3c104HalfEEvPKvPT_.num_agpr, 0
	.set _ZL22dequantize_block_iq3_sIN3c104HalfEEvPKvPT_.numbered_sgpr, 8
	.set _ZL22dequantize_block_iq3_sIN3c104HalfEEvPKvPT_.num_named_barrier, 0
	.set _ZL22dequantize_block_iq3_sIN3c104HalfEEvPKvPT_.private_seg_size, 0
	.set _ZL22dequantize_block_iq3_sIN3c104HalfEEvPKvPT_.uses_vcc, 1
	.set _ZL22dequantize_block_iq3_sIN3c104HalfEEvPKvPT_.uses_flat_scratch, 0
	.set _ZL22dequantize_block_iq3_sIN3c104HalfEEvPKvPT_.has_dyn_sized_stack, 0
	.set _ZL22dequantize_block_iq3_sIN3c104HalfEEvPKvPT_.has_recursion, 0
	.set _ZL22dequantize_block_iq3_sIN3c104HalfEEvPKvPT_.has_indirect_call, 0
	.section	.AMDGPU.csdata,"",@progbits
; Kernel info:
; codeLenInByte = 572
; TotalNumSgprs: 14
; NumVgprs: 19
; NumAgprs: 0
; TotalNumVgprs: 19
; ScratchSize: 0
; MemoryBound: 0
; FloatMode: 240
; IeeeMode: 1
; LDSByteSize: 0 bytes/workgroup (compile time only)
; SGPRBlocks: 1
; VGPRBlocks: 2
; NumSGPRsForWavesPerEU: 14
; NumVGPRsForWavesPerEU: 19
; AccumOffset: 20
; Occupancy: 8
; WaveLimiterHint : 0
; COMPUTE_PGM_RSRC2:SCRATCH_EN: 0
; COMPUTE_PGM_RSRC2:USER_SGPR: 2
; COMPUTE_PGM_RSRC2:TRAP_HANDLER: 0
; COMPUTE_PGM_RSRC2:TGID_X_EN: 1
; COMPUTE_PGM_RSRC2:TGID_Y_EN: 0
; COMPUTE_PGM_RSRC2:TGID_Z_EN: 0
; COMPUTE_PGM_RSRC2:TIDIG_COMP_CNT: 0
; COMPUTE_PGM_RSRC3_GFX90A:ACCUM_OFFSET: 4
; COMPUTE_PGM_RSRC3_GFX90A:TG_SPLIT: 0
	.section	.text._ZL22dequantize_block_iq2_sIN3c104HalfEEvPKvPT_,"axG",@progbits,_ZL22dequantize_block_iq2_sIN3c104HalfEEvPKvPT_,comdat
	.globl	_ZL22dequantize_block_iq2_sIN3c104HalfEEvPKvPT_ ; -- Begin function _ZL22dequantize_block_iq2_sIN3c104HalfEEvPKvPT_
	.p2align	8
	.type	_ZL22dequantize_block_iq2_sIN3c104HalfEEvPKvPT_,@function
_ZL22dequantize_block_iq2_sIN3c104HalfEEvPKvPT_: ; @_ZL22dequantize_block_iq2_sIN3c104HalfEEvPKvPT_
; %bb.0:
	s_load_dwordx4 s[4:7], s[0:1], 0x0
	s_lshl_b32 s0, s2, 8
	s_mov_b32 s1, 0
	s_lshl_b64 s[0:1], s[0:1], 1
	s_mul_hi_u32 s3, s2, 0x52
	s_waitcnt lgkmcnt(0)
	s_add_u32 s0, s6, s0
	s_addc_u32 s1, s7, s1
	s_mulk_i32 s2, 0x52
	s_add_u32 s2, s4, s2
	v_lshrrev_b32_e32 v2, 3, v0
	v_and_b32_e32 v4, 7, v0
	s_addc_u32 s3, s5, s3
	v_lshl_add_u32 v3, v4, 2, v2
	global_load_ubyte v5, v4, s[2:3] offset:66
	global_load_ubyte v6, v3, s[2:3] offset:2
	v_mov_b32_e32 v1, 0
	v_lshlrev_b32_e32 v2, 1, v2
	global_load_ushort v7, v1, s[2:3]
	global_load_sbyte v8, v3, s[2:3] offset:34
	global_load_ubyte v9, v4, s[2:3] offset:74
	v_sub_u32_e32 v2, 8, v2
	s_movk_i32 s4, 0x300
	s_getpc_b64 s[2:3]
	s_add_u32 s2, s2, _ZL9iq2s_grid@rel32@lo+4
	s_addc_u32 s3, s3, _ZL9iq2s_grid@rel32@hi+12
	s_waitcnt vmcnt(4)
	v_lshlrev_b32_e32 v2, v2, v5
	s_waitcnt vmcnt(3)
	v_and_or_b32 v2, v2, s4, v6
	v_lshlrev_b32_e32 v2, 3, v2
	global_load_dwordx2 v[2:3], v2, s[2:3]
	v_and_b32_e32 v6, 0x3f8, v0
	v_lshrrev_b32_e32 v5, 2, v0
	v_lshlrev_b32_e32 v0, 6, v4
	v_and_b32_e32 v10, 0xfc, v5
	v_lshl_add_u64 v[4:5], s[0:1], 0, v[0:1]
	v_lshlrev_b32_e32 v0, 1, v6
	v_lshl_add_u64 v[4:5], v[4:5], 0, v[0:1]
	s_waitcnt vmcnt(3)
	v_cvt_f32_f16_e32 v0, v7
	s_waitcnt vmcnt(1)
	v_bfe_u32 v1, v9, v10, 4
	v_cvt_f32_ubyte0_e32 v1, v1
	v_add_f32_e32 v1, 0.5, v1
	v_mul_f32_e32 v0, v1, v0
	v_and_b32_e32 v6, 1, v8
	v_mul_f32_e32 v0, 0x3e800000, v0
	v_and_b32_e32 v7, 2, v8
	v_cmp_eq_u16_e32 vcc, 0, v6
	v_and_b32_e32 v9, 4, v8
	v_and_b32_e32 v10, 8, v8
	v_and_b32_e32 v11, 16, v8
	v_and_b32_e32 v12, 32, v8
	v_and_b32_e32 v13, 64, v8
	s_waitcnt vmcnt(0)
	v_cvt_f32_ubyte0_e32 v1, v2
	v_cvt_f32_ubyte1_e32 v14, v2
	v_mul_f32_e32 v1, v0, v1
	v_cvt_f32_ubyte2_e32 v15, v2
	v_mul_f32_e32 v14, v0, v14
	v_cndmask_b32_e64 v6, -v1, v1, vcc
	v_cmp_eq_u16_e32 vcc, 0, v7
	v_cvt_f32_ubyte3_e32 v2, v2
	v_mul_f32_e32 v15, v0, v15
	v_cndmask_b32_e64 v7, -v14, v14, vcc
	v_cmp_eq_u16_e32 vcc, 0, v9
	v_cvt_f32_ubyte0_e32 v16, v3
	v_mul_f32_e32 v2, v0, v2
	v_cndmask_b32_e64 v1, -v15, v15, vcc
	v_cmp_eq_u16_e32 vcc, 0, v10
	v_cvt_f32_ubyte1_e32 v17, v3
	v_mul_f32_e32 v16, v0, v16
	v_cndmask_b32_e64 v9, -v2, v2, vcc
	v_cmp_eq_u16_e32 vcc, 0, v11
	v_cvt_f32_ubyte2_e32 v18, v3
	v_mul_f32_e32 v17, v0, v17
	v_cndmask_b32_e64 v2, -v16, v16, vcc
	v_cmp_eq_u16_e32 vcc, 0, v12
	v_cvt_f32_ubyte3_e32 v3, v3
	v_mul_f32_e32 v18, v0, v18
	v_cndmask_b32_e64 v10, -v17, v17, vcc
	v_cmp_eq_u16_e32 vcc, 0, v13
	v_mul_f32_e32 v0, v0, v3
	v_cvt_pk_f16_f32 v2, v2, v10
	v_cndmask_b32_e64 v3, -v18, v18, vcc
	v_cmp_gt_i16_e32 vcc, 0, v8
	v_cvt_pk_f16_f32 v1, v1, v9
	s_nop 0
	v_cndmask_b32_e64 v0, v0, -v0, vcc
	v_cvt_pk_f16_f32 v3, v3, v0
	v_cvt_pk_f16_f32 v0, v6, v7
	global_store_dwordx4 v[4:5], v[0:3], off
	s_endpgm
	.section	.rodata,"a",@progbits
	.p2align	6, 0x0
	.amdhsa_kernel _ZL22dequantize_block_iq2_sIN3c104HalfEEvPKvPT_
		.amdhsa_group_segment_fixed_size 0
		.amdhsa_private_segment_fixed_size 0
		.amdhsa_kernarg_size 16
		.amdhsa_user_sgpr_count 2
		.amdhsa_user_sgpr_dispatch_ptr 0
		.amdhsa_user_sgpr_queue_ptr 0
		.amdhsa_user_sgpr_kernarg_segment_ptr 1
		.amdhsa_user_sgpr_dispatch_id 0
		.amdhsa_user_sgpr_kernarg_preload_length 0
		.amdhsa_user_sgpr_kernarg_preload_offset 0
		.amdhsa_user_sgpr_private_segment_size 0
		.amdhsa_uses_dynamic_stack 0
		.amdhsa_enable_private_segment 0
		.amdhsa_system_sgpr_workgroup_id_x 1
		.amdhsa_system_sgpr_workgroup_id_y 0
		.amdhsa_system_sgpr_workgroup_id_z 0
		.amdhsa_system_sgpr_workgroup_info 0
		.amdhsa_system_vgpr_workitem_id 0
		.amdhsa_next_free_vgpr 19
		.amdhsa_next_free_sgpr 8
		.amdhsa_accum_offset 20
		.amdhsa_reserve_vcc 1
		.amdhsa_float_round_mode_32 0
		.amdhsa_float_round_mode_16_64 0
		.amdhsa_float_denorm_mode_32 3
		.amdhsa_float_denorm_mode_16_64 3
		.amdhsa_dx10_clamp 1
		.amdhsa_ieee_mode 1
		.amdhsa_fp16_overflow 0
		.amdhsa_tg_split 0
		.amdhsa_exception_fp_ieee_invalid_op 0
		.amdhsa_exception_fp_denorm_src 0
		.amdhsa_exception_fp_ieee_div_zero 0
		.amdhsa_exception_fp_ieee_overflow 0
		.amdhsa_exception_fp_ieee_underflow 0
		.amdhsa_exception_fp_ieee_inexact 0
		.amdhsa_exception_int_div_zero 0
	.end_amdhsa_kernel
	.section	.text._ZL22dequantize_block_iq2_sIN3c104HalfEEvPKvPT_,"axG",@progbits,_ZL22dequantize_block_iq2_sIN3c104HalfEEvPKvPT_,comdat
.Lfunc_end35:
	.size	_ZL22dequantize_block_iq2_sIN3c104HalfEEvPKvPT_, .Lfunc_end35-_ZL22dequantize_block_iq2_sIN3c104HalfEEvPKvPT_
                                        ; -- End function
	.set _ZL22dequantize_block_iq2_sIN3c104HalfEEvPKvPT_.num_vgpr, 19
	.set _ZL22dequantize_block_iq2_sIN3c104HalfEEvPKvPT_.num_agpr, 0
	.set _ZL22dequantize_block_iq2_sIN3c104HalfEEvPKvPT_.numbered_sgpr, 8
	.set _ZL22dequantize_block_iq2_sIN3c104HalfEEvPKvPT_.num_named_barrier, 0
	.set _ZL22dequantize_block_iq2_sIN3c104HalfEEvPKvPT_.private_seg_size, 0
	.set _ZL22dequantize_block_iq2_sIN3c104HalfEEvPKvPT_.uses_vcc, 1
	.set _ZL22dequantize_block_iq2_sIN3c104HalfEEvPKvPT_.uses_flat_scratch, 0
	.set _ZL22dequantize_block_iq2_sIN3c104HalfEEvPKvPT_.has_dyn_sized_stack, 0
	.set _ZL22dequantize_block_iq2_sIN3c104HalfEEvPKvPT_.has_recursion, 0
	.set _ZL22dequantize_block_iq2_sIN3c104HalfEEvPKvPT_.has_indirect_call, 0
	.section	.AMDGPU.csdata,"",@progbits
; Kernel info:
; codeLenInByte = 500
; TotalNumSgprs: 14
; NumVgprs: 19
; NumAgprs: 0
; TotalNumVgprs: 19
; ScratchSize: 0
; MemoryBound: 0
; FloatMode: 240
; IeeeMode: 1
; LDSByteSize: 0 bytes/workgroup (compile time only)
; SGPRBlocks: 1
; VGPRBlocks: 2
; NumSGPRsForWavesPerEU: 14
; NumVGPRsForWavesPerEU: 19
; AccumOffset: 20
; Occupancy: 8
; WaveLimiterHint : 0
; COMPUTE_PGM_RSRC2:SCRATCH_EN: 0
; COMPUTE_PGM_RSRC2:USER_SGPR: 2
; COMPUTE_PGM_RSRC2:TRAP_HANDLER: 0
; COMPUTE_PGM_RSRC2:TGID_X_EN: 1
; COMPUTE_PGM_RSRC2:TGID_Y_EN: 0
; COMPUTE_PGM_RSRC2:TGID_Z_EN: 0
; COMPUTE_PGM_RSRC2:TIDIG_COMP_CNT: 0
; COMPUTE_PGM_RSRC3_GFX90A:ACCUM_OFFSET: 4
; COMPUTE_PGM_RSRC3_GFX90A:TG_SPLIT: 0
	.section	.text._ZL23dequantize_block_iq4_xsIN3c104HalfEEvPKvPT_,"axG",@progbits,_ZL23dequantize_block_iq4_xsIN3c104HalfEEvPKvPT_,comdat
	.globl	_ZL23dequantize_block_iq4_xsIN3c104HalfEEvPKvPT_ ; -- Begin function _ZL23dequantize_block_iq4_xsIN3c104HalfEEvPKvPT_
	.p2align	8
	.type	_ZL23dequantize_block_iq4_xsIN3c104HalfEEvPKvPT_,@function
_ZL23dequantize_block_iq4_xsIN3c104HalfEEvPKvPT_: ; @_ZL23dequantize_block_iq4_xsIN3c104HalfEEvPKvPT_
; %bb.0:
	s_load_dwordx4 s[4:7], s[0:1], 0x0
	s_lshl_b32 s0, s2, 8
	s_mov_b32 s1, 0
	s_lshl_b64 s[8:9], s[0:1], 1
	v_and_b32_e32 v1, 7, v0
	s_waitcnt lgkmcnt(0)
	s_add_u32 s6, s6, s8
	s_addc_u32 s7, s7, s9
	s_mul_hi_u32 s0, s2, 0x88
	s_mulk_i32 s2, 0x88
	v_lshlrev_b32_e32 v2, 6, v1
	v_mov_b32_e32 v3, 0
	s_add_u32 s2, s4, s2
	v_lshl_add_u64 v[4:5], s[6:7], 0, v[2:3]
	v_lshrrev_b32_e32 v2, 1, v0
	s_addc_u32 s3, s5, s0
	v_lshlrev_b32_e32 v6, 4, v1
	v_mov_b32_e32 v7, v3
	v_and_b32_e32 v2, 0x1fc, v2
	v_lshl_add_u64 v[6:7], s[2:3], 0, v[6:7]
	v_lshl_add_u64 v[6:7], v[6:7], 0, v[2:3]
	global_load_dword v6, v[6:7], off offset:8
	v_bfe_u32 v7, v0, 1, 2
	global_load_dword v11, v3, s[2:3]
	global_load_ubyte v14, v7, s[2:3] offset:4
	v_mov_b32_e32 v8, 4
	v_mov_b32_e32 v7, s1
	;; [unrolled: 1-line block ×3, first 2 shown]
	v_lshlrev_b32_e32 v10, 1, v2
	s_getpc_b64 s[0:1]
	s_add_u32 s0, s0, _ZL13kvalues_iq4nl@rel32@lo+4
	s_addc_u32 s1, s1, _ZL13kvalues_iq4nl@rel32@hi+12
	v_lshlrev_b32_e32 v0, 2, v0
	v_lshlrev_b32_e32 v1, 1, v1
	v_and_b32_e32 v0, 4, v0
	s_waitcnt vmcnt(2)
	v_lshrrev_b32_e32 v12, 8, v6
	v_lshrrev_b16_e32 v15, 4, v6
	v_and_b32_e32 v13, 15, v6
	v_bfe_u32 v16, v6, 8, 4
	v_bfe_u32 v17, v6, 16, 4
	;; [unrolled: 1-line block ×4, first 2 shown]
	v_lshrrev_b16_sdwa v2, v8, v6 dst_sel:DWORD dst_unused:UNUSED_PAD src0_sel:DWORD src1_sel:BYTE_3
	v_and_b32_e32 v6, 15, v15
	v_lshrrev_b16_e32 v8, 4, v12
	global_load_sbyte v20, v13, s[0:1]
	v_lshl_add_u64 v[12:13], s[0:1], 0, v[2:3]
	v_and_b32_e32 v6, 0xffff, v6
	v_and_b32_e32 v2, 15, v8
	v_lshl_add_u64 v[6:7], s[0:1], 0, v[6:7]
	v_and_b32_e32 v8, 0xffff, v2
	global_load_sbyte v2, v[6:7], off
	global_load_sbyte v15, v16, s[0:1]
	v_lshl_add_u64 v[6:7], s[0:1], 0, v[8:9]
	global_load_sbyte v8, v[6:7], off
	global_load_sbyte v9, v17, s[0:1]
	global_load_sbyte v16, v18, s[0:1]
	;; [unrolled: 1-line block ×3, first 2 shown]
	global_load_sbyte v22, v[12:13], off
	s_waitcnt vmcnt(9)
	v_lshrrev_b32_sdwa v1, v1, v11 dst_sel:DWORD dst_unused:UNUSED_PAD src0_sel:DWORD src1_sel:WORD_1
	s_waitcnt vmcnt(8)
	v_bfe_u32 v0, v14, v0, 4
	v_lshlrev_b32_e32 v1, 4, v1
	v_and_or_b32 v0, v1, 48, v0
	v_subrev_u32_e32 v0, 32, v0
	v_cvt_f32_f16_e32 v6, v11
	v_cvt_f32_i32_e32 v7, v0
	v_mov_b32_e32 v11, v3
	v_lshl_add_u64 v[0:1], v[4:5], 0, v[10:11]
	v_mul_f32_e32 v4, v6, v7
	s_waitcnt vmcnt(7)
	v_cvt_f32_i32_e32 v3, v20
	s_waitcnt vmcnt(4)
	v_cvt_f32_i32_e32 v6, v8
	v_cvt_f32_i32_e32 v2, v2
	;; [unrolled: 1-line block ×3, first 2 shown]
	s_waitcnt vmcnt(3)
	v_cvt_f32_i32_e32 v7, v9
	s_waitcnt vmcnt(2)
	v_cvt_f32_i32_e32 v8, v16
	s_waitcnt vmcnt(1)
	v_cvt_f32_i32_e32 v9, v21
	s_waitcnt vmcnt(0)
	v_cvt_f32_i32_e32 v10, v22
	v_mul_f32_e32 v3, v4, v3
	v_mul_f32_e32 v11, v4, v2
	;; [unrolled: 1-line block ×7, first 2 shown]
	v_cvt_pk_f16_f32 v2, v3, v2
	v_mul_f32_e32 v4, v4, v10
	v_cvt_pk_f16_f32 v3, v5, v8
	v_cvt_pk_f16_f32 v5, v7, v4
	;; [unrolled: 1-line block ×3, first 2 shown]
	global_store_dwordx2 v[0:1], v[2:3], off
	global_store_dwordx2 v[0:1], v[4:5], off offset:32
	s_endpgm
	.section	.rodata,"a",@progbits
	.p2align	6, 0x0
	.amdhsa_kernel _ZL23dequantize_block_iq4_xsIN3c104HalfEEvPKvPT_
		.amdhsa_group_segment_fixed_size 0
		.amdhsa_private_segment_fixed_size 0
		.amdhsa_kernarg_size 16
		.amdhsa_user_sgpr_count 2
		.amdhsa_user_sgpr_dispatch_ptr 0
		.amdhsa_user_sgpr_queue_ptr 0
		.amdhsa_user_sgpr_kernarg_segment_ptr 1
		.amdhsa_user_sgpr_dispatch_id 0
		.amdhsa_user_sgpr_kernarg_preload_length 0
		.amdhsa_user_sgpr_kernarg_preload_offset 0
		.amdhsa_user_sgpr_private_segment_size 0
		.amdhsa_uses_dynamic_stack 0
		.amdhsa_enable_private_segment 0
		.amdhsa_system_sgpr_workgroup_id_x 1
		.amdhsa_system_sgpr_workgroup_id_y 0
		.amdhsa_system_sgpr_workgroup_id_z 0
		.amdhsa_system_sgpr_workgroup_info 0
		.amdhsa_system_vgpr_workitem_id 0
		.amdhsa_next_free_vgpr 23
		.amdhsa_next_free_sgpr 10
		.amdhsa_accum_offset 24
		.amdhsa_reserve_vcc 0
		.amdhsa_float_round_mode_32 0
		.amdhsa_float_round_mode_16_64 0
		.amdhsa_float_denorm_mode_32 3
		.amdhsa_float_denorm_mode_16_64 3
		.amdhsa_dx10_clamp 1
		.amdhsa_ieee_mode 1
		.amdhsa_fp16_overflow 0
		.amdhsa_tg_split 0
		.amdhsa_exception_fp_ieee_invalid_op 0
		.amdhsa_exception_fp_denorm_src 0
		.amdhsa_exception_fp_ieee_div_zero 0
		.amdhsa_exception_fp_ieee_overflow 0
		.amdhsa_exception_fp_ieee_underflow 0
		.amdhsa_exception_fp_ieee_inexact 0
		.amdhsa_exception_int_div_zero 0
	.end_amdhsa_kernel
	.section	.text._ZL23dequantize_block_iq4_xsIN3c104HalfEEvPKvPT_,"axG",@progbits,_ZL23dequantize_block_iq4_xsIN3c104HalfEEvPKvPT_,comdat
.Lfunc_end36:
	.size	_ZL23dequantize_block_iq4_xsIN3c104HalfEEvPKvPT_, .Lfunc_end36-_ZL23dequantize_block_iq4_xsIN3c104HalfEEvPKvPT_
                                        ; -- End function
	.set _ZL23dequantize_block_iq4_xsIN3c104HalfEEvPKvPT_.num_vgpr, 23
	.set _ZL23dequantize_block_iq4_xsIN3c104HalfEEvPKvPT_.num_agpr, 0
	.set _ZL23dequantize_block_iq4_xsIN3c104HalfEEvPKvPT_.numbered_sgpr, 10
	.set _ZL23dequantize_block_iq4_xsIN3c104HalfEEvPKvPT_.num_named_barrier, 0
	.set _ZL23dequantize_block_iq4_xsIN3c104HalfEEvPKvPT_.private_seg_size, 0
	.set _ZL23dequantize_block_iq4_xsIN3c104HalfEEvPKvPT_.uses_vcc, 0
	.set _ZL23dequantize_block_iq4_xsIN3c104HalfEEvPKvPT_.uses_flat_scratch, 0
	.set _ZL23dequantize_block_iq4_xsIN3c104HalfEEvPKvPT_.has_dyn_sized_stack, 0
	.set _ZL23dequantize_block_iq4_xsIN3c104HalfEEvPKvPT_.has_recursion, 0
	.set _ZL23dequantize_block_iq4_xsIN3c104HalfEEvPKvPT_.has_indirect_call, 0
	.section	.AMDGPU.csdata,"",@progbits
; Kernel info:
; codeLenInByte = 564
; TotalNumSgprs: 16
; NumVgprs: 23
; NumAgprs: 0
; TotalNumVgprs: 23
; ScratchSize: 0
; MemoryBound: 0
; FloatMode: 240
; IeeeMode: 1
; LDSByteSize: 0 bytes/workgroup (compile time only)
; SGPRBlocks: 1
; VGPRBlocks: 2
; NumSGPRsForWavesPerEU: 16
; NumVGPRsForWavesPerEU: 23
; AccumOffset: 24
; Occupancy: 8
; WaveLimiterHint : 0
; COMPUTE_PGM_RSRC2:SCRATCH_EN: 0
; COMPUTE_PGM_RSRC2:USER_SGPR: 2
; COMPUTE_PGM_RSRC2:TRAP_HANDLER: 0
; COMPUTE_PGM_RSRC2:TGID_X_EN: 1
; COMPUTE_PGM_RSRC2:TGID_Y_EN: 0
; COMPUTE_PGM_RSRC2:TGID_Z_EN: 0
; COMPUTE_PGM_RSRC2:TIDIG_COMP_CNT: 0
; COMPUTE_PGM_RSRC3_GFX90A:ACCUM_OFFSET: 5
; COMPUTE_PGM_RSRC3_GFX90A:TG_SPLIT: 0
	.section	.text._ZL22dequantize_block_iq1_mIN3c104HalfEEvPKvPT_,"axG",@progbits,_ZL22dequantize_block_iq1_mIN3c104HalfEEvPKvPT_,comdat
	.globl	_ZL22dequantize_block_iq1_mIN3c104HalfEEvPKvPT_ ; -- Begin function _ZL22dequantize_block_iq1_mIN3c104HalfEEvPKvPT_
	.p2align	8
	.type	_ZL22dequantize_block_iq1_mIN3c104HalfEEvPKvPT_,@function
_ZL22dequantize_block_iq1_mIN3c104HalfEEvPKvPT_: ; @_ZL22dequantize_block_iq1_mIN3c104HalfEEvPKvPT_
; %bb.0:
	s_load_dwordx4 s[4:7], s[0:1], 0x0
	s_mov_b32 s3, 0
	s_lshl_b64 s[0:1], s[2:3], 9
	s_mul_hi_u32 s3, s2, 56
	s_mul_i32 s2, s2, 56
	s_waitcnt lgkmcnt(0)
	s_add_u32 s0, s6, s0
	s_addc_u32 s1, s7, s1
	v_mov_b32_e32 v3, 0
	v_and_b32_e32 v8, 7, v0
	s_add_u32 s2, s4, s2
	s_addc_u32 s3, s5, s3
	v_lshlrev_b32_e32 v4, 2, v8
	v_mov_b32_e32 v5, v3
	v_lshrrev_b32_e32 v2, 3, v0
	v_lshl_add_u64 v[4:5], s[2:3], 0, v[4:5]
	v_lshlrev_b32_e32 v1, 1, v8
	v_lshrrev_b32_e32 v9, 4, v0
	v_lshl_add_u64 v[4:5], v[4:5], 0, v[2:3]
	v_add_u32_e32 v10, v1, v9
	global_load_ubyte v2, v[4:5], off
	global_load_ubyte v11, v10, s[2:3] offset:32
	global_load_dwordx2 v[6:7], v3, s[2:3] offset:48
	v_add_u16_e32 v1, v1, v9
	v_lshrrev_b16_e32 v1, 1, v1
	v_mov_b32_e32 v5, v3
	v_and_b32_e32 v4, 62, v1
	v_lshrrev_b32_e32 v1, 1, v0
	v_lshl_add_u64 v[4:5], s[2:3], 0, v[4:5]
	v_and_b32_e32 v1, 4, v1
	global_load_ushort v9, v[4:5], off offset:48
	s_movk_i32 s4, 0x700
	s_getpc_b64 s[2:3]
	s_add_u32 s2, s2, _ZL13iq1s_grid_gpu@rel32@lo+4
	s_addc_u32 s3, s3, _ZL13iq1s_grid_gpu@rel32@hi+12
	v_and_b32_e32 v4, 3, v10
	v_mov_b32_e32 v13, 0xbf900000
	v_mov_b32_e32 v14, 0xbf600000
	s_waitcnt vmcnt(2)
	v_lshrrev_b32_e32 v11, v1, v11
	v_lshlrev_b32_e32 v1, 8, v11
	v_and_or_b32 v1, v1, s4, v2
	v_lshlrev_b32_e32 v1, 3, v1
	global_load_dword v12, v1, s[2:3]
	v_mov_b32_e32 v1, v3
	v_and_b32_e32 v2, 0x3f8, v0
	v_lshlrev_b32_e32 v0, 6, v8
	s_mov_b32 s2, 0x8000c
	v_lshlrev_b32_e32 v2, 1, v2
	v_lshl_add_u64 v[0:1], s[0:1], 0, v[0:1]
	s_movk_i32 s3, 0xf0
	v_mul_u32_u24_e32 v8, 3, v4
	v_lshl_add_u64 v[4:5], v[0:1], 0, v[2:3]
	s_waitcnt vmcnt(2)
	v_pk_lshrrev_b16 v0, s2, v6
	v_pk_lshrrev_b16 v1, 4, v7
	v_and_b32_sdwa v2, v0, s3 dst_sel:DWORD dst_unused:UNUSED_PAD src0_sel:WORD_1 src1_sel:DWORD
	v_and_b32_e32 v1, 0xf0000f00, v1
	v_or_b32_e32 v0, v2, v0
	v_or_b32_e32 v0, v0, v1
	v_or_b32_sdwa v0, v0, v1 dst_sel:DWORD dst_unused:UNUSED_PAD src0_sel:DWORD src1_sel:WORD_1
	s_waitcnt vmcnt(1)
	v_lshrrev_b32_e32 v3, v8, v9
	v_cvt_f32_f16_e32 v1, v0
	v_lshlrev_b32_e32 v2, 1, v3
	v_and_or_b32 v2, v2, 14, 1
	v_and_b32_e32 v3, 8, v11
	v_cvt_f32_ubyte0_e32 v2, v2
	v_cmp_eq_u32_e32 vcc, 0, v3
	v_mul_f32_e32 v2, v1, v2
	s_waitcnt vmcnt(0)
	v_and_b32_e32 v1, 0xf0f0f0f, v12
	v_cndmask_b32_e32 v0, v13, v14, vcc
	v_bfe_u32 v3, v12, 8, 4
	v_and_b32_e32 v6, 15, v12
	v_bfe_u32 v8, v12, 16, 4
	v_bfe_u32 v10, v12, 4, 4
	;; [unrolled: 1-line block ×4, first 2 shown]
	v_lshrrev_b32_e32 v12, 28, v12
	v_cvt_f32_ubyte0_e32 v7, v3
	v_cvt_f32_ubyte0_e32 v6, v6
	v_cvt_f32_ubyte3_e32 v9, v1
	v_cvt_f32_ubyte0_e32 v8, v8
	v_cvt_f32_ubyte0_e32 v1, v10
	;; [unrolled: 1-line block ×5, first 2 shown]
	v_pk_add_f32 v[8:9], v[0:1], v[8:9] op_sel_hi:[0,1]
	v_pk_add_f32 v[6:7], v[0:1], v[6:7] op_sel_hi:[0,1]
	;; [unrolled: 1-line block ×3, first 2 shown]
	v_add_f32_e32 v12, v0, v1
	v_add_f32_e32 v13, v0, v3
	v_pk_mul_f32 v[6:7], v[2:3], v[6:7] op_sel_hi:[0,1]
	v_pk_mul_f32 v[0:1], v[2:3], v[8:9] op_sel_hi:[0,1]
	;; [unrolled: 1-line block ×3, first 2 shown]
	v_cvt_pk_f16_f32 v1, v0, v1
	v_cvt_pk_f16_f32 v0, v6, v7
	;; [unrolled: 1-line block ×3, first 2 shown]
	v_fma_mixlo_f16 v12, v2, v12, 0
	v_lshrrev_b32_e32 v3, 16, v6
	v_fma_mixhi_f16 v3, v2, v13, 0
	v_pack_b32_f16 v2, v12, v6
	global_store_dwordx4 v[4:5], v[0:3], off
	s_endpgm
	.section	.rodata,"a",@progbits
	.p2align	6, 0x0
	.amdhsa_kernel _ZL22dequantize_block_iq1_mIN3c104HalfEEvPKvPT_
		.amdhsa_group_segment_fixed_size 0
		.amdhsa_private_segment_fixed_size 0
		.amdhsa_kernarg_size 16
		.amdhsa_user_sgpr_count 2
		.amdhsa_user_sgpr_dispatch_ptr 0
		.amdhsa_user_sgpr_queue_ptr 0
		.amdhsa_user_sgpr_kernarg_segment_ptr 1
		.amdhsa_user_sgpr_dispatch_id 0
		.amdhsa_user_sgpr_kernarg_preload_length 0
		.amdhsa_user_sgpr_kernarg_preload_offset 0
		.amdhsa_user_sgpr_private_segment_size 0
		.amdhsa_uses_dynamic_stack 0
		.amdhsa_enable_private_segment 0
		.amdhsa_system_sgpr_workgroup_id_x 1
		.amdhsa_system_sgpr_workgroup_id_y 0
		.amdhsa_system_sgpr_workgroup_id_z 0
		.amdhsa_system_sgpr_workgroup_info 0
		.amdhsa_system_vgpr_workitem_id 0
		.amdhsa_next_free_vgpr 15
		.amdhsa_next_free_sgpr 8
		.amdhsa_accum_offset 16
		.amdhsa_reserve_vcc 1
		.amdhsa_float_round_mode_32 0
		.amdhsa_float_round_mode_16_64 0
		.amdhsa_float_denorm_mode_32 3
		.amdhsa_float_denorm_mode_16_64 3
		.amdhsa_dx10_clamp 1
		.amdhsa_ieee_mode 1
		.amdhsa_fp16_overflow 0
		.amdhsa_tg_split 0
		.amdhsa_exception_fp_ieee_invalid_op 0
		.amdhsa_exception_fp_denorm_src 0
		.amdhsa_exception_fp_ieee_div_zero 0
		.amdhsa_exception_fp_ieee_overflow 0
		.amdhsa_exception_fp_ieee_underflow 0
		.amdhsa_exception_fp_ieee_inexact 0
		.amdhsa_exception_int_div_zero 0
	.end_amdhsa_kernel
	.section	.text._ZL22dequantize_block_iq1_mIN3c104HalfEEvPKvPT_,"axG",@progbits,_ZL22dequantize_block_iq1_mIN3c104HalfEEvPKvPT_,comdat
.Lfunc_end37:
	.size	_ZL22dequantize_block_iq1_mIN3c104HalfEEvPKvPT_, .Lfunc_end37-_ZL22dequantize_block_iq1_mIN3c104HalfEEvPKvPT_
                                        ; -- End function
	.set _ZL22dequantize_block_iq1_mIN3c104HalfEEvPKvPT_.num_vgpr, 15
	.set _ZL22dequantize_block_iq1_mIN3c104HalfEEvPKvPT_.num_agpr, 0
	.set _ZL22dequantize_block_iq1_mIN3c104HalfEEvPKvPT_.numbered_sgpr, 8
	.set _ZL22dequantize_block_iq1_mIN3c104HalfEEvPKvPT_.num_named_barrier, 0
	.set _ZL22dequantize_block_iq1_mIN3c104HalfEEvPKvPT_.private_seg_size, 0
	.set _ZL22dequantize_block_iq1_mIN3c104HalfEEvPKvPT_.uses_vcc, 1
	.set _ZL22dequantize_block_iq1_mIN3c104HalfEEvPKvPT_.uses_flat_scratch, 0
	.set _ZL22dequantize_block_iq1_mIN3c104HalfEEvPKvPT_.has_dyn_sized_stack, 0
	.set _ZL22dequantize_block_iq1_mIN3c104HalfEEvPKvPT_.has_recursion, 0
	.set _ZL22dequantize_block_iq1_mIN3c104HalfEEvPKvPT_.has_indirect_call, 0
	.section	.AMDGPU.csdata,"",@progbits
; Kernel info:
; codeLenInByte = 592
; TotalNumSgprs: 14
; NumVgprs: 15
; NumAgprs: 0
; TotalNumVgprs: 15
; ScratchSize: 0
; MemoryBound: 0
; FloatMode: 240
; IeeeMode: 1
; LDSByteSize: 0 bytes/workgroup (compile time only)
; SGPRBlocks: 1
; VGPRBlocks: 1
; NumSGPRsForWavesPerEU: 14
; NumVGPRsForWavesPerEU: 15
; AccumOffset: 16
; Occupancy: 8
; WaveLimiterHint : 0
; COMPUTE_PGM_RSRC2:SCRATCH_EN: 0
; COMPUTE_PGM_RSRC2:USER_SGPR: 2
; COMPUTE_PGM_RSRC2:TRAP_HANDLER: 0
; COMPUTE_PGM_RSRC2:TGID_X_EN: 1
; COMPUTE_PGM_RSRC2:TGID_Y_EN: 0
; COMPUTE_PGM_RSRC2:TGID_Z_EN: 0
; COMPUTE_PGM_RSRC2:TIDIG_COMP_CNT: 0
; COMPUTE_PGM_RSRC3_GFX90A:ACCUM_OFFSET: 3
; COMPUTE_PGM_RSRC3_GFX90A:TG_SPLIT: 0
	.section	.text._ZL16dequantize_blockILi32ELi2EXadL_ZL15dequantize_q4_0PKviiR7__half2EEN3c108BFloat16EEvS1_PT2_i,"axG",@progbits,_ZL16dequantize_blockILi32ELi2EXadL_ZL15dequantize_q4_0PKviiR7__half2EEN3c108BFloat16EEvS1_PT2_i,comdat
	.globl	_ZL16dequantize_blockILi32ELi2EXadL_ZL15dequantize_q4_0PKviiR7__half2EEN3c108BFloat16EEvS1_PT2_i ; -- Begin function _ZL16dequantize_blockILi32ELi2EXadL_ZL15dequantize_q4_0PKviiR7__half2EEN3c108BFloat16EEvS1_PT2_i
	.p2align	8
	.type	_ZL16dequantize_blockILi32ELi2EXadL_ZL15dequantize_q4_0PKviiR7__half2EEN3c108BFloat16EEvS1_PT2_i,@function
_ZL16dequantize_blockILi32ELi2EXadL_ZL15dequantize_q4_0PKviiR7__half2EEN3c108BFloat16EEvS1_PT2_i: ; @_ZL16dequantize_blockILi32ELi2EXadL_ZL15dequantize_q4_0PKviiR7__half2EEN3c108BFloat16EEvS1_PT2_i
; %bb.0:
	s_load_dword s3, s[0:1], 0x24
	s_load_dword s4, s[0:1], 0x10
	s_waitcnt lgkmcnt(0)
	s_and_b32 s3, s3, 0xffff
	s_mul_i32 s2, s2, s3
	v_add_lshl_u32 v0, s2, v0, 1
	v_cmp_gt_i32_e32 vcc, s4, v0
	s_and_saveexec_b64 s[2:3], vcc
	s_cbranch_execz .LBB38_2
; %bb.1:
	v_ashrrev_i32_e32 v1, 31, v0
	s_load_dwordx4 s[0:3], s[0:1], 0x0
	v_lshrrev_b32_e32 v1, 27, v1
	v_add_u32_e32 v1, v0, v1
	v_and_b32_e32 v6, 0xffffffe0, v1
	v_sub_u32_e32 v0, v0, v6
	v_ashrrev_i32_e32 v2, 5, v1
	v_ashrrev_i32_e32 v0, 1, v0
	s_waitcnt lgkmcnt(0)
	v_mad_i64_i32 v[2:3], s[0:1], v2, 18, s[0:1]
	v_ashrrev_i32_e32 v1, 31, v0
	v_lshl_add_u64 v[4:5], v[2:3], 0, v[0:1]
	global_load_ushort v7, v[2:3], off
	global_load_ubyte v8, v[4:5], off offset:2
	s_mov_b32 s0, 0xc800
	s_movk_i32 s1, 0x7fff
	v_add_u32_e32 v0, v6, v0
	v_mov_b32_e32 v2, 0x7fc0
	v_ashrrev_i32_e32 v1, 31, v0
	v_lshl_add_u64 v[0:1], v[0:1], 1, s[2:3]
	s_waitcnt vmcnt(1)
	v_lshl_or_b32 v3, v7, 16, v7
	s_waitcnt vmcnt(0)
	v_and_b32_e32 v4, 15, v8
	v_lshrrev_b32_e32 v5, 4, v8
	v_cvt_f32_ubyte0_e32 v4, v4
	v_cvt_f32_ubyte0_e32 v5, v5
	v_cvt_pk_f16_f32 v4, v4, v5
	v_pk_add_f16 v4, v4, s0 op_sel_hi:[1,0]
	s_nop 0
	v_pk_mul_f16 v3, v4, v3
	s_nop 0
	v_cvt_f32_f16_e32 v4, v3
	v_cvt_f32_f16_sdwa v5, v3 dst_sel:DWORD dst_unused:UNUSED_PAD src0_sel:WORD_1
	v_cmp_o_f16_sdwa vcc, v3, v3 src0_sel:WORD_1 src1_sel:WORD_1
	v_bfe_u32 v6, v4, 16, 1
	v_bfe_u32 v7, v5, 16, 1
	v_add3_u32 v4, v4, v6, s1
	v_add3_u32 v5, v5, v7, s1
	v_lshrrev_b32_e32 v4, 16, v4
	v_cndmask_b32_sdwa v5, v2, v5, vcc dst_sel:DWORD dst_unused:UNUSED_PAD src0_sel:DWORD src1_sel:WORD_1
	v_cmp_o_f16_e32 vcc, v3, v3
	s_nop 1
	v_cndmask_b32_e32 v2, v2, v4, vcc
	global_store_short v[0:1], v2, off
	global_store_short v[0:1], v5, off offset:32
.LBB38_2:
	s_endpgm
	.section	.rodata,"a",@progbits
	.p2align	6, 0x0
	.amdhsa_kernel _ZL16dequantize_blockILi32ELi2EXadL_ZL15dequantize_q4_0PKviiR7__half2EEN3c108BFloat16EEvS1_PT2_i
		.amdhsa_group_segment_fixed_size 0
		.amdhsa_private_segment_fixed_size 0
		.amdhsa_kernarg_size 280
		.amdhsa_user_sgpr_count 2
		.amdhsa_user_sgpr_dispatch_ptr 0
		.amdhsa_user_sgpr_queue_ptr 0
		.amdhsa_user_sgpr_kernarg_segment_ptr 1
		.amdhsa_user_sgpr_dispatch_id 0
		.amdhsa_user_sgpr_kernarg_preload_length 0
		.amdhsa_user_sgpr_kernarg_preload_offset 0
		.amdhsa_user_sgpr_private_segment_size 0
		.amdhsa_uses_dynamic_stack 0
		.amdhsa_enable_private_segment 0
		.amdhsa_system_sgpr_workgroup_id_x 1
		.amdhsa_system_sgpr_workgroup_id_y 0
		.amdhsa_system_sgpr_workgroup_id_z 0
		.amdhsa_system_sgpr_workgroup_info 0
		.amdhsa_system_vgpr_workitem_id 0
		.amdhsa_next_free_vgpr 9
		.amdhsa_next_free_sgpr 5
		.amdhsa_accum_offset 12
		.amdhsa_reserve_vcc 1
		.amdhsa_float_round_mode_32 0
		.amdhsa_float_round_mode_16_64 0
		.amdhsa_float_denorm_mode_32 3
		.amdhsa_float_denorm_mode_16_64 3
		.amdhsa_dx10_clamp 1
		.amdhsa_ieee_mode 1
		.amdhsa_fp16_overflow 0
		.amdhsa_tg_split 0
		.amdhsa_exception_fp_ieee_invalid_op 0
		.amdhsa_exception_fp_denorm_src 0
		.amdhsa_exception_fp_ieee_div_zero 0
		.amdhsa_exception_fp_ieee_overflow 0
		.amdhsa_exception_fp_ieee_underflow 0
		.amdhsa_exception_fp_ieee_inexact 0
		.amdhsa_exception_int_div_zero 0
	.end_amdhsa_kernel
	.section	.text._ZL16dequantize_blockILi32ELi2EXadL_ZL15dequantize_q4_0PKviiR7__half2EEN3c108BFloat16EEvS1_PT2_i,"axG",@progbits,_ZL16dequantize_blockILi32ELi2EXadL_ZL15dequantize_q4_0PKviiR7__half2EEN3c108BFloat16EEvS1_PT2_i,comdat
.Lfunc_end38:
	.size	_ZL16dequantize_blockILi32ELi2EXadL_ZL15dequantize_q4_0PKviiR7__half2EEN3c108BFloat16EEvS1_PT2_i, .Lfunc_end38-_ZL16dequantize_blockILi32ELi2EXadL_ZL15dequantize_q4_0PKviiR7__half2EEN3c108BFloat16EEvS1_PT2_i
                                        ; -- End function
	.set _ZL16dequantize_blockILi32ELi2EXadL_ZL15dequantize_q4_0PKviiR7__half2EEN3c108BFloat16EEvS1_PT2_i.num_vgpr, 9
	.set _ZL16dequantize_blockILi32ELi2EXadL_ZL15dequantize_q4_0PKviiR7__half2EEN3c108BFloat16EEvS1_PT2_i.num_agpr, 0
	.set _ZL16dequantize_blockILi32ELi2EXadL_ZL15dequantize_q4_0PKviiR7__half2EEN3c108BFloat16EEvS1_PT2_i.numbered_sgpr, 5
	.set _ZL16dequantize_blockILi32ELi2EXadL_ZL15dequantize_q4_0PKviiR7__half2EEN3c108BFloat16EEvS1_PT2_i.num_named_barrier, 0
	.set _ZL16dequantize_blockILi32ELi2EXadL_ZL15dequantize_q4_0PKviiR7__half2EEN3c108BFloat16EEvS1_PT2_i.private_seg_size, 0
	.set _ZL16dequantize_blockILi32ELi2EXadL_ZL15dequantize_q4_0PKviiR7__half2EEN3c108BFloat16EEvS1_PT2_i.uses_vcc, 1
	.set _ZL16dequantize_blockILi32ELi2EXadL_ZL15dequantize_q4_0PKviiR7__half2EEN3c108BFloat16EEvS1_PT2_i.uses_flat_scratch, 0
	.set _ZL16dequantize_blockILi32ELi2EXadL_ZL15dequantize_q4_0PKviiR7__half2EEN3c108BFloat16EEvS1_PT2_i.has_dyn_sized_stack, 0
	.set _ZL16dequantize_blockILi32ELi2EXadL_ZL15dequantize_q4_0PKviiR7__half2EEN3c108BFloat16EEvS1_PT2_i.has_recursion, 0
	.set _ZL16dequantize_blockILi32ELi2EXadL_ZL15dequantize_q4_0PKviiR7__half2EEN3c108BFloat16EEvS1_PT2_i.has_indirect_call, 0
	.section	.AMDGPU.csdata,"",@progbits
; Kernel info:
; codeLenInByte = 328
; TotalNumSgprs: 11
; NumVgprs: 9
; NumAgprs: 0
; TotalNumVgprs: 9
; ScratchSize: 0
; MemoryBound: 0
; FloatMode: 240
; IeeeMode: 1
; LDSByteSize: 0 bytes/workgroup (compile time only)
; SGPRBlocks: 1
; VGPRBlocks: 1
; NumSGPRsForWavesPerEU: 11
; NumVGPRsForWavesPerEU: 9
; AccumOffset: 12
; Occupancy: 8
; WaveLimiterHint : 0
; COMPUTE_PGM_RSRC2:SCRATCH_EN: 0
; COMPUTE_PGM_RSRC2:USER_SGPR: 2
; COMPUTE_PGM_RSRC2:TRAP_HANDLER: 0
; COMPUTE_PGM_RSRC2:TGID_X_EN: 1
; COMPUTE_PGM_RSRC2:TGID_Y_EN: 0
; COMPUTE_PGM_RSRC2:TGID_Z_EN: 0
; COMPUTE_PGM_RSRC2:TIDIG_COMP_CNT: 0
; COMPUTE_PGM_RSRC3_GFX90A:ACCUM_OFFSET: 2
; COMPUTE_PGM_RSRC3_GFX90A:TG_SPLIT: 0
	.section	.text._ZL16dequantize_blockILi32ELi2EXadL_ZL15dequantize_q4_1PKviiR7__half2EEN3c108BFloat16EEvS1_PT2_i,"axG",@progbits,_ZL16dequantize_blockILi32ELi2EXadL_ZL15dequantize_q4_1PKviiR7__half2EEN3c108BFloat16EEvS1_PT2_i,comdat
	.globl	_ZL16dequantize_blockILi32ELi2EXadL_ZL15dequantize_q4_1PKviiR7__half2EEN3c108BFloat16EEvS1_PT2_i ; -- Begin function _ZL16dequantize_blockILi32ELi2EXadL_ZL15dequantize_q4_1PKviiR7__half2EEN3c108BFloat16EEvS1_PT2_i
	.p2align	8
	.type	_ZL16dequantize_blockILi32ELi2EXadL_ZL15dequantize_q4_1PKviiR7__half2EEN3c108BFloat16EEvS1_PT2_i,@function
_ZL16dequantize_blockILi32ELi2EXadL_ZL15dequantize_q4_1PKviiR7__half2EEN3c108BFloat16EEvS1_PT2_i: ; @_ZL16dequantize_blockILi32ELi2EXadL_ZL15dequantize_q4_1PKviiR7__half2EEN3c108BFloat16EEvS1_PT2_i
; %bb.0:
	s_load_dword s3, s[0:1], 0x24
	s_load_dword s4, s[0:1], 0x10
	s_waitcnt lgkmcnt(0)
	s_and_b32 s3, s3, 0xffff
	s_mul_i32 s2, s2, s3
	v_add_lshl_u32 v0, s2, v0, 1
	v_cmp_gt_i32_e32 vcc, s4, v0
	s_and_saveexec_b64 s[2:3], vcc
	s_cbranch_execz .LBB39_2
; %bb.1:
	v_ashrrev_i32_e32 v1, 31, v0
	s_load_dwordx4 s[0:3], s[0:1], 0x0
	v_lshrrev_b32_e32 v1, 27, v1
	v_add_u32_e32 v1, v0, v1
	v_and_b32_e32 v4, 0xffffffe0, v1
	v_sub_u32_e32 v0, v0, v4
	v_ashrrev_i32_e32 v2, 5, v1
	v_ashrrev_i32_e32 v0, 1, v0
	s_waitcnt lgkmcnt(0)
	v_mad_i64_i32 v[2:3], s[0:1], v2, 20, s[0:1]
	v_ashrrev_i32_e32 v1, 31, v0
	global_load_dword v5, v[2:3], off
	v_lshl_add_u64 v[2:3], v[2:3], 0, v[0:1]
	global_load_ubyte v2, v[2:3], off offset:4
	s_mov_b32 s0, 0x10001
	s_mov_b32 s1, 0xffff0000
	v_add_u32_e32 v0, v4, v0
	s_movk_i32 s4, 0x7fff
	v_mov_b32_e32 v3, 0x7fc0
	v_ashrrev_i32_e32 v1, 31, v0
	v_lshl_add_u64 v[0:1], v[0:1], 1, s[2:3]
	s_waitcnt vmcnt(1)
	v_lshrrev_b32_e32 v4, 16, v5
	v_mul_u32_u24_sdwa v6, v5, s0 dst_sel:DWORD dst_unused:UNUSED_PAD src0_sel:WORD_0 src1_sel:DWORD
	v_and_or_b32 v4, v5, s1, v4
	s_waitcnt vmcnt(0)
	v_and_b32_e32 v5, 15, v2
	v_lshrrev_b32_e32 v2, 4, v2
	v_cvt_f32_ubyte0_e32 v5, v5
	v_cvt_f32_ubyte0_e32 v2, v2
	v_cvt_pk_f16_f32 v2, v5, v2
	v_pk_fma_f16 v2, v2, v6, v4
	s_nop 0
	v_cvt_f32_f16_e32 v4, v2
	v_cvt_f32_f16_sdwa v5, v2 dst_sel:DWORD dst_unused:UNUSED_PAD src0_sel:WORD_1
	v_cmp_o_f16_sdwa vcc, v2, v2 src0_sel:WORD_1 src1_sel:WORD_1
	v_bfe_u32 v6, v4, 16, 1
	v_bfe_u32 v7, v5, 16, 1
	v_add3_u32 v4, v4, v6, s4
	v_add3_u32 v5, v5, v7, s4
	v_lshrrev_b32_e32 v4, 16, v4
	v_cndmask_b32_sdwa v5, v3, v5, vcc dst_sel:DWORD dst_unused:UNUSED_PAD src0_sel:DWORD src1_sel:WORD_1
	v_cmp_o_f16_e32 vcc, v2, v2
	s_nop 1
	v_cndmask_b32_e32 v2, v3, v4, vcc
	global_store_short v[0:1], v2, off
	global_store_short v[0:1], v5, off offset:32
.LBB39_2:
	s_endpgm
	.section	.rodata,"a",@progbits
	.p2align	6, 0x0
	.amdhsa_kernel _ZL16dequantize_blockILi32ELi2EXadL_ZL15dequantize_q4_1PKviiR7__half2EEN3c108BFloat16EEvS1_PT2_i
		.amdhsa_group_segment_fixed_size 0
		.amdhsa_private_segment_fixed_size 0
		.amdhsa_kernarg_size 280
		.amdhsa_user_sgpr_count 2
		.amdhsa_user_sgpr_dispatch_ptr 0
		.amdhsa_user_sgpr_queue_ptr 0
		.amdhsa_user_sgpr_kernarg_segment_ptr 1
		.amdhsa_user_sgpr_dispatch_id 0
		.amdhsa_user_sgpr_kernarg_preload_length 0
		.amdhsa_user_sgpr_kernarg_preload_offset 0
		.amdhsa_user_sgpr_private_segment_size 0
		.amdhsa_uses_dynamic_stack 0
		.amdhsa_enable_private_segment 0
		.amdhsa_system_sgpr_workgroup_id_x 1
		.amdhsa_system_sgpr_workgroup_id_y 0
		.amdhsa_system_sgpr_workgroup_id_z 0
		.amdhsa_system_sgpr_workgroup_info 0
		.amdhsa_system_vgpr_workitem_id 0
		.amdhsa_next_free_vgpr 8
		.amdhsa_next_free_sgpr 5
		.amdhsa_accum_offset 8
		.amdhsa_reserve_vcc 1
		.amdhsa_float_round_mode_32 0
		.amdhsa_float_round_mode_16_64 0
		.amdhsa_float_denorm_mode_32 3
		.amdhsa_float_denorm_mode_16_64 3
		.amdhsa_dx10_clamp 1
		.amdhsa_ieee_mode 1
		.amdhsa_fp16_overflow 0
		.amdhsa_tg_split 0
		.amdhsa_exception_fp_ieee_invalid_op 0
		.amdhsa_exception_fp_denorm_src 0
		.amdhsa_exception_fp_ieee_div_zero 0
		.amdhsa_exception_fp_ieee_overflow 0
		.amdhsa_exception_fp_ieee_underflow 0
		.amdhsa_exception_fp_ieee_inexact 0
		.amdhsa_exception_int_div_zero 0
	.end_amdhsa_kernel
	.section	.text._ZL16dequantize_blockILi32ELi2EXadL_ZL15dequantize_q4_1PKviiR7__half2EEN3c108BFloat16EEvS1_PT2_i,"axG",@progbits,_ZL16dequantize_blockILi32ELi2EXadL_ZL15dequantize_q4_1PKviiR7__half2EEN3c108BFloat16EEvS1_PT2_i,comdat
.Lfunc_end39:
	.size	_ZL16dequantize_blockILi32ELi2EXadL_ZL15dequantize_q4_1PKviiR7__half2EEN3c108BFloat16EEvS1_PT2_i, .Lfunc_end39-_ZL16dequantize_blockILi32ELi2EXadL_ZL15dequantize_q4_1PKviiR7__half2EEN3c108BFloat16EEvS1_PT2_i
                                        ; -- End function
	.set _ZL16dequantize_blockILi32ELi2EXadL_ZL15dequantize_q4_1PKviiR7__half2EEN3c108BFloat16EEvS1_PT2_i.num_vgpr, 8
	.set _ZL16dequantize_blockILi32ELi2EXadL_ZL15dequantize_q4_1PKviiR7__half2EEN3c108BFloat16EEvS1_PT2_i.num_agpr, 0
	.set _ZL16dequantize_blockILi32ELi2EXadL_ZL15dequantize_q4_1PKviiR7__half2EEN3c108BFloat16EEvS1_PT2_i.numbered_sgpr, 5
	.set _ZL16dequantize_blockILi32ELi2EXadL_ZL15dequantize_q4_1PKviiR7__half2EEN3c108BFloat16EEvS1_PT2_i.num_named_barrier, 0
	.set _ZL16dequantize_blockILi32ELi2EXadL_ZL15dequantize_q4_1PKviiR7__half2EEN3c108BFloat16EEvS1_PT2_i.private_seg_size, 0
	.set _ZL16dequantize_blockILi32ELi2EXadL_ZL15dequantize_q4_1PKviiR7__half2EEN3c108BFloat16EEvS1_PT2_i.uses_vcc, 1
	.set _ZL16dequantize_blockILi32ELi2EXadL_ZL15dequantize_q4_1PKviiR7__half2EEN3c108BFloat16EEvS1_PT2_i.uses_flat_scratch, 0
	.set _ZL16dequantize_blockILi32ELi2EXadL_ZL15dequantize_q4_1PKviiR7__half2EEN3c108BFloat16EEvS1_PT2_i.has_dyn_sized_stack, 0
	.set _ZL16dequantize_blockILi32ELi2EXadL_ZL15dequantize_q4_1PKviiR7__half2EEN3c108BFloat16EEvS1_PT2_i.has_recursion, 0
	.set _ZL16dequantize_blockILi32ELi2EXadL_ZL15dequantize_q4_1PKviiR7__half2EEN3c108BFloat16EEvS1_PT2_i.has_indirect_call, 0
	.section	.AMDGPU.csdata,"",@progbits
; Kernel info:
; codeLenInByte = 336
; TotalNumSgprs: 11
; NumVgprs: 8
; NumAgprs: 0
; TotalNumVgprs: 8
; ScratchSize: 0
; MemoryBound: 0
; FloatMode: 240
; IeeeMode: 1
; LDSByteSize: 0 bytes/workgroup (compile time only)
; SGPRBlocks: 1
; VGPRBlocks: 0
; NumSGPRsForWavesPerEU: 11
; NumVGPRsForWavesPerEU: 8
; AccumOffset: 8
; Occupancy: 8
; WaveLimiterHint : 0
; COMPUTE_PGM_RSRC2:SCRATCH_EN: 0
; COMPUTE_PGM_RSRC2:USER_SGPR: 2
; COMPUTE_PGM_RSRC2:TRAP_HANDLER: 0
; COMPUTE_PGM_RSRC2:TGID_X_EN: 1
; COMPUTE_PGM_RSRC2:TGID_Y_EN: 0
; COMPUTE_PGM_RSRC2:TGID_Z_EN: 0
; COMPUTE_PGM_RSRC2:TIDIG_COMP_CNT: 0
; COMPUTE_PGM_RSRC3_GFX90A:ACCUM_OFFSET: 1
; COMPUTE_PGM_RSRC3_GFX90A:TG_SPLIT: 0
	.section	.text._ZL16dequantize_blockILi32ELi2EXadL_ZL15dequantize_q5_0PKviiR7__half2EEN3c108BFloat16EEvS1_PT2_i,"axG",@progbits,_ZL16dequantize_blockILi32ELi2EXadL_ZL15dequantize_q5_0PKviiR7__half2EEN3c108BFloat16EEvS1_PT2_i,comdat
	.globl	_ZL16dequantize_blockILi32ELi2EXadL_ZL15dequantize_q5_0PKviiR7__half2EEN3c108BFloat16EEvS1_PT2_i ; -- Begin function _ZL16dequantize_blockILi32ELi2EXadL_ZL15dequantize_q5_0PKviiR7__half2EEN3c108BFloat16EEvS1_PT2_i
	.p2align	8
	.type	_ZL16dequantize_blockILi32ELi2EXadL_ZL15dequantize_q5_0PKviiR7__half2EEN3c108BFloat16EEvS1_PT2_i,@function
_ZL16dequantize_blockILi32ELi2EXadL_ZL15dequantize_q5_0PKviiR7__half2EEN3c108BFloat16EEvS1_PT2_i: ; @_ZL16dequantize_blockILi32ELi2EXadL_ZL15dequantize_q5_0PKviiR7__half2EEN3c108BFloat16EEvS1_PT2_i
; %bb.0:
	s_load_dword s3, s[0:1], 0x24
	s_load_dword s4, s[0:1], 0x10
	s_waitcnt lgkmcnt(0)
	s_and_b32 s3, s3, 0xffff
	s_mul_i32 s2, s2, s3
	v_add_lshl_u32 v0, s2, v0, 1
	v_cmp_gt_i32_e32 vcc, s4, v0
	s_and_saveexec_b64 s[2:3], vcc
	s_cbranch_execz .LBB40_2
; %bb.1:
	s_load_dwordx4 s[0:3], s[0:1], 0x0
	v_ashrrev_i32_e32 v1, 31, v0
	v_lshrrev_b32_e32 v1, 27, v1
	v_add_u32_e32 v1, v0, v1
	v_and_b32_e32 v6, 0xffffffe0, v1
	v_ashrrev_i32_e32 v2, 5, v1
	v_sub_u32_e32 v0, v0, v6
	s_waitcnt lgkmcnt(0)
	v_mad_i64_i32 v[2:3], s[0:1], v2, 22, s[0:1]
	v_ashrrev_i32_e32 v0, 1, v0
	global_load_dword v4, v[2:3], off
	global_load_ushort v5, v[2:3], off offset:4
	v_ashrrev_i32_e32 v1, 31, v0
	v_lshl_add_u64 v[2:3], v[2:3], 0, v[0:1]
	global_load_ubyte v1, v[2:3], off offset:6
	s_mov_b32 s0, 0x1000706
	v_add_u32_e32 v8, 12, v0
	v_add_u32_e32 v2, v6, v0
	s_mov_b32 s1, 0xcc00
	v_ashrrev_i32_e32 v3, 31, v2
	s_movk_i32 s4, 0x7fff
	v_mov_b32_e32 v7, 0x7fc0
	s_waitcnt vmcnt(2)
	v_and_b32_e32 v6, 0xffff, v4
	s_waitcnt vmcnt(1)
	v_perm_b32 v5, v4, v5, s0
	v_lshrrev_b32_e32 v0, v0, v5
	v_lshrrev_b32_e32 v5, v8, v5
	v_lshl_or_b32 v4, v4, 16, v6
	v_lshlrev_b32_e32 v0, 4, v0
	s_waitcnt vmcnt(0)
	v_and_b32_e32 v6, 15, v1
	v_lshrrev_b16_e32 v1, 4, v1
	v_and_or_b32 v0, v0, 16, v6
	v_and_or_b32 v1, v5, 16, v1
	v_cvt_f32_ubyte0_e32 v0, v0
	v_cvt_f32_ubyte0_e32 v1, v1
	v_cvt_pk_f16_f32 v0, v0, v1
	v_pk_add_f16 v0, v0, s1 op_sel_hi:[1,0]
	s_nop 0
	v_pk_mul_f16 v4, v0, v4
	v_lshl_add_u64 v[0:1], v[2:3], 1, s[2:3]
	v_cvt_f32_f16_e32 v5, v4
	v_cvt_f32_f16_sdwa v6, v4 dst_sel:DWORD dst_unused:UNUSED_PAD src0_sel:WORD_1
	v_cmp_o_f16_sdwa vcc, v4, v4 src0_sel:WORD_1 src1_sel:WORD_1
	v_bfe_u32 v2, v5, 16, 1
	v_bfe_u32 v3, v6, 16, 1
	v_add3_u32 v2, v5, v2, s4
	v_add3_u32 v3, v6, v3, s4
	v_lshrrev_b32_e32 v2, 16, v2
	v_cndmask_b32_sdwa v3, v7, v3, vcc dst_sel:DWORD dst_unused:UNUSED_PAD src0_sel:DWORD src1_sel:WORD_1
	v_cmp_o_f16_e32 vcc, v4, v4
	s_nop 1
	v_cndmask_b32_e32 v2, v7, v2, vcc
	global_store_short v[0:1], v2, off
	global_store_short v[0:1], v3, off offset:32
.LBB40_2:
	s_endpgm
	.section	.rodata,"a",@progbits
	.p2align	6, 0x0
	.amdhsa_kernel _ZL16dequantize_blockILi32ELi2EXadL_ZL15dequantize_q5_0PKviiR7__half2EEN3c108BFloat16EEvS1_PT2_i
		.amdhsa_group_segment_fixed_size 0
		.amdhsa_private_segment_fixed_size 0
		.amdhsa_kernarg_size 280
		.amdhsa_user_sgpr_count 2
		.amdhsa_user_sgpr_dispatch_ptr 0
		.amdhsa_user_sgpr_queue_ptr 0
		.amdhsa_user_sgpr_kernarg_segment_ptr 1
		.amdhsa_user_sgpr_dispatch_id 0
		.amdhsa_user_sgpr_kernarg_preload_length 0
		.amdhsa_user_sgpr_kernarg_preload_offset 0
		.amdhsa_user_sgpr_private_segment_size 0
		.amdhsa_uses_dynamic_stack 0
		.amdhsa_enable_private_segment 0
		.amdhsa_system_sgpr_workgroup_id_x 1
		.amdhsa_system_sgpr_workgroup_id_y 0
		.amdhsa_system_sgpr_workgroup_id_z 0
		.amdhsa_system_sgpr_workgroup_info 0
		.amdhsa_system_vgpr_workitem_id 0
		.amdhsa_next_free_vgpr 9
		.amdhsa_next_free_sgpr 5
		.amdhsa_accum_offset 12
		.amdhsa_reserve_vcc 1
		.amdhsa_float_round_mode_32 0
		.amdhsa_float_round_mode_16_64 0
		.amdhsa_float_denorm_mode_32 3
		.amdhsa_float_denorm_mode_16_64 3
		.amdhsa_dx10_clamp 1
		.amdhsa_ieee_mode 1
		.amdhsa_fp16_overflow 0
		.amdhsa_tg_split 0
		.amdhsa_exception_fp_ieee_invalid_op 0
		.amdhsa_exception_fp_denorm_src 0
		.amdhsa_exception_fp_ieee_div_zero 0
		.amdhsa_exception_fp_ieee_overflow 0
		.amdhsa_exception_fp_ieee_underflow 0
		.amdhsa_exception_fp_ieee_inexact 0
		.amdhsa_exception_int_div_zero 0
	.end_amdhsa_kernel
	.section	.text._ZL16dequantize_blockILi32ELi2EXadL_ZL15dequantize_q5_0PKviiR7__half2EEN3c108BFloat16EEvS1_PT2_i,"axG",@progbits,_ZL16dequantize_blockILi32ELi2EXadL_ZL15dequantize_q5_0PKviiR7__half2EEN3c108BFloat16EEvS1_PT2_i,comdat
.Lfunc_end40:
	.size	_ZL16dequantize_blockILi32ELi2EXadL_ZL15dequantize_q5_0PKviiR7__half2EEN3c108BFloat16EEvS1_PT2_i, .Lfunc_end40-_ZL16dequantize_blockILi32ELi2EXadL_ZL15dequantize_q5_0PKviiR7__half2EEN3c108BFloat16EEvS1_PT2_i
                                        ; -- End function
	.set _ZL16dequantize_blockILi32ELi2EXadL_ZL15dequantize_q5_0PKviiR7__half2EEN3c108BFloat16EEvS1_PT2_i.num_vgpr, 9
	.set _ZL16dequantize_blockILi32ELi2EXadL_ZL15dequantize_q5_0PKviiR7__half2EEN3c108BFloat16EEvS1_PT2_i.num_agpr, 0
	.set _ZL16dequantize_blockILi32ELi2EXadL_ZL15dequantize_q5_0PKviiR7__half2EEN3c108BFloat16EEvS1_PT2_i.numbered_sgpr, 5
	.set _ZL16dequantize_blockILi32ELi2EXadL_ZL15dequantize_q5_0PKviiR7__half2EEN3c108BFloat16EEvS1_PT2_i.num_named_barrier, 0
	.set _ZL16dequantize_blockILi32ELi2EXadL_ZL15dequantize_q5_0PKviiR7__half2EEN3c108BFloat16EEvS1_PT2_i.private_seg_size, 0
	.set _ZL16dequantize_blockILi32ELi2EXadL_ZL15dequantize_q5_0PKviiR7__half2EEN3c108BFloat16EEvS1_PT2_i.uses_vcc, 1
	.set _ZL16dequantize_blockILi32ELi2EXadL_ZL15dequantize_q5_0PKviiR7__half2EEN3c108BFloat16EEvS1_PT2_i.uses_flat_scratch, 0
	.set _ZL16dequantize_blockILi32ELi2EXadL_ZL15dequantize_q5_0PKviiR7__half2EEN3c108BFloat16EEvS1_PT2_i.has_dyn_sized_stack, 0
	.set _ZL16dequantize_blockILi32ELi2EXadL_ZL15dequantize_q5_0PKviiR7__half2EEN3c108BFloat16EEvS1_PT2_i.has_recursion, 0
	.set _ZL16dequantize_blockILi32ELi2EXadL_ZL15dequantize_q5_0PKviiR7__half2EEN3c108BFloat16EEvS1_PT2_i.has_indirect_call, 0
	.section	.AMDGPU.csdata,"",@progbits
; Kernel info:
; codeLenInByte = 392
; TotalNumSgprs: 11
; NumVgprs: 9
; NumAgprs: 0
; TotalNumVgprs: 9
; ScratchSize: 0
; MemoryBound: 0
; FloatMode: 240
; IeeeMode: 1
; LDSByteSize: 0 bytes/workgroup (compile time only)
; SGPRBlocks: 1
; VGPRBlocks: 1
; NumSGPRsForWavesPerEU: 11
; NumVGPRsForWavesPerEU: 9
; AccumOffset: 12
; Occupancy: 8
; WaveLimiterHint : 0
; COMPUTE_PGM_RSRC2:SCRATCH_EN: 0
; COMPUTE_PGM_RSRC2:USER_SGPR: 2
; COMPUTE_PGM_RSRC2:TRAP_HANDLER: 0
; COMPUTE_PGM_RSRC2:TGID_X_EN: 1
; COMPUTE_PGM_RSRC2:TGID_Y_EN: 0
; COMPUTE_PGM_RSRC2:TGID_Z_EN: 0
; COMPUTE_PGM_RSRC2:TIDIG_COMP_CNT: 0
; COMPUTE_PGM_RSRC3_GFX90A:ACCUM_OFFSET: 2
; COMPUTE_PGM_RSRC3_GFX90A:TG_SPLIT: 0
	.section	.text._ZL16dequantize_blockILi32ELi2EXadL_ZL15dequantize_q5_1PKviiR7__half2EEN3c108BFloat16EEvS1_PT2_i,"axG",@progbits,_ZL16dequantize_blockILi32ELi2EXadL_ZL15dequantize_q5_1PKviiR7__half2EEN3c108BFloat16EEvS1_PT2_i,comdat
	.globl	_ZL16dequantize_blockILi32ELi2EXadL_ZL15dequantize_q5_1PKviiR7__half2EEN3c108BFloat16EEvS1_PT2_i ; -- Begin function _ZL16dequantize_blockILi32ELi2EXadL_ZL15dequantize_q5_1PKviiR7__half2EEN3c108BFloat16EEvS1_PT2_i
	.p2align	8
	.type	_ZL16dequantize_blockILi32ELi2EXadL_ZL15dequantize_q5_1PKviiR7__half2EEN3c108BFloat16EEvS1_PT2_i,@function
_ZL16dequantize_blockILi32ELi2EXadL_ZL15dequantize_q5_1PKviiR7__half2EEN3c108BFloat16EEvS1_PT2_i: ; @_ZL16dequantize_blockILi32ELi2EXadL_ZL15dequantize_q5_1PKviiR7__half2EEN3c108BFloat16EEvS1_PT2_i
; %bb.0:
	s_load_dword s3, s[0:1], 0x24
	s_load_dword s4, s[0:1], 0x10
	s_waitcnt lgkmcnt(0)
	s_and_b32 s3, s3, 0xffff
	s_mul_i32 s2, s2, s3
	v_add_lshl_u32 v0, s2, v0, 1
	v_cmp_gt_i32_e32 vcc, s4, v0
	s_and_saveexec_b64 s[2:3], vcc
	s_cbranch_execz .LBB41_2
; %bb.1:
	v_ashrrev_i32_e32 v1, 31, v0
	s_load_dwordx4 s[0:3], s[0:1], 0x0
	v_lshrrev_b32_e32 v1, 27, v1
	v_add_u32_e32 v1, v0, v1
	v_and_b32_e32 v6, 0xffffffe0, v1
	v_sub_u32_e32 v0, v0, v6
	v_ashrrev_i32_e32 v2, 5, v1
	v_ashrrev_i32_e32 v0, 1, v0
	s_waitcnt lgkmcnt(0)
	v_mad_i64_i32 v[2:3], s[0:1], v2, 24, s[0:1]
	v_ashrrev_i32_e32 v1, 31, v0
	global_load_dwordx2 v[4:5], v[2:3], off
	v_lshl_add_u64 v[2:3], v[2:3], 0, v[0:1]
	global_load_ubyte v1, v[2:3], off offset:8
	s_mov_b32 s0, 0x10001
	s_mov_b32 s1, 0xffff0000
	v_add_u32_e32 v8, 12, v0
	v_add_u32_e32 v2, v6, v0
	v_ashrrev_i32_e32 v3, 31, v2
	s_movk_i32 s4, 0x7fff
	v_mov_b32_e32 v7, 0x7fc0
	s_waitcnt vmcnt(1)
	v_lshrrev_b32_e32 v6, 16, v4
	v_lshrrev_b32_e32 v0, v0, v5
	;; [unrolled: 1-line block ×3, first 2 shown]
	v_mul_u32_u24_sdwa v8, v4, s0 dst_sel:DWORD dst_unused:UNUSED_PAD src0_sel:WORD_0 src1_sel:DWORD
	v_lshlrev_b32_e32 v0, 4, v0
	v_and_or_b32 v4, v4, s1, v6
	s_waitcnt vmcnt(0)
	v_and_b32_e32 v6, 15, v1
	v_lshrrev_b16_e32 v1, 4, v1
	v_and_or_b32 v0, v0, 16, v6
	v_and_or_b32 v1, v5, 16, v1
	v_cvt_f32_ubyte0_e32 v0, v0
	v_cvt_f32_ubyte0_e32 v1, v1
	v_cvt_pk_f16_f32 v0, v0, v1
	v_pk_fma_f16 v4, v0, v8, v4
	v_lshl_add_u64 v[0:1], v[2:3], 1, s[2:3]
	v_cvt_f32_f16_e32 v5, v4
	v_cvt_f32_f16_sdwa v6, v4 dst_sel:DWORD dst_unused:UNUSED_PAD src0_sel:WORD_1
	v_cmp_o_f16_sdwa vcc, v4, v4 src0_sel:WORD_1 src1_sel:WORD_1
	v_bfe_u32 v2, v5, 16, 1
	v_bfe_u32 v3, v6, 16, 1
	v_add3_u32 v2, v5, v2, s4
	v_add3_u32 v3, v6, v3, s4
	v_lshrrev_b32_e32 v2, 16, v2
	v_cndmask_b32_sdwa v3, v7, v3, vcc dst_sel:DWORD dst_unused:UNUSED_PAD src0_sel:DWORD src1_sel:WORD_1
	v_cmp_o_f16_e32 vcc, v4, v4
	s_nop 1
	v_cndmask_b32_e32 v2, v7, v2, vcc
	global_store_short v[0:1], v2, off
	global_store_short v[0:1], v3, off offset:32
.LBB41_2:
	s_endpgm
	.section	.rodata,"a",@progbits
	.p2align	6, 0x0
	.amdhsa_kernel _ZL16dequantize_blockILi32ELi2EXadL_ZL15dequantize_q5_1PKviiR7__half2EEN3c108BFloat16EEvS1_PT2_i
		.amdhsa_group_segment_fixed_size 0
		.amdhsa_private_segment_fixed_size 0
		.amdhsa_kernarg_size 280
		.amdhsa_user_sgpr_count 2
		.amdhsa_user_sgpr_dispatch_ptr 0
		.amdhsa_user_sgpr_queue_ptr 0
		.amdhsa_user_sgpr_kernarg_segment_ptr 1
		.amdhsa_user_sgpr_dispatch_id 0
		.amdhsa_user_sgpr_kernarg_preload_length 0
		.amdhsa_user_sgpr_kernarg_preload_offset 0
		.amdhsa_user_sgpr_private_segment_size 0
		.amdhsa_uses_dynamic_stack 0
		.amdhsa_enable_private_segment 0
		.amdhsa_system_sgpr_workgroup_id_x 1
		.amdhsa_system_sgpr_workgroup_id_y 0
		.amdhsa_system_sgpr_workgroup_id_z 0
		.amdhsa_system_sgpr_workgroup_info 0
		.amdhsa_system_vgpr_workitem_id 0
		.amdhsa_next_free_vgpr 9
		.amdhsa_next_free_sgpr 5
		.amdhsa_accum_offset 12
		.amdhsa_reserve_vcc 1
		.amdhsa_float_round_mode_32 0
		.amdhsa_float_round_mode_16_64 0
		.amdhsa_float_denorm_mode_32 3
		.amdhsa_float_denorm_mode_16_64 3
		.amdhsa_dx10_clamp 1
		.amdhsa_ieee_mode 1
		.amdhsa_fp16_overflow 0
		.amdhsa_tg_split 0
		.amdhsa_exception_fp_ieee_invalid_op 0
		.amdhsa_exception_fp_denorm_src 0
		.amdhsa_exception_fp_ieee_div_zero 0
		.amdhsa_exception_fp_ieee_overflow 0
		.amdhsa_exception_fp_ieee_underflow 0
		.amdhsa_exception_fp_ieee_inexact 0
		.amdhsa_exception_int_div_zero 0
	.end_amdhsa_kernel
	.section	.text._ZL16dequantize_blockILi32ELi2EXadL_ZL15dequantize_q5_1PKviiR7__half2EEN3c108BFloat16EEvS1_PT2_i,"axG",@progbits,_ZL16dequantize_blockILi32ELi2EXadL_ZL15dequantize_q5_1PKviiR7__half2EEN3c108BFloat16EEvS1_PT2_i,comdat
.Lfunc_end41:
	.size	_ZL16dequantize_blockILi32ELi2EXadL_ZL15dequantize_q5_1PKviiR7__half2EEN3c108BFloat16EEvS1_PT2_i, .Lfunc_end41-_ZL16dequantize_blockILi32ELi2EXadL_ZL15dequantize_q5_1PKviiR7__half2EEN3c108BFloat16EEvS1_PT2_i
                                        ; -- End function
	.set _ZL16dequantize_blockILi32ELi2EXadL_ZL15dequantize_q5_1PKviiR7__half2EEN3c108BFloat16EEvS1_PT2_i.num_vgpr, 9
	.set _ZL16dequantize_blockILi32ELi2EXadL_ZL15dequantize_q5_1PKviiR7__half2EEN3c108BFloat16EEvS1_PT2_i.num_agpr, 0
	.set _ZL16dequantize_blockILi32ELi2EXadL_ZL15dequantize_q5_1PKviiR7__half2EEN3c108BFloat16EEvS1_PT2_i.numbered_sgpr, 5
	.set _ZL16dequantize_blockILi32ELi2EXadL_ZL15dequantize_q5_1PKviiR7__half2EEN3c108BFloat16EEvS1_PT2_i.num_named_barrier, 0
	.set _ZL16dequantize_blockILi32ELi2EXadL_ZL15dequantize_q5_1PKviiR7__half2EEN3c108BFloat16EEvS1_PT2_i.private_seg_size, 0
	.set _ZL16dequantize_blockILi32ELi2EXadL_ZL15dequantize_q5_1PKviiR7__half2EEN3c108BFloat16EEvS1_PT2_i.uses_vcc, 1
	.set _ZL16dequantize_blockILi32ELi2EXadL_ZL15dequantize_q5_1PKviiR7__half2EEN3c108BFloat16EEvS1_PT2_i.uses_flat_scratch, 0
	.set _ZL16dequantize_blockILi32ELi2EXadL_ZL15dequantize_q5_1PKviiR7__half2EEN3c108BFloat16EEvS1_PT2_i.has_dyn_sized_stack, 0
	.set _ZL16dequantize_blockILi32ELi2EXadL_ZL15dequantize_q5_1PKviiR7__half2EEN3c108BFloat16EEvS1_PT2_i.has_recursion, 0
	.set _ZL16dequantize_blockILi32ELi2EXadL_ZL15dequantize_q5_1PKviiR7__half2EEN3c108BFloat16EEvS1_PT2_i.has_indirect_call, 0
	.section	.AMDGPU.csdata,"",@progbits
; Kernel info:
; codeLenInByte = 364
; TotalNumSgprs: 11
; NumVgprs: 9
; NumAgprs: 0
; TotalNumVgprs: 9
; ScratchSize: 0
; MemoryBound: 0
; FloatMode: 240
; IeeeMode: 1
; LDSByteSize: 0 bytes/workgroup (compile time only)
; SGPRBlocks: 1
; VGPRBlocks: 1
; NumSGPRsForWavesPerEU: 11
; NumVGPRsForWavesPerEU: 9
; AccumOffset: 12
; Occupancy: 8
; WaveLimiterHint : 0
; COMPUTE_PGM_RSRC2:SCRATCH_EN: 0
; COMPUTE_PGM_RSRC2:USER_SGPR: 2
; COMPUTE_PGM_RSRC2:TRAP_HANDLER: 0
; COMPUTE_PGM_RSRC2:TGID_X_EN: 1
; COMPUTE_PGM_RSRC2:TGID_Y_EN: 0
; COMPUTE_PGM_RSRC2:TGID_Z_EN: 0
; COMPUTE_PGM_RSRC2:TIDIG_COMP_CNT: 0
; COMPUTE_PGM_RSRC3_GFX90A:ACCUM_OFFSET: 2
; COMPUTE_PGM_RSRC3_GFX90A:TG_SPLIT: 0
	.section	.text._ZL16dequantize_blockILi32ELi1EXadL_ZL15dequantize_q8_0PKviiR7__half2EEN3c108BFloat16EEvS1_PT2_i,"axG",@progbits,_ZL16dequantize_blockILi32ELi1EXadL_ZL15dequantize_q8_0PKviiR7__half2EEN3c108BFloat16EEvS1_PT2_i,comdat
	.globl	_ZL16dequantize_blockILi32ELi1EXadL_ZL15dequantize_q8_0PKviiR7__half2EEN3c108BFloat16EEvS1_PT2_i ; -- Begin function _ZL16dequantize_blockILi32ELi1EXadL_ZL15dequantize_q8_0PKviiR7__half2EEN3c108BFloat16EEvS1_PT2_i
	.p2align	8
	.type	_ZL16dequantize_blockILi32ELi1EXadL_ZL15dequantize_q8_0PKviiR7__half2EEN3c108BFloat16EEvS1_PT2_i,@function
_ZL16dequantize_blockILi32ELi1EXadL_ZL15dequantize_q8_0PKviiR7__half2EEN3c108BFloat16EEvS1_PT2_i: ; @_ZL16dequantize_blockILi32ELi1EXadL_ZL15dequantize_q8_0PKviiR7__half2EEN3c108BFloat16EEvS1_PT2_i
; %bb.0:
	s_load_dword s3, s[0:1], 0x24
	s_load_dword s4, s[0:1], 0x10
	s_waitcnt lgkmcnt(0)
	s_and_b32 s3, s3, 0xffff
	s_mul_i32 s2, s2, s3
	v_add_lshl_u32 v0, s2, v0, 1
	v_cmp_gt_i32_e32 vcc, s4, v0
	s_and_saveexec_b64 s[2:3], vcc
	s_cbranch_execz .LBB42_2
; %bb.1:
	s_load_dwordx4 s[0:3], s[0:1], 0x0
	v_ashrrev_i32_e32 v1, 31, v0
	v_lshrrev_b32_e32 v2, 27, v1
	v_add_u32_e32 v2, v0, v2
	v_ashrrev_i32_e32 v3, 5, v2
	v_and_b32_e32 v2, 0xffffffe0, v2
	v_sub_u32_e32 v2, v0, v2
	s_waitcnt lgkmcnt(0)
	v_mad_i64_i32 v[4:5], s[0:1], v3, 34, s[0:1]
	v_ashrrev_i32_e32 v3, 31, v2
	v_lshl_add_u64 v[2:3], v[4:5], 0, v[2:3]
	global_load_ushort v6, v[4:5], off
	global_load_ushort v7, v[2:3], off offset:2
	v_mov_b32_e32 v2, 1
	s_movk_i32 s4, 0x7fff
	v_mov_b32_e32 v3, 0x7fc0
	v_lshl_add_u64 v[0:1], v[0:1], 1, s[2:3]
	s_waitcnt vmcnt(1)
	v_lshl_or_b32 v4, v6, 16, v6
	s_waitcnt vmcnt(0)
	v_cvt_f16_i16_sdwa v5, sext(v7) dst_sel:DWORD dst_unused:UNUSED_PAD src0_sel:BYTE_1
	v_cvt_f16_i16_sdwa v6, sext(v7) dst_sel:DWORD dst_unused:UNUSED_PAD src0_sel:BYTE_0
	v_pack_b32_f16 v5, v6, v5
	v_pk_mul_f16 v4, v5, v4
	s_nop 0
	v_cvt_f32_f16_sdwa v5, v4 dst_sel:DWORD dst_unused:UNUSED_PAD src0_sel:WORD_1
	v_cvt_f32_f16_e32 v6, v4
	v_cmp_o_f16_e32 vcc, v4, v4
	v_cmp_o_f16_sdwa s[0:1], v4, v4 src0_sel:WORD_1 src1_sel:WORD_1
	v_and_b32_sdwa v4, v5, v2 dst_sel:DWORD dst_unused:UNUSED_PAD src0_sel:WORD_1 src1_sel:DWORD
	v_and_b32_sdwa v2, v6, v2 dst_sel:DWORD dst_unused:UNUSED_PAD src0_sel:WORD_1 src1_sel:DWORD
	v_add3_u32 v2, v6, v2, s4
	v_add3_u32 v4, v5, v4, s4
	v_cndmask_b32_sdwa v2, v3, v2, vcc dst_sel:DWORD dst_unused:UNUSED_PAD src0_sel:DWORD src1_sel:WORD_1
	s_mov_b64 vcc, s[0:1]
	v_cndmask_b32_sdwa v3, v3, v4, vcc dst_sel:DWORD dst_unused:UNUSED_PAD src0_sel:DWORD src1_sel:WORD_1
	s_mov_b32 s0, 0x5040100
	v_perm_b32 v2, v3, v2, s0
	global_store_dword v[0:1], v2, off
.LBB42_2:
	s_endpgm
	.section	.rodata,"a",@progbits
	.p2align	6, 0x0
	.amdhsa_kernel _ZL16dequantize_blockILi32ELi1EXadL_ZL15dequantize_q8_0PKviiR7__half2EEN3c108BFloat16EEvS1_PT2_i
		.amdhsa_group_segment_fixed_size 0
		.amdhsa_private_segment_fixed_size 0
		.amdhsa_kernarg_size 280
		.amdhsa_user_sgpr_count 2
		.amdhsa_user_sgpr_dispatch_ptr 0
		.amdhsa_user_sgpr_queue_ptr 0
		.amdhsa_user_sgpr_kernarg_segment_ptr 1
		.amdhsa_user_sgpr_dispatch_id 0
		.amdhsa_user_sgpr_kernarg_preload_length 0
		.amdhsa_user_sgpr_kernarg_preload_offset 0
		.amdhsa_user_sgpr_private_segment_size 0
		.amdhsa_uses_dynamic_stack 0
		.amdhsa_enable_private_segment 0
		.amdhsa_system_sgpr_workgroup_id_x 1
		.amdhsa_system_sgpr_workgroup_id_y 0
		.amdhsa_system_sgpr_workgroup_id_z 0
		.amdhsa_system_sgpr_workgroup_info 0
		.amdhsa_system_vgpr_workitem_id 0
		.amdhsa_next_free_vgpr 8
		.amdhsa_next_free_sgpr 5
		.amdhsa_accum_offset 8
		.amdhsa_reserve_vcc 1
		.amdhsa_float_round_mode_32 0
		.amdhsa_float_round_mode_16_64 0
		.amdhsa_float_denorm_mode_32 3
		.amdhsa_float_denorm_mode_16_64 3
		.amdhsa_dx10_clamp 1
		.amdhsa_ieee_mode 1
		.amdhsa_fp16_overflow 0
		.amdhsa_tg_split 0
		.amdhsa_exception_fp_ieee_invalid_op 0
		.amdhsa_exception_fp_denorm_src 0
		.amdhsa_exception_fp_ieee_div_zero 0
		.amdhsa_exception_fp_ieee_overflow 0
		.amdhsa_exception_fp_ieee_underflow 0
		.amdhsa_exception_fp_ieee_inexact 0
		.amdhsa_exception_int_div_zero 0
	.end_amdhsa_kernel
	.section	.text._ZL16dequantize_blockILi32ELi1EXadL_ZL15dequantize_q8_0PKviiR7__half2EEN3c108BFloat16EEvS1_PT2_i,"axG",@progbits,_ZL16dequantize_blockILi32ELi1EXadL_ZL15dequantize_q8_0PKviiR7__half2EEN3c108BFloat16EEvS1_PT2_i,comdat
.Lfunc_end42:
	.size	_ZL16dequantize_blockILi32ELi1EXadL_ZL15dequantize_q8_0PKviiR7__half2EEN3c108BFloat16EEvS1_PT2_i, .Lfunc_end42-_ZL16dequantize_blockILi32ELi1EXadL_ZL15dequantize_q8_0PKviiR7__half2EEN3c108BFloat16EEvS1_PT2_i
                                        ; -- End function
	.set _ZL16dequantize_blockILi32ELi1EXadL_ZL15dequantize_q8_0PKviiR7__half2EEN3c108BFloat16EEvS1_PT2_i.num_vgpr, 8
	.set _ZL16dequantize_blockILi32ELi1EXadL_ZL15dequantize_q8_0PKviiR7__half2EEN3c108BFloat16EEvS1_PT2_i.num_agpr, 0
	.set _ZL16dequantize_blockILi32ELi1EXadL_ZL15dequantize_q8_0PKviiR7__half2EEN3c108BFloat16EEvS1_PT2_i.numbered_sgpr, 5
	.set _ZL16dequantize_blockILi32ELi1EXadL_ZL15dequantize_q8_0PKviiR7__half2EEN3c108BFloat16EEvS1_PT2_i.num_named_barrier, 0
	.set _ZL16dequantize_blockILi32ELi1EXadL_ZL15dequantize_q8_0PKviiR7__half2EEN3c108BFloat16EEvS1_PT2_i.private_seg_size, 0
	.set _ZL16dequantize_blockILi32ELi1EXadL_ZL15dequantize_q8_0PKviiR7__half2EEN3c108BFloat16EEvS1_PT2_i.uses_vcc, 1
	.set _ZL16dequantize_blockILi32ELi1EXadL_ZL15dequantize_q8_0PKviiR7__half2EEN3c108BFloat16EEvS1_PT2_i.uses_flat_scratch, 0
	.set _ZL16dequantize_blockILi32ELi1EXadL_ZL15dequantize_q8_0PKviiR7__half2EEN3c108BFloat16EEvS1_PT2_i.has_dyn_sized_stack, 0
	.set _ZL16dequantize_blockILi32ELi1EXadL_ZL15dequantize_q8_0PKviiR7__half2EEN3c108BFloat16EEvS1_PT2_i.has_recursion, 0
	.set _ZL16dequantize_blockILi32ELi1EXadL_ZL15dequantize_q8_0PKviiR7__half2EEN3c108BFloat16EEvS1_PT2_i.has_indirect_call, 0
	.section	.AMDGPU.csdata,"",@progbits
; Kernel info:
; codeLenInByte = 308
; TotalNumSgprs: 11
; NumVgprs: 8
; NumAgprs: 0
; TotalNumVgprs: 8
; ScratchSize: 0
; MemoryBound: 0
; FloatMode: 240
; IeeeMode: 1
; LDSByteSize: 0 bytes/workgroup (compile time only)
; SGPRBlocks: 1
; VGPRBlocks: 0
; NumSGPRsForWavesPerEU: 11
; NumVGPRsForWavesPerEU: 8
; AccumOffset: 8
; Occupancy: 8
; WaveLimiterHint : 0
; COMPUTE_PGM_RSRC2:SCRATCH_EN: 0
; COMPUTE_PGM_RSRC2:USER_SGPR: 2
; COMPUTE_PGM_RSRC2:TRAP_HANDLER: 0
; COMPUTE_PGM_RSRC2:TGID_X_EN: 1
; COMPUTE_PGM_RSRC2:TGID_Y_EN: 0
; COMPUTE_PGM_RSRC2:TGID_Z_EN: 0
; COMPUTE_PGM_RSRC2:TIDIG_COMP_CNT: 0
; COMPUTE_PGM_RSRC3_GFX90A:ACCUM_OFFSET: 1
; COMPUTE_PGM_RSRC3_GFX90A:TG_SPLIT: 0
	.section	.text._ZL21dequantize_block_q2_KIN3c108BFloat16EEvPKvPT_,"axG",@progbits,_ZL21dequantize_block_q2_KIN3c108BFloat16EEvPKvPT_,comdat
	.globl	_ZL21dequantize_block_q2_KIN3c108BFloat16EEvPKvPT_ ; -- Begin function _ZL21dequantize_block_q2_KIN3c108BFloat16EEvPKvPT_
	.p2align	8
	.type	_ZL21dequantize_block_q2_KIN3c108BFloat16EEvPKvPT_,@function
_ZL21dequantize_block_q2_KIN3c108BFloat16EEvPKvPT_: ; @_ZL21dequantize_block_q2_KIN3c108BFloat16EEvPKvPT_
; %bb.0:
	s_load_dwordx4 s[4:7], s[0:1], 0x0
	s_mul_i32 s0, s2, 0x54
	v_lshrrev_b32_e32 v2, 5, v0
	v_bfe_u32 v1, v0, 4, 1
	s_mul_hi_u32 s1, s2, 0x54
	s_waitcnt lgkmcnt(0)
	s_add_u32 s0, s4, s0
	v_lshl_or_b32 v1, v2, 3, v1
	s_addc_u32 s1, s5, s1
	global_load_ubyte v4, v1, s[0:1]
	global_load_ubyte v5, v0, s[0:1] offset:16
	global_load_ubyte v6, v1, s[0:1] offset:2
	;; [unrolled: 1-line block ×4, first 2 shown]
	s_load_dword s3, s[0:1], 0x50
	s_mov_b32 s1, 0
	s_lshl_b32 s0, s2, 8
	s_lshl_b64 s[0:1], s[0:1], 1
	s_add_u32 s0, s6, s0
	v_mov_b32_e32 v1, 0
	v_and_b32_e32 v10, 31, v0
	v_lshlrev_b32_e32 v0, 8, v2
	s_addc_u32 s1, s7, s1
	v_lshl_add_u64 v[2:3], s[0:1], 0, v[0:1]
	v_lshlrev_b32_e32 v0, 1, v10
	v_lshl_add_u64 v[0:1], v[2:3], 0, v[0:1]
	s_waitcnt lgkmcnt(0)
	s_lshr_b32 s0, s3, 16
	s_movk_i32 s4, 0x7fff
	v_mov_b32_e32 v9, 0x7fc0
	s_waitcnt vmcnt(4)
	v_and_b32_e32 v2, 15, v4
	s_waitcnt vmcnt(3)
	v_and_b32_e32 v3, 3, v5
	v_lshrrev_b16_e32 v4, 4, v4
	s_waitcnt vmcnt(2)
	v_and_b32_e32 v10, 15, v6
	v_bfe_u32 v11, v5, 2, 2
	s_waitcnt vmcnt(1)
	v_and_b32_e32 v12, 15, v7
	v_bfe_u32 v13, v5, 4, 2
	s_waitcnt vmcnt(0)
	v_and_b32_e32 v14, 15, v8
	v_lshrrev_b32_e32 v5, 6, v5
	v_mul_u32_u24_sdwa v2, v3, v2 dst_sel:DWORD dst_unused:UNUSED_PAD src0_sel:DWORD src1_sel:WORD_0
	v_cvt_f16_u16_e32 v3, v4
	v_mul_u32_u24_sdwa v4, v11, v10 dst_sel:DWORD dst_unused:UNUSED_PAD src0_sel:DWORD src1_sel:WORD_0
	v_mul_u32_u24_sdwa v10, v13, v12 dst_sel:DWORD dst_unused:UNUSED_PAD src0_sel:DWORD src1_sel:WORD_0
	;; [unrolled: 1-line block ×3, first 2 shown]
	v_cvt_f32_ubyte0_e32 v2, v2
	v_cvt_f32_ubyte0_e32 v4, v4
	;; [unrolled: 1-line block ×4, first 2 shown]
	v_cvt_f16_f32_e32 v2, v2
	v_cvt_f16_f32_e32 v4, v4
	;; [unrolled: 1-line block ×4, first 2 shown]
	v_lshrrev_b16_e32 v6, 4, v6
	v_lshrrev_b16_e32 v7, 4, v7
	v_lshrrev_b16_e32 v8, 4, v8
	v_cvt_f16_u16_e32 v6, v6
	v_cvt_f16_u16_e32 v7, v7
	;; [unrolled: 1-line block ×3, first 2 shown]
	v_mul_f16_e32 v3, s0, v3
	v_mul_f16_e32 v6, s0, v6
	;; [unrolled: 1-line block ×4, first 2 shown]
	v_fma_f16 v2, s3, v2, -v3
	v_fma_f16 v3, s3, v4, -v6
	;; [unrolled: 1-line block ×4, first 2 shown]
	v_cvt_f32_f16_e32 v6, v2
	v_cvt_f32_f16_e32 v7, v3
	;; [unrolled: 1-line block ×4, first 2 shown]
	v_cmp_o_f16_e32 vcc, v5, v5
	v_bfe_u32 v5, v6, 16, 1
	v_bfe_u32 v11, v7, 16, 1
	v_bfe_u32 v12, v8, 16, 1
	v_bfe_u32 v13, v10, 16, 1
	v_add3_u32 v5, v6, v5, s4
	v_add3_u32 v6, v7, v11, s4
	v_add3_u32 v7, v8, v12, s4
	v_add3_u32 v8, v10, v13, s4
	v_lshrrev_b32_e32 v5, 16, v5
	v_cndmask_b32_sdwa v8, v9, v8, vcc dst_sel:DWORD dst_unused:UNUSED_PAD src0_sel:DWORD src1_sel:WORD_1
	v_cmp_o_f16_e32 vcc, v2, v2
	v_lshrrev_b32_e32 v6, 16, v6
	v_lshrrev_b32_e32 v7, 16, v7
	v_cndmask_b32_e32 v2, v9, v5, vcc
	v_cmp_o_f16_e32 vcc, v3, v3
	s_nop 1
	v_cndmask_b32_e32 v3, v9, v6, vcc
	v_cmp_o_f16_e32 vcc, v4, v4
	s_nop 1
	v_cndmask_b32_e32 v4, v9, v7, vcc
	global_store_short v[0:1], v2, off
	global_store_short v[0:1], v3, off offset:64
	global_store_short v[0:1], v4, off offset:128
	;; [unrolled: 1-line block ×3, first 2 shown]
	s_endpgm
	.section	.rodata,"a",@progbits
	.p2align	6, 0x0
	.amdhsa_kernel _ZL21dequantize_block_q2_KIN3c108BFloat16EEvPKvPT_
		.amdhsa_group_segment_fixed_size 0
		.amdhsa_private_segment_fixed_size 0
		.amdhsa_kernarg_size 16
		.amdhsa_user_sgpr_count 2
		.amdhsa_user_sgpr_dispatch_ptr 0
		.amdhsa_user_sgpr_queue_ptr 0
		.amdhsa_user_sgpr_kernarg_segment_ptr 1
		.amdhsa_user_sgpr_dispatch_id 0
		.amdhsa_user_sgpr_kernarg_preload_length 0
		.amdhsa_user_sgpr_kernarg_preload_offset 0
		.amdhsa_user_sgpr_private_segment_size 0
		.amdhsa_uses_dynamic_stack 0
		.amdhsa_enable_private_segment 0
		.amdhsa_system_sgpr_workgroup_id_x 1
		.amdhsa_system_sgpr_workgroup_id_y 0
		.amdhsa_system_sgpr_workgroup_id_z 0
		.amdhsa_system_sgpr_workgroup_info 0
		.amdhsa_system_vgpr_workitem_id 0
		.amdhsa_next_free_vgpr 15
		.amdhsa_next_free_sgpr 8
		.amdhsa_accum_offset 16
		.amdhsa_reserve_vcc 1
		.amdhsa_float_round_mode_32 0
		.amdhsa_float_round_mode_16_64 0
		.amdhsa_float_denorm_mode_32 3
		.amdhsa_float_denorm_mode_16_64 3
		.amdhsa_dx10_clamp 1
		.amdhsa_ieee_mode 1
		.amdhsa_fp16_overflow 0
		.amdhsa_tg_split 0
		.amdhsa_exception_fp_ieee_invalid_op 0
		.amdhsa_exception_fp_denorm_src 0
		.amdhsa_exception_fp_ieee_div_zero 0
		.amdhsa_exception_fp_ieee_overflow 0
		.amdhsa_exception_fp_ieee_underflow 0
		.amdhsa_exception_fp_ieee_inexact 0
		.amdhsa_exception_int_div_zero 0
	.end_amdhsa_kernel
	.section	.text._ZL21dequantize_block_q2_KIN3c108BFloat16EEvPKvPT_,"axG",@progbits,_ZL21dequantize_block_q2_KIN3c108BFloat16EEvPKvPT_,comdat
.Lfunc_end43:
	.size	_ZL21dequantize_block_q2_KIN3c108BFloat16EEvPKvPT_, .Lfunc_end43-_ZL21dequantize_block_q2_KIN3c108BFloat16EEvPKvPT_
                                        ; -- End function
	.set _ZL21dequantize_block_q2_KIN3c108BFloat16EEvPKvPT_.num_vgpr, 15
	.set _ZL21dequantize_block_q2_KIN3c108BFloat16EEvPKvPT_.num_agpr, 0
	.set _ZL21dequantize_block_q2_KIN3c108BFloat16EEvPKvPT_.numbered_sgpr, 8
	.set _ZL21dequantize_block_q2_KIN3c108BFloat16EEvPKvPT_.num_named_barrier, 0
	.set _ZL21dequantize_block_q2_KIN3c108BFloat16EEvPKvPT_.private_seg_size, 0
	.set _ZL21dequantize_block_q2_KIN3c108BFloat16EEvPKvPT_.uses_vcc, 1
	.set _ZL21dequantize_block_q2_KIN3c108BFloat16EEvPKvPT_.uses_flat_scratch, 0
	.set _ZL21dequantize_block_q2_KIN3c108BFloat16EEvPKvPT_.has_dyn_sized_stack, 0
	.set _ZL21dequantize_block_q2_KIN3c108BFloat16EEvPKvPT_.has_recursion, 0
	.set _ZL21dequantize_block_q2_KIN3c108BFloat16EEvPKvPT_.has_indirect_call, 0
	.section	.AMDGPU.csdata,"",@progbits
; Kernel info:
; codeLenInByte = 552
; TotalNumSgprs: 14
; NumVgprs: 15
; NumAgprs: 0
; TotalNumVgprs: 15
; ScratchSize: 0
; MemoryBound: 0
; FloatMode: 240
; IeeeMode: 1
; LDSByteSize: 0 bytes/workgroup (compile time only)
; SGPRBlocks: 1
; VGPRBlocks: 1
; NumSGPRsForWavesPerEU: 14
; NumVGPRsForWavesPerEU: 15
; AccumOffset: 16
; Occupancy: 8
; WaveLimiterHint : 0
; COMPUTE_PGM_RSRC2:SCRATCH_EN: 0
; COMPUTE_PGM_RSRC2:USER_SGPR: 2
; COMPUTE_PGM_RSRC2:TRAP_HANDLER: 0
; COMPUTE_PGM_RSRC2:TGID_X_EN: 1
; COMPUTE_PGM_RSRC2:TGID_Y_EN: 0
; COMPUTE_PGM_RSRC2:TGID_Z_EN: 0
; COMPUTE_PGM_RSRC2:TIDIG_COMP_CNT: 0
; COMPUTE_PGM_RSRC3_GFX90A:ACCUM_OFFSET: 3
; COMPUTE_PGM_RSRC3_GFX90A:TG_SPLIT: 0
	.section	.text._ZL21dequantize_block_q3_KIN3c108BFloat16EEvPKvPT_,"axG",@progbits,_ZL21dequantize_block_q3_KIN3c108BFloat16EEvPKvPT_,comdat
	.globl	_ZL21dequantize_block_q3_KIN3c108BFloat16EEvPKvPT_ ; -- Begin function _ZL21dequantize_block_q3_KIN3c108BFloat16EEvPKvPT_
	.p2align	8
	.type	_ZL21dequantize_block_q3_KIN3c108BFloat16EEvPKvPT_,@function
_ZL21dequantize_block_q3_KIN3c108BFloat16EEvPKvPT_: ; @_ZL21dequantize_block_q3_KIN3c108BFloat16EEvPKvPT_
; %bb.0:
	v_lshrrev_b32_e32 v8, 5, v0
	v_lshrrev_b32_e32 v6, 3, v0
	v_lshlrev_b32_e32 v1, 2, v8
	s_load_dwordx4 s[4:7], s[0:1], 0x0
	v_sub_u32_e32 v7, v6, v1
	v_lshlrev_b32_e32 v1, 1, v7
	v_bfe_u32 v9, v0, 2, 1
	v_lshl_add_u32 v11, v8, 3, v1
	v_or_b32_e32 v4, v11, v9
	s_mov_b32 s3, 0
	v_cmp_lt_i32_e32 vcc, 3, v4
	v_mov_b64_e32 v[2:3], s[2:3]
                                        ; implicit-def: $vgpr10
                                        ; implicit-def: $vgpr5
	s_and_saveexec_b64 s[0:1], vcc
	s_xor_b64 s[0:1], exec, s[0:1]
	s_cbranch_execz .LBB44_10
; %bb.1:
	v_cmp_lt_u32_e32 vcc, 7, v11
	v_mov_b64_e32 v[2:3], s[2:3]
                                        ; implicit-def: $vgpr10
                                        ; implicit-def: $vgpr5
	s_and_saveexec_b64 s[8:9], vcc
	s_xor_b64 s[8:9], exec, s[8:9]
	s_cbranch_execz .LBB44_7
; %bb.2:
	s_mul_i32 s10, s2, 0x6e
	s_mul_hi_u32 s3, s2, 0x6e
	s_waitcnt lgkmcnt(0)
	s_add_u32 s10, s4, s10
	s_addc_u32 s11, s5, s3
	global_load_ubyte v10, v4, s[10:11] offset:88
	v_mov_b32_e32 v5, 0
	v_cmp_lt_u32_e32 vcc, 11, v11
	s_mov_b32 s3, 0
	v_lshl_add_u64 v[2:3], s[10:11], 0, v[4:5]
                                        ; implicit-def: $vgpr5
	s_and_saveexec_b64 s[10:11], vcc
	s_xor_b64 s[10:11], exec, s[10:11]
	s_cbranch_execz .LBB44_4
; %bb.3:
	global_load_ubyte v2, v[2:3], off offset:92
	s_waitcnt vmcnt(0)
	v_lshrrev_b16_e32 v5, 2, v2
                                        ; implicit-def: $vgpr2_vgpr3
.LBB44_4:
	s_andn2_saveexec_b64 s[10:11], s[10:11]
	s_cbranch_execz .LBB44_6
; %bb.5:
	global_load_ubyte v5, v[2:3], off offset:96
.LBB44_6:
	s_or_b64 exec, exec, s[10:11]
	s_waitcnt vmcnt(0)
	v_lshrrev_b16_e32 v10, 4, v10
	v_mov_b64_e32 v[2:3], s[2:3]
                                        ; implicit-def: $vgpr4
.LBB44_7:
	s_andn2_saveexec_b64 s[8:9], s[8:9]
	s_cbranch_execz .LBB44_9
; %bb.8:
	s_mul_i32 s10, s2, 0x6e
	s_mul_hi_u32 s3, s2, 0x6e
	s_waitcnt lgkmcnt(0)
	s_add_u32 s10, s4, s10
	s_addc_u32 s11, s5, s3
	global_load_ubyte v3, v4, s[10:11] offset:96
	global_load_ubyte v5, v4, s[10:11] offset:100
	s_waitcnt vmcnt(1)
	v_and_b32_e32 v10, 15, v3
	s_waitcnt vmcnt(0)
	v_lshlrev_b16_e32 v5, 2, v5
.LBB44_9:
	s_or_b64 exec, exec, s[8:9]
                                        ; implicit-def: $vgpr4
.LBB44_10:
	s_andn2_saveexec_b64 s[0:1], s[0:1]
	s_cbranch_execz .LBB44_12
; %bb.11:
	s_mul_i32 s8, s2, 0x6e
	s_mul_hi_u32 s3, s2, 0x6e
	s_waitcnt lgkmcnt(0)
	s_add_u32 s8, s4, s8
	s_addc_u32 s9, s5, s3
	v_ashrrev_i32_e32 v5, 31, v4
	v_lshl_add_u64 v[4:5], s[8:9], 0, v[4:5]
	global_load_ubyte v3, v[4:5], off offset:96
	global_load_ubyte v11, v[4:5], off offset:104
	s_waitcnt vmcnt(1)
	v_and_b32_e32 v10, 15, v3
	s_waitcnt vmcnt(0)
	v_lshlrev_b16_e32 v5, 4, v11
.LBB44_12:
	s_or_b64 exec, exec, s[0:1]
	v_lshlrev_b32_e32 v3, 2, v0
	v_and_b32_e32 v3, 12, v3
	s_movk_i32 s0, 0x6e
	s_waitcnt lgkmcnt(0)
	v_mov_b64_e32 v[14:15], s[4:5]
	v_lshl_or_b32 v12, v9, 4, v3
	v_mad_u64_u32 v[2:3], s[0:1], v2, s0, v[14:15]
	s_lshl_b32 s0, s2, 8
	s_mov_b32 s1, 0
	s_lshl_b64 s[0:1], s[0:1], 1
	s_add_u32 s0, s6, s0
	s_addc_u32 s1, s7, s1
	v_lshlrev_b32_e32 v8, 8, v8
	v_mov_b32_e32 v9, 0
	v_lshl_add_u64 v[14:15], s[0:1], 0, v[8:9]
	v_and_b32_e32 v8, 0x3e0, v0
	v_lshl_add_u64 v[16:17], v[2:3], 0, v[8:9]
	v_mov_b32_e32 v13, v9
	v_lshl_add_u64 v[16:17], v[16:17], 0, v[12:13]
	global_load_dword v0, v[16:17], off offset:32
	v_lshl_add_u64 v[16:17], v[2:3], 0, v[12:13]
	global_load_dword v4, v[16:17], off
	global_load_ushort v11, v[2:3], off offset:108
	v_bitop3_b16 v3, v5, v10, 48 bitop3:0xec
	v_mov_b32_e32 v5, 32
	v_lshlrev_b32_e32 v2, 5, v7
	v_sub_u32_sdwa v3, v3, v5 dst_sel:DWORD dst_unused:UNUSED_PAD src0_sel:BYTE_0 src1_sel:DWORD
	v_lshlrev_b32_e64 v6, v6, 1
	v_cvt_f32_i32_e32 v5, v3
	v_ashrrev_i32_e32 v3, 31, v2
	v_lshl_add_u64 v[2:3], v[2:3], 1, v[14:15]
	v_lshlrev_b32_e32 v8, 1, v12
	v_cvt_f16_f32_e32 v5, v5
	s_movk_i32 s6, 0x7fff
	v_mov_b32_e32 v7, 0x7fc0
	s_mov_b32 s7, 0x5040100
	s_waitcnt vmcnt(2)
	v_lshrrev_b32_sdwa v10, v1, v0 dst_sel:DWORD dst_unused:UNUSED_PAD src0_sel:DWORD src1_sel:BYTE_1
	s_waitcnt vmcnt(1)
	v_and_b32_sdwa v15, v6, v4 dst_sel:DWORD dst_unused:UNUSED_PAD src0_sel:DWORD src1_sel:BYTE_1
	v_lshrrev_b32_sdwa v12, v1, v0 dst_sel:DWORD dst_unused:UNUSED_PAD src0_sel:DWORD src1_sel:BYTE_0
	v_lshrrev_b32_sdwa v13, v1, v0 dst_sel:DWORD dst_unused:UNUSED_PAD src0_sel:DWORD src1_sel:BYTE_3
	v_lshrrev_b32_sdwa v0, v1, v0 dst_sel:DWORD dst_unused:UNUSED_PAD src0_sel:DWORD src1_sel:BYTE_2
	v_and_b32_sdwa v1, v6, v4 dst_sel:DWORD dst_unused:UNUSED_PAD src0_sel:DWORD src1_sel:BYTE_3
	v_and_b32_sdwa v14, v6, v4 dst_sel:DWORD dst_unused:UNUSED_PAD src0_sel:DWORD src1_sel:BYTE_2
	v_and_b32_sdwa v4, v6, v4 dst_sel:DWORD dst_unused:UNUSED_PAD src0_sel:DWORD src1_sel:BYTE_0
	v_cmp_ne_u32_e32 vcc, 0, v15
	s_nop 1
	v_cndmask_b32_e64 v6, -4, 0, vcc
	v_cmp_ne_u32_e32 vcc, 0, v4
	v_and_or_b32 v6, v10, 3, v6
	v_cvt_f32_i32_e32 v6, v6
	v_cndmask_b32_e64 v4, -4, 0, vcc
	v_cmp_ne_u32_e32 vcc, 0, v1
	v_and_or_b32 v4, v12, 3, v4
	v_cvt_f32_i32_e32 v4, v4
	;; [unrolled: 4-line block ×3, first 2 shown]
	v_cndmask_b32_e64 v14, -4, 0, vcc
	v_and_or_b32 v0, v0, 3, v14
	v_cvt_f32_i32_e32 v0, v0
	v_cvt_f16_f32_e32 v10, v1
	v_cvt_f16_f32_e32 v6, v6
	;; [unrolled: 1-line block ×4, first 2 shown]
	v_lshl_add_u64 v[0:1], v[2:3], 0, v[8:9]
	s_waitcnt vmcnt(0)
	v_mul_f16_e32 v2, v11, v5
	v_pack_b32_f16 v4, v4, v6
	v_pack_b32_f16 v3, v12, v10
	v_pk_mul_f16 v3, v2, v3 op_sel_hi:[0,1]
	v_cvt_f32_f16_e32 v8, v3
	v_pk_mul_f16 v2, v2, v4 op_sel_hi:[0,1]
	v_cvt_f32_f16_sdwa v6, v3 dst_sel:DWORD dst_unused:UNUSED_PAD src0_sel:WORD_1
	v_cvt_f32_f16_e32 v5, v2
	v_cvt_f32_f16_sdwa v4, v2 dst_sel:DWORD dst_unused:UNUSED_PAD src0_sel:WORD_1
	v_cmp_o_f16_e64 s[2:3], v2, v2
	v_cmp_o_f16_sdwa s[4:5], v2, v2 src0_sel:WORD_1 src1_sel:WORD_1
	v_bfe_u32 v2, v8, 16, 1
	v_cmp_o_f16_e32 vcc, v3, v3
	v_cmp_o_f16_sdwa s[0:1], v3, v3 src0_sel:WORD_1 src1_sel:WORD_1
	v_bfe_u32 v3, v6, 16, 1
	v_add3_u32 v2, v8, v2, s6
	v_bfe_u32 v9, v5, 16, 1
	v_add3_u32 v3, v6, v3, s6
	v_cndmask_b32_sdwa v2, v7, v2, vcc dst_sel:DWORD dst_unused:UNUSED_PAD src0_sel:DWORD src1_sel:WORD_1
	s_mov_b64 vcc, s[0:1]
	v_bfe_u32 v10, v4, 16, 1
	v_add3_u32 v5, v5, v9, s6
	v_cndmask_b32_sdwa v3, v7, v3, vcc dst_sel:DWORD dst_unused:UNUSED_PAD src0_sel:DWORD src1_sel:WORD_1
	s_mov_b64 vcc, s[2:3]
	v_add3_u32 v4, v4, v10, s6
	v_perm_b32 v3, v3, v2, s7
	v_cndmask_b32_sdwa v2, v7, v5, vcc dst_sel:DWORD dst_unused:UNUSED_PAD src0_sel:DWORD src1_sel:WORD_1
	s_mov_b64 vcc, s[4:5]
	v_cndmask_b32_sdwa v4, v7, v4, vcc dst_sel:DWORD dst_unused:UNUSED_PAD src0_sel:DWORD src1_sel:WORD_1
	v_perm_b32 v2, v4, v2, s7
	global_store_dwordx2 v[0:1], v[2:3], off
	s_endpgm
	.section	.rodata,"a",@progbits
	.p2align	6, 0x0
	.amdhsa_kernel _ZL21dequantize_block_q3_KIN3c108BFloat16EEvPKvPT_
		.amdhsa_group_segment_fixed_size 0
		.amdhsa_private_segment_fixed_size 0
		.amdhsa_kernarg_size 16
		.amdhsa_user_sgpr_count 2
		.amdhsa_user_sgpr_dispatch_ptr 0
		.amdhsa_user_sgpr_queue_ptr 0
		.amdhsa_user_sgpr_kernarg_segment_ptr 1
		.amdhsa_user_sgpr_dispatch_id 0
		.amdhsa_user_sgpr_kernarg_preload_length 0
		.amdhsa_user_sgpr_kernarg_preload_offset 0
		.amdhsa_user_sgpr_private_segment_size 0
		.amdhsa_uses_dynamic_stack 0
		.amdhsa_enable_private_segment 0
		.amdhsa_system_sgpr_workgroup_id_x 1
		.amdhsa_system_sgpr_workgroup_id_y 0
		.amdhsa_system_sgpr_workgroup_id_z 0
		.amdhsa_system_sgpr_workgroup_info 0
		.amdhsa_system_vgpr_workitem_id 0
		.amdhsa_next_free_vgpr 18
		.amdhsa_next_free_sgpr 12
		.amdhsa_accum_offset 20
		.amdhsa_reserve_vcc 1
		.amdhsa_float_round_mode_32 0
		.amdhsa_float_round_mode_16_64 0
		.amdhsa_float_denorm_mode_32 3
		.amdhsa_float_denorm_mode_16_64 3
		.amdhsa_dx10_clamp 1
		.amdhsa_ieee_mode 1
		.amdhsa_fp16_overflow 0
		.amdhsa_tg_split 0
		.amdhsa_exception_fp_ieee_invalid_op 0
		.amdhsa_exception_fp_denorm_src 0
		.amdhsa_exception_fp_ieee_div_zero 0
		.amdhsa_exception_fp_ieee_overflow 0
		.amdhsa_exception_fp_ieee_underflow 0
		.amdhsa_exception_fp_ieee_inexact 0
		.amdhsa_exception_int_div_zero 0
	.end_amdhsa_kernel
	.section	.text._ZL21dequantize_block_q3_KIN3c108BFloat16EEvPKvPT_,"axG",@progbits,_ZL21dequantize_block_q3_KIN3c108BFloat16EEvPKvPT_,comdat
.Lfunc_end44:
	.size	_ZL21dequantize_block_q3_KIN3c108BFloat16EEvPKvPT_, .Lfunc_end44-_ZL21dequantize_block_q3_KIN3c108BFloat16EEvPKvPT_
                                        ; -- End function
	.set _ZL21dequantize_block_q3_KIN3c108BFloat16EEvPKvPT_.num_vgpr, 18
	.set _ZL21dequantize_block_q3_KIN3c108BFloat16EEvPKvPT_.num_agpr, 0
	.set _ZL21dequantize_block_q3_KIN3c108BFloat16EEvPKvPT_.numbered_sgpr, 12
	.set _ZL21dequantize_block_q3_KIN3c108BFloat16EEvPKvPT_.num_named_barrier, 0
	.set _ZL21dequantize_block_q3_KIN3c108BFloat16EEvPKvPT_.private_seg_size, 0
	.set _ZL21dequantize_block_q3_KIN3c108BFloat16EEvPKvPT_.uses_vcc, 1
	.set _ZL21dequantize_block_q3_KIN3c108BFloat16EEvPKvPT_.uses_flat_scratch, 0
	.set _ZL21dequantize_block_q3_KIN3c108BFloat16EEvPKvPT_.has_dyn_sized_stack, 0
	.set _ZL21dequantize_block_q3_KIN3c108BFloat16EEvPKvPT_.has_recursion, 0
	.set _ZL21dequantize_block_q3_KIN3c108BFloat16EEvPKvPT_.has_indirect_call, 0
	.section	.AMDGPU.csdata,"",@progbits
; Kernel info:
; codeLenInByte = 996
; TotalNumSgprs: 18
; NumVgprs: 18
; NumAgprs: 0
; TotalNumVgprs: 18
; ScratchSize: 0
; MemoryBound: 0
; FloatMode: 240
; IeeeMode: 1
; LDSByteSize: 0 bytes/workgroup (compile time only)
; SGPRBlocks: 2
; VGPRBlocks: 2
; NumSGPRsForWavesPerEU: 18
; NumVGPRsForWavesPerEU: 18
; AccumOffset: 20
; Occupancy: 8
; WaveLimiterHint : 0
; COMPUTE_PGM_RSRC2:SCRATCH_EN: 0
; COMPUTE_PGM_RSRC2:USER_SGPR: 2
; COMPUTE_PGM_RSRC2:TRAP_HANDLER: 0
; COMPUTE_PGM_RSRC2:TGID_X_EN: 1
; COMPUTE_PGM_RSRC2:TGID_Y_EN: 0
; COMPUTE_PGM_RSRC2:TGID_Z_EN: 0
; COMPUTE_PGM_RSRC2:TIDIG_COMP_CNT: 0
; COMPUTE_PGM_RSRC3_GFX90A:ACCUM_OFFSET: 4
; COMPUTE_PGM_RSRC3_GFX90A:TG_SPLIT: 0
	.section	.text._ZL21dequantize_block_q4_KIN3c108BFloat16EEvPKvPT_,"axG",@progbits,_ZL21dequantize_block_q4_KIN3c108BFloat16EEvPKvPT_,comdat
	.globl	_ZL21dequantize_block_q4_KIN3c108BFloat16EEvPKvPT_ ; -- Begin function _ZL21dequantize_block_q4_KIN3c108BFloat16EEvPKvPT_
	.p2align	8
	.type	_ZL21dequantize_block_q4_KIN3c108BFloat16EEvPKvPT_,@function
_ZL21dequantize_block_q4_KIN3c108BFloat16EEvPKvPT_: ; @_ZL21dequantize_block_q4_KIN3c108BFloat16EEvPKvPT_
; %bb.0:
	s_load_dwordx2 s[4:5], s[0:1], 0x0
	s_mul_i32 s6, s2, 0x90
	v_lshrrev_b32_e32 v1, 3, v0
	s_mul_hi_u32 s3, s2, 0x90
	v_lshlrev_b32_e32 v2, 1, v1
	s_waitcnt lgkmcnt(0)
	s_add_u32 s6, s4, s6
	s_addc_u32 s7, s5, s3
	v_mov_b32_e32 v3, 0
	v_cmp_lt_u32_e32 vcc, 15, v0
	v_lshl_add_u64 v[2:3], s[6:7], 0, v[2:3]
                                        ; implicit-def: $vgpr5
                                        ; implicit-def: $vgpr4
	s_and_saveexec_b64 s[4:5], vcc
	s_xor_b64 s[4:5], exec, s[4:5]
	s_cbranch_execz .LBB45_2
; %bb.1:
	global_load_ubyte v4, v[2:3], off offset:8
	global_load_ubyte v5, v[2:3], off
	global_load_ubyte v6, v[2:3], off offset:4
	s_waitcnt vmcnt(2)
	v_and_b32_e32 v7, 15, v4
	s_waitcnt vmcnt(1)
	v_lshrrev_b16_e32 v5, 2, v5
	v_lshrrev_b16_e32 v8, 4, v4
	s_waitcnt vmcnt(0)
	v_lshrrev_b16_e32 v6, 2, v6
	v_bitop3_b16 v4, v5, v7, 48 bitop3:0xec
	v_bitop3_b16 v5, v6, v8, 48 bitop3:0xec
.LBB45_2:
	s_andn2_saveexec_b64 s[4:5], s[4:5]
	s_cbranch_execz .LBB45_4
; %bb.3:
	global_load_ubyte v4, v[2:3], off offset:4
	global_load_ubyte v5, v[2:3], off offset:8
	s_waitcnt vmcnt(1)
	v_and_b32_e32 v4, 63, v4
	s_waitcnt vmcnt(0)
	v_and_b32_e32 v5, 63, v5
.LBB45_4:
	s_or_b64 exec, exec, s[4:5]
	s_load_dwordx2 s[4:5], s[0:1], 0x8
	s_load_dword s3, s[6:7], 0x0
                                        ; implicit-def: $vgpr7
                                        ; implicit-def: $vgpr6
	s_and_saveexec_b64 s[0:1], vcc
	s_xor_b64 s[0:1], exec, s[0:1]
	s_cbranch_execz .LBB45_6
; %bb.5:
	global_load_ubyte v6, v[2:3], off offset:9
	global_load_ubyte v7, v[2:3], off offset:1
	;; [unrolled: 1-line block ×3, first 2 shown]
	s_waitcnt vmcnt(2)
	v_and_b32_e32 v2, 15, v6
	s_waitcnt vmcnt(1)
	v_lshrrev_b16_e32 v3, 2, v7
	v_lshrrev_b16_e32 v7, 4, v6
	s_waitcnt vmcnt(0)
	v_lshrrev_b16_e32 v8, 2, v8
	v_bitop3_b16 v6, v3, v2, 48 bitop3:0xec
	v_bitop3_b16 v7, v8, v7, 48 bitop3:0xec
                                        ; implicit-def: $vgpr2_vgpr3
.LBB45_6:
	s_andn2_saveexec_b64 s[0:1], s[0:1]
	s_cbranch_execz .LBB45_8
; %bb.7:
	global_load_ubyte v6, v[2:3], off offset:5
	global_load_ubyte v7, v[2:3], off offset:9
	s_waitcnt vmcnt(1)
	v_and_b32_e32 v6, 63, v6
	s_waitcnt vmcnt(0)
	v_and_b32_e32 v7, 63, v7
.LBB45_8:
	s_or_b64 exec, exec, s[0:1]
	v_lshlrev_b32_e32 v2, 5, v1
	v_mov_b32_e32 v3, 0
	v_lshlrev_b32_e32 v0, 2, v0
	v_lshl_add_u64 v[8:9], s[6:7], 0, v[2:3]
	v_and_b32_e32 v2, 28, v0
	v_lshl_add_u64 v[8:9], v[8:9], 0, v[2:3]
	global_load_dword v8, v[8:9], off offset:16
	s_mov_b32 s1, 0
	s_lshl_b32 s0, s2, 8
	s_waitcnt lgkmcnt(0)
	s_lshr_b32 s6, s3, 16
	s_lshl_b64 s[0:1], s[0:1], 1
	s_add_u32 s0, s4, s0
	v_lshlrev_b32_e32 v0, 7, v1
	v_mov_b32_e32 v1, v3
	s_addc_u32 s1, s5, s1
	v_mov_b32_e32 v9, 15
	v_lshlrev_b32_e32 v2, 1, v2
	v_lshl_add_u64 v[0:1], s[0:1], 0, v[0:1]
	v_lshl_add_u64 v[0:1], v[0:1], 0, v[2:3]
	v_cvt_f16_u16_sdwa v5, v5 dst_sel:DWORD dst_unused:UNUSED_PAD src0_sel:BYTE_0
	v_cvt_f16_u16_sdwa v4, v4 dst_sel:DWORD dst_unused:UNUSED_PAD src0_sel:BYTE_0
	v_mul_f16_e32 v5, s6, v5
	v_mul_f16_e32 v4, s3, v4
	v_cvt_f16_u16_sdwa v6, v6 dst_sel:DWORD dst_unused:UNUSED_PAD src0_sel:BYTE_0
	v_cvt_f16_u16_sdwa v7, v7 dst_sel:DWORD dst_unused:UNUSED_PAD src0_sel:BYTE_0
	s_movk_i32 s2, 0x7fff
	v_mul_f16_e32 v6, s3, v6
	v_mul_f16_e32 v7, s6, v7
	v_mov_b32_e32 v10, 0x7fc0
	s_mov_b32 s7, 0x5040100
	s_waitcnt vmcnt(0)
	v_and_b32_sdwa v2, v8, v9 dst_sel:DWORD dst_unused:UNUSED_PAD src0_sel:WORD_1 src1_sel:DWORD
	v_and_b32_sdwa v3, v8, v9 dst_sel:DWORD dst_unused:UNUSED_PAD src0_sel:BYTE_3 src1_sel:DWORD
	v_cvt_f16_u16_e32 v3, v3
	v_cvt_f16_u16_e32 v2, v2
	v_and_b32_sdwa v9, v8, v9 dst_sel:DWORD dst_unused:UNUSED_PAD src0_sel:BYTE_1 src1_sel:DWORD
	v_and_b32_e32 v11, 15, v8
	v_lshrrev_b32_e32 v12, 20, v8
	v_pack_b32_f16 v2, v2, v3
	v_lshrrev_b32_e32 v13, 28, v8
	v_lshrrev_b16_e32 v14, 4, v8
	v_cvt_f16_u16_e32 v11, v11
	v_cvt_f16_u16_e32 v9, v9
	v_and_b32_e32 v12, 15, v12
	v_pk_fma_f16 v2, v4, v2, v5 op_sel_hi:[0,1,0] neg_lo:[0,0,1] neg_hi:[0,0,1]
	v_lshrrev_b16_e32 v8, 12, v8
	v_and_b32_e32 v14, 15, v14
	v_cvt_f16_u16_e32 v13, v13
	v_pack_b32_f16 v3, v11, v9
	v_cvt_f16_u16_e32 v11, v12
	v_cvt_f32_f16_e32 v12, v2
	v_cvt_f16_u16_e32 v8, v8
	v_cvt_f16_u16_e32 v9, v14
	v_pk_fma_f16 v3, v4, v3, v5 op_sel_hi:[0,1,0] neg_lo:[0,0,1] neg_hi:[0,0,1]
	v_pack_b32_f16 v4, v11, v13
	v_cvt_f32_f16_sdwa v11, v2 dst_sel:DWORD dst_unused:UNUSED_PAD src0_sel:WORD_1
	v_pack_b32_f16 v5, v9, v8
	v_cvt_f32_f16_e32 v9, v3
	v_cvt_f32_f16_sdwa v8, v3 dst_sel:DWORD dst_unused:UNUSED_PAD src0_sel:WORD_1
	v_bfe_u32 v15, v12, 16, 1
	v_pk_fma_f16 v4, v6, v4, v7 op_sel_hi:[0,1,0] neg_lo:[0,0,1] neg_hi:[0,0,1]
	v_bfe_u32 v16, v11, 16, 1
	v_add3_u32 v12, v12, v15, s2
	v_cvt_f32_f16_e32 v14, v4
	v_bfe_u32 v17, v9, 16, 1
	v_add3_u32 v11, v11, v16, s2
	v_lshrrev_b32_e32 v12, 16, v12
	v_cmp_o_f16_e64 s[0:1], v2, v2
	v_pk_fma_f16 v5, v6, v5, v7 op_sel_hi:[0,1,0] neg_lo:[0,0,1] neg_hi:[0,0,1]
	v_cvt_f32_f16_sdwa v13, v4 dst_sel:DWORD dst_unused:UNUSED_PAD src0_sel:WORD_1
	v_bfe_u32 v18, v8, 16, 1
	v_add3_u32 v9, v9, v17, s2
	v_lshrrev_b32_e32 v11, 16, v11
	v_cndmask_b32_e64 v12, v10, v12, s[0:1]
	v_cmp_o_f16_sdwa s[0:1], v2, v2 src0_sel:WORD_1 src1_sel:WORD_1
	v_cvt_f32_f16_e32 v7, v5
	v_add3_u32 v8, v8, v18, s2
	v_lshrrev_b32_e32 v9, 16, v9
	v_cndmask_b32_e64 v2, v10, v11, s[0:1]
	v_cmp_o_f16_e64 s[0:1], v3, v3
	v_cvt_f32_f16_sdwa v6, v5 dst_sel:DWORD dst_unused:UNUSED_PAD src0_sel:WORD_1
	v_lshrrev_b32_e32 v8, 16, v8
	v_cndmask_b32_e64 v9, v10, v9, s[0:1]
	v_cmp_o_f16_sdwa s[0:1], v3, v3 src0_sel:WORD_1 src1_sel:WORD_1
	v_bfe_u32 v15, v14, 16, 1
	v_cmp_o_f16_e32 vcc, v4, v4
	v_cndmask_b32_e64 v8, v10, v8, s[0:1]
	v_bfe_u32 v16, v13, 16, 1
	v_add3_u32 v14, v14, v15, s2
	v_perm_b32 v3, v2, v12, s7
	v_perm_b32 v2, v8, v9, s7
	v_bfe_u32 v17, v7, 16, 1
	v_add3_u32 v13, v13, v16, s2
	global_store_dwordx2 v[0:1], v[2:3], off
	v_cndmask_b32_sdwa v2, v10, v14, vcc dst_sel:DWORD dst_unused:UNUSED_PAD src0_sel:DWORD src1_sel:WORD_1
	v_cmp_o_f16_sdwa vcc, v4, v4 src0_sel:WORD_1 src1_sel:WORD_1
	v_bfe_u32 v18, v6, 16, 1
	v_add3_u32 v7, v7, v17, s2
	v_cndmask_b32_sdwa v3, v10, v13, vcc dst_sel:DWORD dst_unused:UNUSED_PAD src0_sel:DWORD src1_sel:WORD_1
	v_cmp_o_f16_e32 vcc, v5, v5
	v_add3_u32 v6, v6, v18, s2
	v_perm_b32 v3, v3, v2, s7
	v_cndmask_b32_sdwa v2, v10, v7, vcc dst_sel:DWORD dst_unused:UNUSED_PAD src0_sel:DWORD src1_sel:WORD_1
	v_cmp_o_f16_sdwa vcc, v5, v5 src0_sel:WORD_1 src1_sel:WORD_1
	s_nop 1
	v_cndmask_b32_sdwa v4, v10, v6, vcc dst_sel:DWORD dst_unused:UNUSED_PAD src0_sel:DWORD src1_sel:WORD_1
	v_perm_b32 v2, v4, v2, s7
	global_store_dwordx2 v[0:1], v[2:3], off offset:64
	s_endpgm
	.section	.rodata,"a",@progbits
	.p2align	6, 0x0
	.amdhsa_kernel _ZL21dequantize_block_q4_KIN3c108BFloat16EEvPKvPT_
		.amdhsa_group_segment_fixed_size 0
		.amdhsa_private_segment_fixed_size 0
		.amdhsa_kernarg_size 16
		.amdhsa_user_sgpr_count 2
		.amdhsa_user_sgpr_dispatch_ptr 0
		.amdhsa_user_sgpr_queue_ptr 0
		.amdhsa_user_sgpr_kernarg_segment_ptr 1
		.amdhsa_user_sgpr_dispatch_id 0
		.amdhsa_user_sgpr_kernarg_preload_length 0
		.amdhsa_user_sgpr_kernarg_preload_offset 0
		.amdhsa_user_sgpr_private_segment_size 0
		.amdhsa_uses_dynamic_stack 0
		.amdhsa_enable_private_segment 0
		.amdhsa_system_sgpr_workgroup_id_x 1
		.amdhsa_system_sgpr_workgroup_id_y 0
		.amdhsa_system_sgpr_workgroup_id_z 0
		.amdhsa_system_sgpr_workgroup_info 0
		.amdhsa_system_vgpr_workitem_id 0
		.amdhsa_next_free_vgpr 19
		.amdhsa_next_free_sgpr 8
		.amdhsa_accum_offset 20
		.amdhsa_reserve_vcc 1
		.amdhsa_float_round_mode_32 0
		.amdhsa_float_round_mode_16_64 0
		.amdhsa_float_denorm_mode_32 3
		.amdhsa_float_denorm_mode_16_64 3
		.amdhsa_dx10_clamp 1
		.amdhsa_ieee_mode 1
		.amdhsa_fp16_overflow 0
		.amdhsa_tg_split 0
		.amdhsa_exception_fp_ieee_invalid_op 0
		.amdhsa_exception_fp_denorm_src 0
		.amdhsa_exception_fp_ieee_div_zero 0
		.amdhsa_exception_fp_ieee_overflow 0
		.amdhsa_exception_fp_ieee_underflow 0
		.amdhsa_exception_fp_ieee_inexact 0
		.amdhsa_exception_int_div_zero 0
	.end_amdhsa_kernel
	.section	.text._ZL21dequantize_block_q4_KIN3c108BFloat16EEvPKvPT_,"axG",@progbits,_ZL21dequantize_block_q4_KIN3c108BFloat16EEvPKvPT_,comdat
.Lfunc_end45:
	.size	_ZL21dequantize_block_q4_KIN3c108BFloat16EEvPKvPT_, .Lfunc_end45-_ZL21dequantize_block_q4_KIN3c108BFloat16EEvPKvPT_
                                        ; -- End function
	.set _ZL21dequantize_block_q4_KIN3c108BFloat16EEvPKvPT_.num_vgpr, 19
	.set _ZL21dequantize_block_q4_KIN3c108BFloat16EEvPKvPT_.num_agpr, 0
	.set _ZL21dequantize_block_q4_KIN3c108BFloat16EEvPKvPT_.numbered_sgpr, 8
	.set _ZL21dequantize_block_q4_KIN3c108BFloat16EEvPKvPT_.num_named_barrier, 0
	.set _ZL21dequantize_block_q4_KIN3c108BFloat16EEvPKvPT_.private_seg_size, 0
	.set _ZL21dequantize_block_q4_KIN3c108BFloat16EEvPKvPT_.uses_vcc, 1
	.set _ZL21dequantize_block_q4_KIN3c108BFloat16EEvPKvPT_.uses_flat_scratch, 0
	.set _ZL21dequantize_block_q4_KIN3c108BFloat16EEvPKvPT_.has_dyn_sized_stack, 0
	.set _ZL21dequantize_block_q4_KIN3c108BFloat16EEvPKvPT_.has_recursion, 0
	.set _ZL21dequantize_block_q4_KIN3c108BFloat16EEvPKvPT_.has_indirect_call, 0
	.section	.AMDGPU.csdata,"",@progbits
; Kernel info:
; codeLenInByte = 1012
; TotalNumSgprs: 14
; NumVgprs: 19
; NumAgprs: 0
; TotalNumVgprs: 19
; ScratchSize: 0
; MemoryBound: 0
; FloatMode: 240
; IeeeMode: 1
; LDSByteSize: 0 bytes/workgroup (compile time only)
; SGPRBlocks: 1
; VGPRBlocks: 2
; NumSGPRsForWavesPerEU: 14
; NumVGPRsForWavesPerEU: 19
; AccumOffset: 20
; Occupancy: 8
; WaveLimiterHint : 0
; COMPUTE_PGM_RSRC2:SCRATCH_EN: 0
; COMPUTE_PGM_RSRC2:USER_SGPR: 2
; COMPUTE_PGM_RSRC2:TRAP_HANDLER: 0
; COMPUTE_PGM_RSRC2:TGID_X_EN: 1
; COMPUTE_PGM_RSRC2:TGID_Y_EN: 0
; COMPUTE_PGM_RSRC2:TGID_Z_EN: 0
; COMPUTE_PGM_RSRC2:TIDIG_COMP_CNT: 0
; COMPUTE_PGM_RSRC3_GFX90A:ACCUM_OFFSET: 4
; COMPUTE_PGM_RSRC3_GFX90A:TG_SPLIT: 0
	.section	.text._ZL21dequantize_block_q5_KIN3c108BFloat16EEvPKvPT_,"axG",@progbits,_ZL21dequantize_block_q5_KIN3c108BFloat16EEvPKvPT_,comdat
	.globl	_ZL21dequantize_block_q5_KIN3c108BFloat16EEvPKvPT_ ; -- Begin function _ZL21dequantize_block_q5_KIN3c108BFloat16EEvPKvPT_
	.p2align	8
	.type	_ZL21dequantize_block_q5_KIN3c108BFloat16EEvPKvPT_,@function
_ZL21dequantize_block_q5_KIN3c108BFloat16EEvPKvPT_: ; @_ZL21dequantize_block_q5_KIN3c108BFloat16EEvPKvPT_
; %bb.0:
	s_load_dwordx2 s[4:5], s[0:1], 0x0
	s_mul_i32 s6, s2, 0xb0
	v_lshrrev_b32_e32 v1, 4, v0
	s_mul_hi_u32 s3, s2, 0xb0
	v_lshlrev_b32_e32 v2, 1, v1
	s_waitcnt lgkmcnt(0)
	s_add_u32 s4, s4, s6
	s_addc_u32 s5, s5, s3
	v_mov_b32_e32 v3, 0
	v_cmp_lt_u32_e32 vcc, 31, v0
	v_lshl_add_u64 v[4:5], s[4:5], 0, v[2:3]
                                        ; implicit-def: $vgpr6
                                        ; implicit-def: $vgpr3
	s_and_saveexec_b64 s[6:7], vcc
	s_xor_b64 s[6:7], exec, s[6:7]
	s_cbranch_execz .LBB46_2
; %bb.1:
	global_load_ubyte v3, v[4:5], off offset:8
	global_load_ubyte v6, v[4:5], off
	global_load_ubyte v7, v[4:5], off offset:4
	s_waitcnt vmcnt(2)
	v_and_b32_e32 v8, 15, v3
	s_waitcnt vmcnt(1)
	v_lshrrev_b16_e32 v6, 2, v6
	v_lshrrev_b16_e32 v9, 4, v3
	s_waitcnt vmcnt(0)
	v_lshrrev_b16_e32 v7, 2, v7
	v_bitop3_b16 v3, v6, v8, 48 bitop3:0xec
	v_bitop3_b16 v6, v7, v9, 48 bitop3:0xec
.LBB46_2:
	s_andn2_saveexec_b64 s[6:7], s[6:7]
	s_cbranch_execz .LBB46_4
; %bb.3:
	global_load_ubyte v3, v[4:5], off offset:4
	global_load_ubyte v6, v[4:5], off offset:8
	s_waitcnt vmcnt(1)
	v_and_b32_e32 v3, 63, v3
	s_waitcnt vmcnt(0)
	v_and_b32_e32 v6, 63, v6
.LBB46_4:
	s_or_b64 exec, exec, s[6:7]
	s_load_dwordx2 s[6:7], s[0:1], 0x8
	s_load_dword s3, s[4:5], 0x0
                                        ; implicit-def: $vgpr8
                                        ; implicit-def: $vgpr7
	s_and_saveexec_b64 s[0:1], vcc
	s_xor_b64 s[0:1], exec, s[0:1]
	s_cbranch_execz .LBB46_6
; %bb.5:
	global_load_ubyte v7, v[4:5], off offset:9
	global_load_ubyte v8, v[4:5], off offset:1
	;; [unrolled: 1-line block ×3, first 2 shown]
	s_waitcnt vmcnt(2)
	v_and_b32_e32 v4, 15, v7
	s_waitcnt vmcnt(1)
	v_lshrrev_b16_e32 v5, 2, v8
	v_lshrrev_b16_e32 v8, 4, v7
	s_waitcnt vmcnt(0)
	v_lshrrev_b16_e32 v9, 2, v9
	v_bitop3_b16 v7, v5, v4, 48 bitop3:0xec
	v_bitop3_b16 v8, v9, v8, 48 bitop3:0xec
                                        ; implicit-def: $vgpr4_vgpr5
.LBB46_6:
	s_andn2_saveexec_b64 s[0:1], s[0:1]
	s_cbranch_execz .LBB46_8
; %bb.7:
	global_load_ubyte v7, v[4:5], off offset:5
	global_load_ubyte v8, v[4:5], off offset:9
	s_waitcnt vmcnt(1)
	v_and_b32_e32 v7, 63, v7
	s_waitcnt vmcnt(0)
	v_and_b32_e32 v8, 63, v8
.LBB46_8:
	s_or_b64 exec, exec, s[0:1]
	v_mov_b32_e32 v5, 0
	v_lshlrev_b32_e32 v0, 1, v0
	v_lshlrev_b32_e32 v10, 5, v1
	v_mov_b32_e32 v11, v5
	v_and_b32_e32 v4, 30, v0
	v_lshl_add_u64 v[10:11], s[4:5], 0, v[10:11]
	v_lshl_add_u64 v[10:11], v[10:11], 0, v[4:5]
	global_load_ushort v9, v[10:11], off offset:48
	global_load_ushort v12, v4, s[4:5] offset:16
	s_mov_b32 s1, 0
	s_lshl_b32 s0, s2, 8
	s_waitcnt lgkmcnt(0)
	s_lshr_b32 s4, s3, 16
	s_lshl_b64 s[0:1], s[0:1], 1
	s_add_u32 s0, s6, s0
	v_lshlrev_b32_e32 v0, 7, v1
	v_mov_b32_e32 v1, v5
	s_addc_u32 s1, s7, s1
	v_lshlrev_b32_e64 v10, v2, 1
	v_mov_b32_e32 v11, 15
	v_lshlrev_b32_e32 v4, 1, v4
	v_lshl_add_u64 v[0:1], s[0:1], 0, v[0:1]
	v_lshl_add_u64 v[0:1], v[0:1], 0, v[4:5]
	v_lshlrev_b32_e64 v2, v2, 2
	v_cvt_f16_u16_sdwa v6, v6 dst_sel:DWORD dst_unused:UNUSED_PAD src0_sel:BYTE_0
	v_cvt_f16_u16_sdwa v3, v3 dst_sel:DWORD dst_unused:UNUSED_PAD src0_sel:BYTE_0
	;; [unrolled: 1-line block ×4, first 2 shown]
	v_mul_f16_e32 v6, s4, v6
	v_mul_f16_e32 v3, s3, v3
	;; [unrolled: 1-line block ×4, first 2 shown]
	v_mov_b32_e32 v13, 1
	s_movk_i32 s2, 0x7fff
	v_mov_b32_e32 v14, 0x7fc0
	s_mov_b32 s5, 0x5040100
	s_waitcnt vmcnt(1)
	v_and_b32_sdwa v4, v9, v11 dst_sel:DWORD dst_unused:UNUSED_PAD src0_sel:BYTE_1 src1_sel:DWORD
	s_waitcnt vmcnt(0)
	v_and_b32_sdwa v11, v10, v12 dst_sel:DWORD dst_unused:UNUSED_PAD src0_sel:DWORD src1_sel:BYTE_1
	v_and_b32_sdwa v10, v10, v12 dst_sel:DWORD dst_unused:UNUSED_PAD src0_sel:DWORD src1_sel:BYTE_0
	v_cmp_eq_u32_e32 vcc, 0, v11
	v_and_b32_sdwa v16, v2, v12 dst_sel:DWORD dst_unused:UNUSED_PAD src0_sel:DWORD src1_sel:BYTE_1
	v_lshrrev_b16_e32 v15, 4, v9
	v_cndmask_b32_e64 v11, 16, 0, vcc
	v_cmp_eq_u32_e32 vcc, 0, v10
	v_and_b32_sdwa v2, v2, v12 dst_sel:DWORD dst_unused:UNUSED_PAD src0_sel:DWORD src1_sel:BYTE_0
	v_and_b32_e32 v12, 15, v15
	v_cndmask_b32_e64 v10, 16, 0, vcc
	v_cmp_eq_u32_e32 vcc, 0, v16
	v_and_b32_e32 v5, 15, v9
	v_lshrrev_b16_e32 v9, 12, v9
	v_cndmask_b32_e64 v15, 16, 0, vcc
	v_cmp_eq_u32_e32 vcc, 0, v2
	v_or_b32_sdwa v4, v11, v4 dst_sel:DWORD dst_unused:UNUSED_PAD src0_sel:DWORD src1_sel:WORD_0
	v_or_b32_sdwa v5, v10, v5 dst_sel:DWORD dst_unused:UNUSED_PAD src0_sel:DWORD src1_sel:WORD_0
	v_cndmask_b32_e64 v2, 16, 0, vcc
	v_or_b32_e32 v9, v15, v9
	v_or_b32_sdwa v2, v2, v12 dst_sel:DWORD dst_unused:UNUSED_PAD src0_sel:DWORD src1_sel:WORD_0
	v_cvt_f32_ubyte0_e32 v4, v4
	v_cvt_f32_ubyte0_e32 v5, v5
	;; [unrolled: 1-line block ×4, first 2 shown]
	v_cvt_pk_f16_f32 v4, v5, v4
	v_cvt_pk_f16_f32 v2, v2, v9
	v_pk_fma_f16 v3, v3, v4, v6 op_sel_hi:[0,1,0] neg_lo:[0,0,1] neg_hi:[0,0,1]
	v_pk_fma_f16 v2, v7, v2, v8 op_sel_hi:[0,1,0] neg_lo:[0,0,1] neg_hi:[0,0,1]
	v_cvt_f32_f16_sdwa v4, v3 dst_sel:DWORD dst_unused:UNUSED_PAD src0_sel:WORD_1
	v_cvt_f32_f16_e32 v5, v3
	v_cvt_f32_f16_sdwa v6, v2 dst_sel:DWORD dst_unused:UNUSED_PAD src0_sel:WORD_1
	v_cvt_f32_f16_e32 v7, v2
	v_cmp_o_f16_e32 vcc, v2, v2
	v_cmp_o_f16_sdwa s[0:1], v2, v2 src0_sel:WORD_1 src1_sel:WORD_1
	v_and_b32_sdwa v2, v4, v13 dst_sel:DWORD dst_unused:UNUSED_PAD src0_sel:WORD_1 src1_sel:DWORD
	v_and_b32_sdwa v8, v5, v13 dst_sel:DWORD dst_unused:UNUSED_PAD src0_sel:WORD_1 src1_sel:DWORD
	v_and_b32_sdwa v9, v6, v13 dst_sel:DWORD dst_unused:UNUSED_PAD src0_sel:WORD_1 src1_sel:DWORD
	v_and_b32_sdwa v10, v7, v13 dst_sel:DWORD dst_unused:UNUSED_PAD src0_sel:WORD_1 src1_sel:DWORD
	v_add3_u32 v2, v4, v2, s2
	v_add3_u32 v4, v5, v8, s2
	;; [unrolled: 1-line block ×4, first 2 shown]
	v_lshrrev_b32_e32 v4, 16, v4
	v_cndmask_b32_sdwa v6, v14, v6, vcc dst_sel:DWORD dst_unused:UNUSED_PAD src0_sel:DWORD src1_sel:WORD_1
	v_cmp_o_f16_e32 vcc, v3, v3
	v_lshrrev_b32_e32 v2, 16, v2
	s_nop 0
	v_cndmask_b32_e32 v4, v14, v4, vcc
	v_cmp_o_f16_sdwa vcc, v3, v3 src0_sel:WORD_1 src1_sel:WORD_1
	s_nop 1
	v_cndmask_b32_e32 v2, v14, v2, vcc
	s_mov_b64 vcc, s[0:1]
	v_cndmask_b32_sdwa v3, v14, v5, vcc dst_sel:DWORD dst_unused:UNUSED_PAD src0_sel:DWORD src1_sel:WORD_1
	v_perm_b32 v2, v2, v4, s5
	v_perm_b32 v3, v3, v6, s5
	global_store_dword v[0:1], v2, off
	global_store_dword v[0:1], v3, off offset:64
	s_endpgm
	.section	.rodata,"a",@progbits
	.p2align	6, 0x0
	.amdhsa_kernel _ZL21dequantize_block_q5_KIN3c108BFloat16EEvPKvPT_
		.amdhsa_group_segment_fixed_size 0
		.amdhsa_private_segment_fixed_size 0
		.amdhsa_kernarg_size 16
		.amdhsa_user_sgpr_count 2
		.amdhsa_user_sgpr_dispatch_ptr 0
		.amdhsa_user_sgpr_queue_ptr 0
		.amdhsa_user_sgpr_kernarg_segment_ptr 1
		.amdhsa_user_sgpr_dispatch_id 0
		.amdhsa_user_sgpr_kernarg_preload_length 0
		.amdhsa_user_sgpr_kernarg_preload_offset 0
		.amdhsa_user_sgpr_private_segment_size 0
		.amdhsa_uses_dynamic_stack 0
		.amdhsa_enable_private_segment 0
		.amdhsa_system_sgpr_workgroup_id_x 1
		.amdhsa_system_sgpr_workgroup_id_y 0
		.amdhsa_system_sgpr_workgroup_id_z 0
		.amdhsa_system_sgpr_workgroup_info 0
		.amdhsa_system_vgpr_workitem_id 0
		.amdhsa_next_free_vgpr 17
		.amdhsa_next_free_sgpr 8
		.amdhsa_accum_offset 20
		.amdhsa_reserve_vcc 1
		.amdhsa_float_round_mode_32 0
		.amdhsa_float_round_mode_16_64 0
		.amdhsa_float_denorm_mode_32 3
		.amdhsa_float_denorm_mode_16_64 3
		.amdhsa_dx10_clamp 1
		.amdhsa_ieee_mode 1
		.amdhsa_fp16_overflow 0
		.amdhsa_tg_split 0
		.amdhsa_exception_fp_ieee_invalid_op 0
		.amdhsa_exception_fp_denorm_src 0
		.amdhsa_exception_fp_ieee_div_zero 0
		.amdhsa_exception_fp_ieee_overflow 0
		.amdhsa_exception_fp_ieee_underflow 0
		.amdhsa_exception_fp_ieee_inexact 0
		.amdhsa_exception_int_div_zero 0
	.end_amdhsa_kernel
	.section	.text._ZL21dequantize_block_q5_KIN3c108BFloat16EEvPKvPT_,"axG",@progbits,_ZL21dequantize_block_q5_KIN3c108BFloat16EEvPKvPT_,comdat
.Lfunc_end46:
	.size	_ZL21dequantize_block_q5_KIN3c108BFloat16EEvPKvPT_, .Lfunc_end46-_ZL21dequantize_block_q5_KIN3c108BFloat16EEvPKvPT_
                                        ; -- End function
	.set _ZL21dequantize_block_q5_KIN3c108BFloat16EEvPKvPT_.num_vgpr, 17
	.set _ZL21dequantize_block_q5_KIN3c108BFloat16EEvPKvPT_.num_agpr, 0
	.set _ZL21dequantize_block_q5_KIN3c108BFloat16EEvPKvPT_.numbered_sgpr, 8
	.set _ZL21dequantize_block_q5_KIN3c108BFloat16EEvPKvPT_.num_named_barrier, 0
	.set _ZL21dequantize_block_q5_KIN3c108BFloat16EEvPKvPT_.private_seg_size, 0
	.set _ZL21dequantize_block_q5_KIN3c108BFloat16EEvPKvPT_.uses_vcc, 1
	.set _ZL21dequantize_block_q5_KIN3c108BFloat16EEvPKvPT_.uses_flat_scratch, 0
	.set _ZL21dequantize_block_q5_KIN3c108BFloat16EEvPKvPT_.has_dyn_sized_stack, 0
	.set _ZL21dequantize_block_q5_KIN3c108BFloat16EEvPKvPT_.has_recursion, 0
	.set _ZL21dequantize_block_q5_KIN3c108BFloat16EEvPKvPT_.has_indirect_call, 0
	.section	.AMDGPU.csdata,"",@progbits
; Kernel info:
; codeLenInByte = 904
; TotalNumSgprs: 14
; NumVgprs: 17
; NumAgprs: 0
; TotalNumVgprs: 17
; ScratchSize: 0
; MemoryBound: 0
; FloatMode: 240
; IeeeMode: 1
; LDSByteSize: 0 bytes/workgroup (compile time only)
; SGPRBlocks: 1
; VGPRBlocks: 2
; NumSGPRsForWavesPerEU: 14
; NumVGPRsForWavesPerEU: 17
; AccumOffset: 20
; Occupancy: 8
; WaveLimiterHint : 0
; COMPUTE_PGM_RSRC2:SCRATCH_EN: 0
; COMPUTE_PGM_RSRC2:USER_SGPR: 2
; COMPUTE_PGM_RSRC2:TRAP_HANDLER: 0
; COMPUTE_PGM_RSRC2:TGID_X_EN: 1
; COMPUTE_PGM_RSRC2:TGID_Y_EN: 0
; COMPUTE_PGM_RSRC2:TGID_Z_EN: 0
; COMPUTE_PGM_RSRC2:TIDIG_COMP_CNT: 0
; COMPUTE_PGM_RSRC3_GFX90A:ACCUM_OFFSET: 4
; COMPUTE_PGM_RSRC3_GFX90A:TG_SPLIT: 0
	.section	.text._ZL21dequantize_block_q6_KIN3c108BFloat16EEvPKvPT_,"axG",@progbits,_ZL21dequantize_block_q6_KIN3c108BFloat16EEvPKvPT_,comdat
	.globl	_ZL21dequantize_block_q6_KIN3c108BFloat16EEvPKvPT_ ; -- Begin function _ZL21dequantize_block_q6_KIN3c108BFloat16EEvPKvPT_
	.p2align	8
	.type	_ZL21dequantize_block_q6_KIN3c108BFloat16EEvPKvPT_,@function
_ZL21dequantize_block_q6_KIN3c108BFloat16EEvPKvPT_: ; @_ZL21dequantize_block_q6_KIN3c108BFloat16EEvPKvPT_
; %bb.0:
	s_load_dwordx4 s[4:7], s[0:1], 0x0
	s_lshl_b32 s0, s2, 8
	s_mov_b32 s1, 0
	s_lshl_b64 s[0:1], s[0:1], 1
	v_lshrrev_b32_e32 v1, 5, v0
	s_waitcnt lgkmcnt(0)
	s_add_u32 s0, s6, s0
	s_addc_u32 s1, s7, s1
	v_lshlrev_b32_e32 v6, 8, v1
	v_mov_b32_e32 v7, 0
	v_and_b32_e32 v4, 31, v0
	v_lshl_add_u64 v[2:3], s[0:1], 0, v[6:7]
	s_mul_hi_u32 s1, s2, 0xd2
	s_mulk_i32 s2, 0xd2
	v_lshlrev_b32_e32 v6, 1, v4
	s_add_u32 s0, s4, s2
	s_addc_u32 s1, s5, s1
	v_lshl_add_u64 v[2:3], v[2:3], 0, v[6:7]
	v_lshlrev_b32_e32 v6, 6, v1
	v_mov_b32_e32 v5, v7
	global_load_ubyte v10, v0, s[0:1] offset:128
	v_lshl_add_u64 v[8:9], s[0:1], 0, v[6:7]
	v_lshl_add_u64 v[4:5], v[8:9], 0, v[4:5]
	global_load_ubyte v6, v[4:5], off
	global_load_ubyte v8, v[4:5], off offset:32
	v_bfe_u32 v0, v0, 4, 1
	v_lshl_or_b32 v0, v1, 3, v0
	global_load_sbyte v1, v0, s[0:1] offset:192
	global_load_sbyte v4, v0, s[0:1] offset:194
	global_load_sbyte v5, v0, s[0:1] offset:196
	global_load_sbyte v9, v0, s[0:1] offset:198
	global_load_ushort v11, v7, s[0:1] offset:208
	v_mov_b32_e32 v0, 32
	s_movk_i32 s0, 0x7fff
	v_mov_b32_e32 v7, 0x7fc0
	s_waitcnt vmcnt(7)
	v_lshlrev_b16_e32 v12, 4, v10
	v_lshlrev_b16_e32 v13, 2, v10
	v_and_b32_e32 v12, 48, v12
	v_and_b32_e32 v13, 48, v13
	v_lshrrev_b16_e32 v14, 2, v10
	s_waitcnt vmcnt(6)
	v_bitop3_b16 v12, v6, v12, 15 bitop3:0xec
	s_waitcnt vmcnt(5)
	v_bitop3_b16 v13, v8, v13, 15 bitop3:0xec
	v_lshrrev_b16_e32 v6, 4, v6
	v_lshrrev_b16_e32 v8, 4, v8
	v_sub_u32_sdwa v12, v12, v0 dst_sel:DWORD dst_unused:UNUSED_PAD src0_sel:WORD_0 src1_sel:DWORD
	v_sub_u32_sdwa v13, v13, v0 dst_sel:DWORD dst_unused:UNUSED_PAD src0_sel:WORD_0 src1_sel:DWORD
	v_bitop3_b16 v6, v6, v10, 48 bitop3:0xf8
	v_bitop3_b16 v8, v8, v14, 48 bitop3:0xf8
	s_waitcnt vmcnt(4)
	v_mul_i32_i24_e32 v1, v12, v1
	s_waitcnt vmcnt(3)
	v_mul_i32_i24_e32 v4, v13, v4
	v_sub_u32_sdwa v6, v6, v0 dst_sel:DWORD dst_unused:UNUSED_PAD src0_sel:WORD_0 src1_sel:DWORD
	v_sub_u32_sdwa v0, v8, v0 dst_sel:DWORD dst_unused:UNUSED_PAD src0_sel:WORD_0 src1_sel:DWORD
	v_cvt_f32_i32_e32 v1, v1
	v_cvt_f32_i32_e32 v4, v4
	s_waitcnt vmcnt(2)
	v_mul_i32_i24_e32 v5, v6, v5
	s_waitcnt vmcnt(1)
	v_mul_i32_i24_e32 v0, v0, v9
	v_cvt_f32_i32_e32 v5, v5
	v_cvt_f32_i32_e32 v0, v0
	v_cvt_f16_f32_e32 v1, v1
	v_cvt_f16_f32_e32 v4, v4
	;; [unrolled: 1-line block ×4, first 2 shown]
	s_waitcnt vmcnt(0)
	v_mul_f16_e32 v1, v11, v1
	v_mul_f16_e32 v4, v11, v4
	v_cvt_f32_f16_e32 v6, v1
	v_cvt_f32_f16_e32 v8, v4
	v_mul_f16_e32 v5, v11, v5
	v_mul_f16_e32 v0, v11, v0
	v_cvt_f32_f16_e32 v9, v5
	v_cvt_f32_f16_e32 v10, v0
	v_cmp_o_f16_e32 vcc, v0, v0
	v_bfe_u32 v0, v6, 16, 1
	v_bfe_u32 v11, v8, 16, 1
	v_add3_u32 v0, v6, v0, s0
	v_add3_u32 v6, v8, v11, s0
	v_bfe_u32 v8, v9, 16, 1
	v_bfe_u32 v11, v10, 16, 1
	v_lshrrev_b32_e32 v0, 16, v0
	v_add3_u32 v8, v9, v8, s0
	v_add3_u32 v9, v10, v11, s0
	v_cmp_o_f16_e64 s[0:1], v1, v1
	v_lshrrev_b32_e32 v6, 16, v6
	s_nop 0
	v_cndmask_b32_e64 v0, v7, v0, s[0:1]
	v_cmp_o_f16_e64 s[0:1], v4, v4
	v_lshrrev_b32_e32 v4, 16, v8
	s_nop 0
	v_cndmask_b32_e64 v1, v7, v6, s[0:1]
	v_cndmask_b32_sdwa v6, v7, v9, vcc dst_sel:DWORD dst_unused:UNUSED_PAD src0_sel:DWORD src1_sel:WORD_1
	v_cmp_o_f16_e32 vcc, v5, v5
	global_store_short v[2:3], v0, off
	global_store_short v[2:3], v1, off offset:64
	v_cndmask_b32_e32 v0, v7, v4, vcc
	global_store_short v[2:3], v0, off offset:128
	global_store_short v[2:3], v6, off offset:192
	s_endpgm
	.section	.rodata,"a",@progbits
	.p2align	6, 0x0
	.amdhsa_kernel _ZL21dequantize_block_q6_KIN3c108BFloat16EEvPKvPT_
		.amdhsa_group_segment_fixed_size 0
		.amdhsa_private_segment_fixed_size 0
		.amdhsa_kernarg_size 16
		.amdhsa_user_sgpr_count 2
		.amdhsa_user_sgpr_dispatch_ptr 0
		.amdhsa_user_sgpr_queue_ptr 0
		.amdhsa_user_sgpr_kernarg_segment_ptr 1
		.amdhsa_user_sgpr_dispatch_id 0
		.amdhsa_user_sgpr_kernarg_preload_length 0
		.amdhsa_user_sgpr_kernarg_preload_offset 0
		.amdhsa_user_sgpr_private_segment_size 0
		.amdhsa_uses_dynamic_stack 0
		.amdhsa_enable_private_segment 0
		.amdhsa_system_sgpr_workgroup_id_x 1
		.amdhsa_system_sgpr_workgroup_id_y 0
		.amdhsa_system_sgpr_workgroup_id_z 0
		.amdhsa_system_sgpr_workgroup_info 0
		.amdhsa_system_vgpr_workitem_id 0
		.amdhsa_next_free_vgpr 15
		.amdhsa_next_free_sgpr 8
		.amdhsa_accum_offset 16
		.amdhsa_reserve_vcc 1
		.amdhsa_float_round_mode_32 0
		.amdhsa_float_round_mode_16_64 0
		.amdhsa_float_denorm_mode_32 3
		.amdhsa_float_denorm_mode_16_64 3
		.amdhsa_dx10_clamp 1
		.amdhsa_ieee_mode 1
		.amdhsa_fp16_overflow 0
		.amdhsa_tg_split 0
		.amdhsa_exception_fp_ieee_invalid_op 0
		.amdhsa_exception_fp_denorm_src 0
		.amdhsa_exception_fp_ieee_div_zero 0
		.amdhsa_exception_fp_ieee_overflow 0
		.amdhsa_exception_fp_ieee_underflow 0
		.amdhsa_exception_fp_ieee_inexact 0
		.amdhsa_exception_int_div_zero 0
	.end_amdhsa_kernel
	.section	.text._ZL21dequantize_block_q6_KIN3c108BFloat16EEvPKvPT_,"axG",@progbits,_ZL21dequantize_block_q6_KIN3c108BFloat16EEvPKvPT_,comdat
.Lfunc_end47:
	.size	_ZL21dequantize_block_q6_KIN3c108BFloat16EEvPKvPT_, .Lfunc_end47-_ZL21dequantize_block_q6_KIN3c108BFloat16EEvPKvPT_
                                        ; -- End function
	.set _ZL21dequantize_block_q6_KIN3c108BFloat16EEvPKvPT_.num_vgpr, 15
	.set _ZL21dequantize_block_q6_KIN3c108BFloat16EEvPKvPT_.num_agpr, 0
	.set _ZL21dequantize_block_q6_KIN3c108BFloat16EEvPKvPT_.numbered_sgpr, 8
	.set _ZL21dequantize_block_q6_KIN3c108BFloat16EEvPKvPT_.num_named_barrier, 0
	.set _ZL21dequantize_block_q6_KIN3c108BFloat16EEvPKvPT_.private_seg_size, 0
	.set _ZL21dequantize_block_q6_KIN3c108BFloat16EEvPKvPT_.uses_vcc, 1
	.set _ZL21dequantize_block_q6_KIN3c108BFloat16EEvPKvPT_.uses_flat_scratch, 0
	.set _ZL21dequantize_block_q6_KIN3c108BFloat16EEvPKvPT_.has_dyn_sized_stack, 0
	.set _ZL21dequantize_block_q6_KIN3c108BFloat16EEvPKvPT_.has_recursion, 0
	.set _ZL21dequantize_block_q6_KIN3c108BFloat16EEvPKvPT_.has_indirect_call, 0
	.section	.AMDGPU.csdata,"",@progbits
; Kernel info:
; codeLenInByte = 584
; TotalNumSgprs: 14
; NumVgprs: 15
; NumAgprs: 0
; TotalNumVgprs: 15
; ScratchSize: 0
; MemoryBound: 0
; FloatMode: 240
; IeeeMode: 1
; LDSByteSize: 0 bytes/workgroup (compile time only)
; SGPRBlocks: 1
; VGPRBlocks: 1
; NumSGPRsForWavesPerEU: 14
; NumVGPRsForWavesPerEU: 15
; AccumOffset: 16
; Occupancy: 8
; WaveLimiterHint : 0
; COMPUTE_PGM_RSRC2:SCRATCH_EN: 0
; COMPUTE_PGM_RSRC2:USER_SGPR: 2
; COMPUTE_PGM_RSRC2:TRAP_HANDLER: 0
; COMPUTE_PGM_RSRC2:TGID_X_EN: 1
; COMPUTE_PGM_RSRC2:TGID_Y_EN: 0
; COMPUTE_PGM_RSRC2:TGID_Z_EN: 0
; COMPUTE_PGM_RSRC2:TIDIG_COMP_CNT: 0
; COMPUTE_PGM_RSRC3_GFX90A:ACCUM_OFFSET: 3
; COMPUTE_PGM_RSRC3_GFX90A:TG_SPLIT: 0
	.section	.text._ZL24dequantize_block_iq2_xxsIN3c108BFloat16EEvPKvPT_,"axG",@progbits,_ZL24dequantize_block_iq2_xxsIN3c108BFloat16EEvPKvPT_,comdat
	.globl	_ZL24dequantize_block_iq2_xxsIN3c108BFloat16EEvPKvPT_ ; -- Begin function _ZL24dequantize_block_iq2_xxsIN3c108BFloat16EEvPKvPT_
	.p2align	8
	.type	_ZL24dequantize_block_iq2_xxsIN3c108BFloat16EEvPKvPT_,@function
_ZL24dequantize_block_iq2_xxsIN3c108BFloat16EEvPKvPT_: ; @_ZL24dequantize_block_iq2_xxsIN3c108BFloat16EEvPKvPT_
; %bb.0:
	s_load_dwordx4 s[4:7], s[0:1], 0x0
	s_lshl_b32 s0, s2, 8
	s_mov_b32 s1, 0
	s_lshl_b64 s[0:1], s[0:1], 1
	v_and_b32_e32 v1, 7, v0
	s_waitcnt lgkmcnt(0)
	s_add_u32 s0, s6, s0
	s_addc_u32 s1, s7, s1
	v_lshlrev_b32_e32 v4, 6, v1
	v_mov_b32_e32 v5, 0
	v_lshl_add_u64 v[2:3], s[0:1], 0, v[4:5]
	v_and_b32_e32 v4, 0x3f8, v0
	s_mul_hi_u32 s1, s2, 0x42
	s_mulk_i32 s2, 0x42
	v_lshlrev_b32_e32 v4, 1, v4
	s_add_u32 s0, s4, s2
	v_lshl_add_u64 v[2:3], v[2:3], 0, v[4:5]
	s_addc_u32 s1, s5, s1
	v_lshlrev_b32_e32 v4, 3, v1
	global_load_dword v8, v4, s[0:1] offset:6
	v_lshrrev_b32_e32 v0, 3, v0
	v_lshl_add_u64 v[6:7], s[0:1], 0, v[4:5]
	v_mov_b32_e32 v1, v5
	v_lshl_add_u64 v[6:7], v[6:7], 0, v[0:1]
	global_load_ubyte v1, v[6:7], off offset:2
	global_load_ushort v4, v5, s[0:1]
	v_mul_u32_u24_e32 v0, 7, v0
	s_getpc_b64 s[0:1]
	s_add_u32 s0, s0, _ZL12ksigns_iq2xs@rel32@lo+4
	s_addc_u32 s1, s1, _ZL12ksigns_iq2xs@rel32@hi+12
	v_mov_b32_e32 v15, 1
	s_movk_i32 s2, 0x7fff
	v_mov_b32_e32 v14, 0x7fc0
	s_mov_b32 s3, 0x5040100
	s_waitcnt vmcnt(2)
	v_bfe_u32 v12, v8, v0, 7
	global_load_ubyte v13, v12, s[0:1]
	s_getpc_b64 s[0:1]
	s_add_u32 s0, s0, _ZL11iq2xxs_grid@rel32@lo+4
	s_addc_u32 s1, s1, _ZL11iq2xxs_grid@rel32@hi+12
	v_lshrrev_b32_e32 v6, 28, v8
	s_waitcnt vmcnt(2)
	v_lshlrev_b32_e32 v0, 3, v1
	global_load_dwordx2 v[0:1], v0, s[0:1]
	s_waitcnt vmcnt(2)
	v_cvt_f32_f16_e32 v4, v4
	v_cvt_f32_ubyte0_e32 v6, v6
	v_add_f32_e32 v6, 0.5, v6
	v_mul_f32_e32 v4, v6, v4
	v_mul_f32_e32 v4, 0x3e800000, v4
	s_waitcnt vmcnt(1)
	v_and_b32_e32 v16, 8, v13
	v_and_b32_e32 v17, 4, v13
	v_cmp_eq_u16_e32 vcc, 0, v16
	v_and_b32_e32 v18, 2, v13
	s_waitcnt vmcnt(0)
	v_cvt_f32_ubyte3_e32 v9, v0
	v_cvt_f32_ubyte2_e32 v8, v0
	v_cvt_f32_ubyte1_e32 v7, v0
	v_cvt_f32_ubyte0_e32 v6, v0
	v_cvt_f32_ubyte1_e32 v11, v1
	v_cvt_f32_ubyte0_e32 v10, v1
	v_cvt_f32_ubyte2_e32 v22, v1
	v_cvt_f32_ubyte3_e32 v23, v1
	v_pk_mul_f32 v[0:1], v[4:5], v[8:9] op_sel_hi:[0,1]
	v_cndmask_b32_e64 v1, -v1, v1, vcc
	v_cmp_eq_u16_e32 vcc, 0, v17
	v_and_b32_e32 v19, 1, v13
	v_pk_mul_f32 v[6:7], v[4:5], v[6:7] op_sel_hi:[0,1]
	v_cndmask_b32_e64 v0, -v0, v0, vcc
	v_cmp_eq_u16_e32 vcc, 0, v18
	v_and_b32_e32 v20, 16, v13
	v_and_b32_e32 v21, 32, v13
	v_cndmask_b32_e64 v7, -v7, v7, vcc
	v_cmp_eq_u16_e32 vcc, 0, v19
	v_pk_mul_f32 v[8:9], v[4:5], v[10:11] op_sel_hi:[0,1]
	v_mul_f32_e32 v10, v4, v22
	v_cndmask_b32_e64 v6, -v6, v6, vcc
	v_cmp_eq_u16_e32 vcc, 0, v20
	v_mul_f32_e32 v4, v4, v23
	v_cmp_lt_i16_sdwa s[0:1], sext(v13), v5 src0_sel:BYTE_0 src1_sel:DWORD
	v_cndmask_b32_e64 v8, -v8, v8, vcc
	v_cmp_eq_u16_e32 vcc, 0, v21
	v_cndmask_b32_e64 v4, v4, -v4, s[0:1]
	v_bfe_u32 v5, v6, 16, 1
	v_cndmask_b32_e64 v9, -v9, v9, vcc
	v_cmp_gt_u32_e32 vcc, 64, v12
	v_and_b32_sdwa v16, v9, v15 dst_sel:DWORD dst_unused:UNUSED_PAD src0_sel:WORD_1 src1_sel:DWORD
	v_and_b32_sdwa v17, v8, v15 dst_sel:DWORD dst_unused:UNUSED_PAD src0_sel:WORD_1 src1_sel:DWORD
	v_cndmask_b32_e64 v10, -v10, v10, vcc
	v_and_b32_sdwa v18, v4, v15 dst_sel:DWORD dst_unused:UNUSED_PAD src0_sel:WORD_1 src1_sel:DWORD
	v_and_b32_sdwa v15, v10, v15 dst_sel:DWORD dst_unused:UNUSED_PAD src0_sel:WORD_1 src1_sel:DWORD
	v_bfe_u32 v11, v7, 16, 1
	v_cmp_o_f32_e32 vcc, v10, v10
	v_add3_u32 v5, v6, v5, s2
	v_add3_u32 v10, v10, v15, s2
	v_bfe_u32 v12, v0, 16, 1
	v_add3_u32 v11, v7, v11, s2
	v_add3_u32 v17, v8, v17, s2
	v_lshrrev_b32_e32 v5, 16, v5
	v_cndmask_b32_sdwa v10, v14, v10, vcc dst_sel:DWORD dst_unused:UNUSED_PAD src0_sel:DWORD src1_sel:WORD_1
	v_cmp_o_f32_e32 vcc, v6, v6
	v_bfe_u32 v13, v1, 16, 1
	v_add3_u32 v12, v0, v12, s2
	v_lshrrev_b32_e32 v11, 16, v11
	v_lshrrev_b32_e32 v15, 16, v17
	v_cndmask_b32_e32 v17, v14, v5, vcc
	v_cmp_o_f32_e32 vcc, v7, v7
	v_add3_u32 v13, v1, v13, s2
	v_lshrrev_b32_e32 v12, 16, v12
	v_cndmask_b32_e32 v7, v14, v11, vcc
	v_cmp_o_f32_e32 vcc, v0, v0
	v_lshrrev_b32_e32 v13, 16, v13
	v_add3_u32 v16, v9, v16, s2
	v_cndmask_b32_e32 v0, v14, v12, vcc
	v_cmp_o_f32_e32 vcc, v1, v1
	v_cmp_o_f32_e64 s[0:1], v4, v4
	v_lshrrev_b32_e32 v16, 16, v16
	v_cndmask_b32_e32 v1, v14, v13, vcc
	v_cmp_o_f32_e32 vcc, v8, v8
	v_add3_u32 v4, v4, v18, s2
	s_nop 0
	v_cndmask_b32_e32 v5, v14, v15, vcc
	v_cmp_o_f32_e32 vcc, v9, v9
	s_nop 1
	v_cndmask_b32_e32 v6, v14, v16, vcc
	s_mov_b64 vcc, s[0:1]
	v_cndmask_b32_sdwa v8, v14, v4, vcc dst_sel:DWORD dst_unused:UNUSED_PAD src0_sel:DWORD src1_sel:WORD_1
	v_perm_b32 v6, v6, v5, s3
	v_perm_b32 v5, v1, v0, s3
	;; [unrolled: 1-line block ×4, first 2 shown]
	global_store_dwordx4 v[2:3], v[4:7], off
	s_endpgm
	.section	.rodata,"a",@progbits
	.p2align	6, 0x0
	.amdhsa_kernel _ZL24dequantize_block_iq2_xxsIN3c108BFloat16EEvPKvPT_
		.amdhsa_group_segment_fixed_size 0
		.amdhsa_private_segment_fixed_size 0
		.amdhsa_kernarg_size 16
		.amdhsa_user_sgpr_count 2
		.amdhsa_user_sgpr_dispatch_ptr 0
		.amdhsa_user_sgpr_queue_ptr 0
		.amdhsa_user_sgpr_kernarg_segment_ptr 1
		.amdhsa_user_sgpr_dispatch_id 0
		.amdhsa_user_sgpr_kernarg_preload_length 0
		.amdhsa_user_sgpr_kernarg_preload_offset 0
		.amdhsa_user_sgpr_private_segment_size 0
		.amdhsa_uses_dynamic_stack 0
		.amdhsa_enable_private_segment 0
		.amdhsa_system_sgpr_workgroup_id_x 1
		.amdhsa_system_sgpr_workgroup_id_y 0
		.amdhsa_system_sgpr_workgroup_id_z 0
		.amdhsa_system_sgpr_workgroup_info 0
		.amdhsa_system_vgpr_workitem_id 0
		.amdhsa_next_free_vgpr 24
		.amdhsa_next_free_sgpr 8
		.amdhsa_accum_offset 24
		.amdhsa_reserve_vcc 1
		.amdhsa_float_round_mode_32 0
		.amdhsa_float_round_mode_16_64 0
		.amdhsa_float_denorm_mode_32 3
		.amdhsa_float_denorm_mode_16_64 3
		.amdhsa_dx10_clamp 1
		.amdhsa_ieee_mode 1
		.amdhsa_fp16_overflow 0
		.amdhsa_tg_split 0
		.amdhsa_exception_fp_ieee_invalid_op 0
		.amdhsa_exception_fp_denorm_src 0
		.amdhsa_exception_fp_ieee_div_zero 0
		.amdhsa_exception_fp_ieee_overflow 0
		.amdhsa_exception_fp_ieee_underflow 0
		.amdhsa_exception_fp_ieee_inexact 0
		.amdhsa_exception_int_div_zero 0
	.end_amdhsa_kernel
	.section	.text._ZL24dequantize_block_iq2_xxsIN3c108BFloat16EEvPKvPT_,"axG",@progbits,_ZL24dequantize_block_iq2_xxsIN3c108BFloat16EEvPKvPT_,comdat
.Lfunc_end48:
	.size	_ZL24dequantize_block_iq2_xxsIN3c108BFloat16EEvPKvPT_, .Lfunc_end48-_ZL24dequantize_block_iq2_xxsIN3c108BFloat16EEvPKvPT_
                                        ; -- End function
	.set _ZL24dequantize_block_iq2_xxsIN3c108BFloat16EEvPKvPT_.num_vgpr, 24
	.set _ZL24dequantize_block_iq2_xxsIN3c108BFloat16EEvPKvPT_.num_agpr, 0
	.set _ZL24dequantize_block_iq2_xxsIN3c108BFloat16EEvPKvPT_.numbered_sgpr, 8
	.set _ZL24dequantize_block_iq2_xxsIN3c108BFloat16EEvPKvPT_.num_named_barrier, 0
	.set _ZL24dequantize_block_iq2_xxsIN3c108BFloat16EEvPKvPT_.private_seg_size, 0
	.set _ZL24dequantize_block_iq2_xxsIN3c108BFloat16EEvPKvPT_.uses_vcc, 1
	.set _ZL24dequantize_block_iq2_xxsIN3c108BFloat16EEvPKvPT_.uses_flat_scratch, 0
	.set _ZL24dequantize_block_iq2_xxsIN3c108BFloat16EEvPKvPT_.has_dyn_sized_stack, 0
	.set _ZL24dequantize_block_iq2_xxsIN3c108BFloat16EEvPKvPT_.has_recursion, 0
	.set _ZL24dequantize_block_iq2_xxsIN3c108BFloat16EEvPKvPT_.has_indirect_call, 0
	.section	.AMDGPU.csdata,"",@progbits
; Kernel info:
; codeLenInByte = 760
; TotalNumSgprs: 14
; NumVgprs: 24
; NumAgprs: 0
; TotalNumVgprs: 24
; ScratchSize: 0
; MemoryBound: 0
; FloatMode: 240
; IeeeMode: 1
; LDSByteSize: 0 bytes/workgroup (compile time only)
; SGPRBlocks: 1
; VGPRBlocks: 2
; NumSGPRsForWavesPerEU: 14
; NumVGPRsForWavesPerEU: 24
; AccumOffset: 24
; Occupancy: 8
; WaveLimiterHint : 0
; COMPUTE_PGM_RSRC2:SCRATCH_EN: 0
; COMPUTE_PGM_RSRC2:USER_SGPR: 2
; COMPUTE_PGM_RSRC2:TRAP_HANDLER: 0
; COMPUTE_PGM_RSRC2:TGID_X_EN: 1
; COMPUTE_PGM_RSRC2:TGID_Y_EN: 0
; COMPUTE_PGM_RSRC2:TGID_Z_EN: 0
; COMPUTE_PGM_RSRC2:TIDIG_COMP_CNT: 0
; COMPUTE_PGM_RSRC3_GFX90A:ACCUM_OFFSET: 5
; COMPUTE_PGM_RSRC3_GFX90A:TG_SPLIT: 0
	.section	.text._ZL23dequantize_block_iq2_xsIN3c108BFloat16EEvPKvPT_,"axG",@progbits,_ZL23dequantize_block_iq2_xsIN3c108BFloat16EEvPKvPT_,comdat
	.globl	_ZL23dequantize_block_iq2_xsIN3c108BFloat16EEvPKvPT_ ; -- Begin function _ZL23dequantize_block_iq2_xsIN3c108BFloat16EEvPKvPT_
	.p2align	8
	.type	_ZL23dequantize_block_iq2_xsIN3c108BFloat16EEvPKvPT_,@function
_ZL23dequantize_block_iq2_xsIN3c108BFloat16EEvPKvPT_: ; @_ZL23dequantize_block_iq2_xsIN3c108BFloat16EEvPKvPT_
; %bb.0:
	s_load_dwordx4 s[4:7], s[0:1], 0x0
	s_lshl_b32 s0, s2, 8
	s_mov_b32 s1, 0
	s_lshl_b64 s[0:1], s[0:1], 1
	v_and_b32_e32 v8, 7, v0
	s_waitcnt lgkmcnt(0)
	s_add_u32 s0, s6, s0
	s_addc_u32 s1, s7, s1
	v_lshlrev_b32_e32 v4, 6, v8
	v_mov_b32_e32 v5, 0
	v_lshl_add_u64 v[2:3], s[0:1], 0, v[4:5]
	v_and_b32_e32 v1, 0x3f8, v0
	s_mul_hi_u32 s1, s2, 0x4a
	s_mulk_i32 s2, 0x4a
	v_lshlrev_b32_e32 v4, 1, v1
	s_add_u32 s0, s4, s2
	v_lshl_add_u64 v[2:3], v[2:3], 0, v[4:5]
	s_addc_u32 s1, s5, s1
	v_lshlrev_b32_e32 v4, 3, v8
	v_lshrrev_b32_e32 v9, 2, v0
	v_lshl_add_u64 v[6:7], s[0:1], 0, v[4:5]
	v_and_b32_e32 v4, 0xfe, v9
	v_lshl_add_u64 v[0:1], v[6:7], 0, v[4:5]
	global_load_ushort v14, v[0:1], off offset:2
	global_load_ushort v10, v5, s[0:1]
	global_load_ubyte v11, v8, s[0:1] offset:66
	v_mov_b32_e32 v0, 3
	s_getpc_b64 s[0:1]
	s_add_u32 s0, s0, _ZL10iq2xs_grid@rel32@lo+4
	s_addc_u32 s1, s1, _ZL10iq2xs_grid@rel32@hi+12
	s_movk_i32 s6, 0x7fff
	v_mov_b32_e32 v16, 0x7fc0
	s_mov_b32 s7, 0x5040100
	s_waitcnt vmcnt(2)
	v_and_b32_e32 v1, 0x1ff, v14
	v_lshlrev_b32_sdwa v0, v0, v1 dst_sel:DWORD dst_unused:UNUSED_PAD src0_sel:DWORD src1_sel:WORD_0
	global_load_dwordx2 v[0:1], v0, s[0:1]
	s_getpc_b64 s[0:1]
	s_add_u32 s0, s0, _ZL12ksigns_iq2xs@rel32@lo+4
	s_addc_u32 s1, s1, _ZL12ksigns_iq2xs@rel32@hi+12
	v_lshrrev_b16_e32 v4, 9, v14
	v_lshl_add_u64 v[6:7], s[0:1], 0, v[4:5]
	global_load_ubyte v15, v[6:7], off
	v_and_b32_e32 v4, 0xfc, v9
	s_waitcnt vmcnt(3)
	v_cvt_f32_f16_e32 v6, v10
	s_waitcnt vmcnt(2)
	v_bfe_u32 v4, v11, v4, 4
	v_cvt_f32_ubyte0_e32 v4, v4
	v_add_f32_e32 v4, 0.5, v4
	v_mul_f32_e32 v4, v4, v6
	v_mul_f32_e32 v4, 0x3e800000, v4
	s_waitcnt vmcnt(1)
	v_cvt_f32_ubyte3_e32 v9, v0
	v_cvt_f32_ubyte2_e32 v8, v0
	v_cvt_f32_ubyte1_e32 v7, v0
	v_cvt_f32_ubyte0_e32 v6, v0
	s_waitcnt vmcnt(0)
	v_and_b32_e32 v17, 8, v15
	v_and_b32_e32 v18, 4, v15
	v_cvt_f32_ubyte1_e32 v11, v1
	v_cvt_f32_ubyte0_e32 v10, v1
	v_cvt_f32_ubyte3_e32 v13, v1
	v_cvt_f32_ubyte2_e32 v12, v1
	v_pk_mul_f32 v[0:1], v[4:5], v[8:9] op_sel_hi:[0,1]
	v_cmp_eq_u16_e32 vcc, 0, v17
	v_and_b32_e32 v19, 2, v15
	v_and_b32_e32 v20, 1, v15
	v_cndmask_b32_e64 v1, -v1, v1, vcc
	v_cmp_eq_u16_e32 vcc, 0, v18
	v_pk_mul_f32 v[6:7], v[4:5], v[6:7] op_sel_hi:[0,1]
	v_pk_mul_f32 v[8:9], v[4:5], v[10:11] op_sel_hi:[0,1]
	v_cndmask_b32_e64 v0, -v0, v0, vcc
	v_cmp_eq_u16_e32 vcc, 0, v19
	v_pk_mul_f32 v[10:11], v[4:5], v[12:13] op_sel_hi:[0,1]
	v_and_b32_e32 v21, 32, v15
	v_cndmask_b32_e64 v4, -v7, v7, vcc
	v_cmp_eq_u16_e32 vcc, 0, v20
	v_and_b32_e32 v22, 16, v15
	v_cmp_lt_i16_sdwa s[0:1], sext(v15), v5 src0_sel:BYTE_0 src1_sel:DWORD
	v_cndmask_b32_e64 v6, -v6, v6, vcc
	v_cmp_gt_i16_e32 vcc, 0, v14
	v_cndmask_b32_e64 v5, v11, -v11, s[0:1]
	v_bfe_u32 v11, v4, 16, 1
	v_cndmask_b32_e64 v7, v10, -v10, vcc
	v_cmp_eq_u16_e32 vcc, 0, v21
	v_bfe_u32 v10, v6, 16, 1
	v_bfe_u32 v17, v7, 16, 1
	v_cndmask_b32_e64 v9, -v9, v9, vcc
	v_cmp_eq_u16_e32 vcc, 0, v22
	v_bfe_u32 v15, v9, 16, 1
	v_bfe_u32 v18, v5, 16, 1
	v_cndmask_b32_e64 v8, -v8, v8, vcc
	v_bfe_u32 v14, v8, 16, 1
	v_cmp_o_f32_e32 vcc, v8, v8
	v_add3_u32 v10, v6, v10, s6
	v_add3_u32 v8, v8, v14, s6
	v_bfe_u32 v12, v0, 16, 1
	v_cmp_o_f32_e64 s[0:1], v9, v9
	v_cmp_o_f32_e64 s[2:3], v7, v7
	;; [unrolled: 1-line block ×3, first 2 shown]
	v_add3_u32 v11, v4, v11, s6
	v_add3_u32 v18, v5, v18, s6
	;; [unrolled: 1-line block ×4, first 2 shown]
	v_lshrrev_b32_e32 v9, 16, v10
	v_cndmask_b32_sdwa v8, v16, v8, vcc dst_sel:DWORD dst_unused:UNUSED_PAD src0_sel:DWORD src1_sel:WORD_1
	v_cmp_o_f32_e32 vcc, v6, v6
	v_bfe_u32 v13, v1, 16, 1
	v_add3_u32 v12, v0, v12, s6
	v_lshrrev_b32_e32 v10, 16, v11
	v_cndmask_b32_e32 v9, v16, v9, vcc
	v_cmp_o_f32_e32 vcc, v4, v4
	v_add3_u32 v13, v1, v13, s6
	v_lshrrev_b32_e32 v11, 16, v12
	v_cndmask_b32_e32 v4, v16, v10, vcc
	v_cmp_o_f32_e32 vcc, v0, v0
	v_lshrrev_b32_e32 v12, 16, v13
	v_perm_b32 v4, v4, v9, s7
	v_cndmask_b32_e32 v0, v16, v11, vcc
	v_cmp_o_f32_e32 vcc, v1, v1
	s_nop 1
	v_cndmask_b32_e32 v1, v16, v12, vcc
	s_mov_b64 vcc, s[0:1]
	v_cndmask_b32_sdwa v6, v16, v7, vcc dst_sel:DWORD dst_unused:UNUSED_PAD src0_sel:DWORD src1_sel:WORD_1
	s_mov_b64 vcc, s[2:3]
	v_cndmask_b32_sdwa v7, v16, v5, vcc dst_sel:DWORD dst_unused:UNUSED_PAD src0_sel:DWORD src1_sel:WORD_1
	s_mov_b64 vcc, s[4:5]
	v_perm_b32 v5, v1, v0, s7
	v_cndmask_b32_sdwa v0, v16, v18, vcc dst_sel:DWORD dst_unused:UNUSED_PAD src0_sel:DWORD src1_sel:WORD_1
	v_perm_b32 v6, v6, v8, s7
	v_perm_b32 v7, v0, v7, s7
	global_store_dwordx4 v[2:3], v[4:7], off
	s_endpgm
	.section	.rodata,"a",@progbits
	.p2align	6, 0x0
	.amdhsa_kernel _ZL23dequantize_block_iq2_xsIN3c108BFloat16EEvPKvPT_
		.amdhsa_group_segment_fixed_size 0
		.amdhsa_private_segment_fixed_size 0
		.amdhsa_kernarg_size 16
		.amdhsa_user_sgpr_count 2
		.amdhsa_user_sgpr_dispatch_ptr 0
		.amdhsa_user_sgpr_queue_ptr 0
		.amdhsa_user_sgpr_kernarg_segment_ptr 1
		.amdhsa_user_sgpr_dispatch_id 0
		.amdhsa_user_sgpr_kernarg_preload_length 0
		.amdhsa_user_sgpr_kernarg_preload_offset 0
		.amdhsa_user_sgpr_private_segment_size 0
		.amdhsa_uses_dynamic_stack 0
		.amdhsa_enable_private_segment 0
		.amdhsa_system_sgpr_workgroup_id_x 1
		.amdhsa_system_sgpr_workgroup_id_y 0
		.amdhsa_system_sgpr_workgroup_id_z 0
		.amdhsa_system_sgpr_workgroup_info 0
		.amdhsa_system_vgpr_workitem_id 0
		.amdhsa_next_free_vgpr 23
		.amdhsa_next_free_sgpr 8
		.amdhsa_accum_offset 24
		.amdhsa_reserve_vcc 1
		.amdhsa_float_round_mode_32 0
		.amdhsa_float_round_mode_16_64 0
		.amdhsa_float_denorm_mode_32 3
		.amdhsa_float_denorm_mode_16_64 3
		.amdhsa_dx10_clamp 1
		.amdhsa_ieee_mode 1
		.amdhsa_fp16_overflow 0
		.amdhsa_tg_split 0
		.amdhsa_exception_fp_ieee_invalid_op 0
		.amdhsa_exception_fp_denorm_src 0
		.amdhsa_exception_fp_ieee_div_zero 0
		.amdhsa_exception_fp_ieee_overflow 0
		.amdhsa_exception_fp_ieee_underflow 0
		.amdhsa_exception_fp_ieee_inexact 0
		.amdhsa_exception_int_div_zero 0
	.end_amdhsa_kernel
	.section	.text._ZL23dequantize_block_iq2_xsIN3c108BFloat16EEvPKvPT_,"axG",@progbits,_ZL23dequantize_block_iq2_xsIN3c108BFloat16EEvPKvPT_,comdat
.Lfunc_end49:
	.size	_ZL23dequantize_block_iq2_xsIN3c108BFloat16EEvPKvPT_, .Lfunc_end49-_ZL23dequantize_block_iq2_xsIN3c108BFloat16EEvPKvPT_
                                        ; -- End function
	.set _ZL23dequantize_block_iq2_xsIN3c108BFloat16EEvPKvPT_.num_vgpr, 23
	.set _ZL23dequantize_block_iq2_xsIN3c108BFloat16EEvPKvPT_.num_agpr, 0
	.set _ZL23dequantize_block_iq2_xsIN3c108BFloat16EEvPKvPT_.numbered_sgpr, 8
	.set _ZL23dequantize_block_iq2_xsIN3c108BFloat16EEvPKvPT_.num_named_barrier, 0
	.set _ZL23dequantize_block_iq2_xsIN3c108BFloat16EEvPKvPT_.private_seg_size, 0
	.set _ZL23dequantize_block_iq2_xsIN3c108BFloat16EEvPKvPT_.uses_vcc, 1
	.set _ZL23dequantize_block_iq2_xsIN3c108BFloat16EEvPKvPT_.uses_flat_scratch, 0
	.set _ZL23dequantize_block_iq2_xsIN3c108BFloat16EEvPKvPT_.has_dyn_sized_stack, 0
	.set _ZL23dequantize_block_iq2_xsIN3c108BFloat16EEvPKvPT_.has_recursion, 0
	.set _ZL23dequantize_block_iq2_xsIN3c108BFloat16EEvPKvPT_.has_indirect_call, 0
	.section	.AMDGPU.csdata,"",@progbits
; Kernel info:
; codeLenInByte = 800
; TotalNumSgprs: 14
; NumVgprs: 23
; NumAgprs: 0
; TotalNumVgprs: 23
; ScratchSize: 0
; MemoryBound: 0
; FloatMode: 240
; IeeeMode: 1
; LDSByteSize: 0 bytes/workgroup (compile time only)
; SGPRBlocks: 1
; VGPRBlocks: 2
; NumSGPRsForWavesPerEU: 14
; NumVGPRsForWavesPerEU: 23
; AccumOffset: 24
; Occupancy: 8
; WaveLimiterHint : 0
; COMPUTE_PGM_RSRC2:SCRATCH_EN: 0
; COMPUTE_PGM_RSRC2:USER_SGPR: 2
; COMPUTE_PGM_RSRC2:TRAP_HANDLER: 0
; COMPUTE_PGM_RSRC2:TGID_X_EN: 1
; COMPUTE_PGM_RSRC2:TGID_Y_EN: 0
; COMPUTE_PGM_RSRC2:TGID_Z_EN: 0
; COMPUTE_PGM_RSRC2:TIDIG_COMP_CNT: 0
; COMPUTE_PGM_RSRC3_GFX90A:ACCUM_OFFSET: 5
; COMPUTE_PGM_RSRC3_GFX90A:TG_SPLIT: 0
	.section	.text._ZL24dequantize_block_iq3_xxsIN3c108BFloat16EEvPKvPT_,"axG",@progbits,_ZL24dequantize_block_iq3_xxsIN3c108BFloat16EEvPKvPT_,comdat
	.globl	_ZL24dequantize_block_iq3_xxsIN3c108BFloat16EEvPKvPT_ ; -- Begin function _ZL24dequantize_block_iq3_xxsIN3c108BFloat16EEvPKvPT_
	.p2align	8
	.type	_ZL24dequantize_block_iq3_xxsIN3c108BFloat16EEvPKvPT_,@function
_ZL24dequantize_block_iq3_xxsIN3c108BFloat16EEvPKvPT_: ; @_ZL24dequantize_block_iq3_xxsIN3c108BFloat16EEvPKvPT_
; %bb.0:
	s_load_dwordx4 s[4:7], s[0:1], 0x0
	s_lshl_b32 s0, s2, 8
	s_mov_b32 s1, 0
	s_lshl_b64 s[0:1], s[0:1], 1
	v_and_b32_e32 v7, 7, v0
	s_waitcnt lgkmcnt(0)
	s_add_u32 s0, s6, s0
	s_addc_u32 s1, s7, s1
	v_lshlrev_b32_e32 v2, 6, v7
	v_mov_b32_e32 v3, 0
	v_lshrrev_b32_e32 v6, 3, v0
	v_lshl_add_u64 v[4:5], s[0:1], 0, v[2:3]
	v_and_b32_e32 v0, 0x3f8, v0
	s_mul_hi_u32 s1, s2, 0x62
	s_mulk_i32 s2, 0x62
	v_lshlrev_b32_e32 v2, 1, v0
	s_add_u32 s0, s4, s2
	v_lshl_add_u64 v[0:1], v[4:5], 0, v[2:3]
	s_addc_u32 s1, s5, s1
	v_lshlrev_b32_e32 v2, 3, v7
	v_lshl_add_u64 v[4:5], s[0:1], 0, v[2:3]
	v_lshlrev_b32_e32 v2, 1, v6
	v_lshl_add_u64 v[4:5], v[4:5], 0, v[2:3]
	v_lshlrev_b32_e32 v7, 2, v7
	global_load_ushort v2, v[4:5], off offset:2
	global_load_ushort v8, v3, s[0:1]
	global_load_dword v9, v7, s[0:1] offset:66
	v_mov_b32_e32 v4, 2
	v_mul_u32_u24_e32 v5, 7, v6
	s_getpc_b64 s[0:1]
	s_add_u32 s0, s0, _ZL11iq3xxs_grid@rel32@lo+4
	s_addc_u32 s1, s1, _ZL11iq3xxs_grid@rel32@hi+12
	s_getpc_b64 s[2:3]
	s_add_u32 s2, s2, _ZL12ksigns_iq2xs@rel32@lo+4
	s_addc_u32 s3, s3, _ZL12ksigns_iq2xs@rel32@hi+12
	v_mov_b32_e32 v14, 1
	v_mov_b32_e32 v15, 0x7fc0
	s_waitcnt vmcnt(2)
	v_lshlrev_b32_sdwa v6, v4, v2 dst_sel:DWORD dst_unused:UNUSED_PAD src0_sel:DWORD src1_sel:BYTE_1
	global_load_dword v10, v6, s[0:1]
	s_waitcnt vmcnt(1)
	v_bfe_u32 v11, v9, v5, 7
	global_load_ubyte v12, v11, s[2:3]
	v_lshlrev_b32_sdwa v2, v4, v2 dst_sel:DWORD dst_unused:UNUSED_PAD src0_sel:DWORD src1_sel:BYTE_0
	global_load_dword v13, v2, s[0:1]
	v_cvt_f32_f16_e32 v2, v8
	v_lshrrev_b32_e32 v4, 28, v9
	v_cvt_f32_ubyte0_e32 v4, v4
	v_add_f32_e32 v4, 0.5, v4
	v_mul_f32_e32 v2, v4, v2
	v_mul_f32_e32 v2, 0.5, v2
	s_movk_i32 s2, 0x7fff
	s_mov_b32 s3, 0x5040100
	s_waitcnt vmcnt(2)
	v_cvt_f32_ubyte1_e32 v5, v10
	v_cvt_f32_ubyte0_e32 v4, v10
	s_waitcnt vmcnt(1)
	v_and_b32_e32 v16, 16, v12
	v_and_b32_e32 v17, 32, v12
	v_pk_mul_f32 v[4:5], v[2:3], v[4:5] op_sel_hi:[0,1]
	v_cmp_eq_u16_e32 vcc, 0, v16
	s_waitcnt vmcnt(0)
	v_cvt_f32_ubyte1_e32 v7, v13
	v_cvt_f32_ubyte0_e32 v6, v13
	v_cvt_f32_ubyte3_e32 v9, v13
	v_cvt_f32_ubyte2_e32 v8, v13
	v_and_b32_e32 v13, 8, v12
	v_cndmask_b32_e64 v4, -v4, v4, vcc
	v_cmp_eq_u16_e32 vcc, 0, v17
	v_and_b32_e32 v19, 4, v12
	v_pk_mul_f32 v[8:9], v[2:3], v[8:9] op_sel_hi:[0,1]
	v_cndmask_b32_e64 v5, -v5, v5, vcc
	v_cmp_eq_u16_e32 vcc, 0, v13
	v_and_b32_e32 v20, 2, v12
	v_and_b32_e32 v21, 1, v12
	v_cndmask_b32_e64 v9, -v9, v9, vcc
	v_cmp_eq_u16_e32 vcc, 0, v19
	v_pk_mul_f32 v[6:7], v[2:3], v[6:7] op_sel_hi:[0,1]
	v_cvt_f32_ubyte2_e32 v18, v10
	v_cndmask_b32_e64 v8, -v8, v8, vcc
	v_cmp_eq_u16_e32 vcc, 0, v20
	v_cvt_f32_ubyte3_e32 v10, v10
	v_mul_f32_e32 v18, v2, v18
	v_cndmask_b32_e64 v7, -v7, v7, vcc
	v_cmp_eq_u16_e32 vcc, 0, v21
	v_mul_f32_e32 v2, v2, v10
	v_cmp_lt_i16_sdwa s[0:1], sext(v12), v3 src0_sel:BYTE_0 src1_sel:DWORD
	v_cndmask_b32_e64 v6, -v6, v6, vcc
	v_cmp_gt_u32_e32 vcc, 64, v11
	v_cndmask_b32_e64 v2, v2, -v2, s[0:1]
	v_and_b32_sdwa v3, v5, v14 dst_sel:DWORD dst_unused:UNUSED_PAD src0_sel:WORD_1 src1_sel:DWORD
	v_cndmask_b32_e64 v10, -v18, v18, vcc
	v_and_b32_sdwa v11, v4, v14 dst_sel:DWORD dst_unused:UNUSED_PAD src0_sel:WORD_1 src1_sel:DWORD
	v_and_b32_sdwa v18, v2, v14 dst_sel:DWORD dst_unused:UNUSED_PAD src0_sel:WORD_1 src1_sel:DWORD
	;; [unrolled: 1-line block ×3, first 2 shown]
	v_cmp_o_f32_e32 vcc, v10, v10
	v_add3_u32 v11, v4, v11, s2
	v_add3_u32 v10, v10, v14, s2
	v_bfe_u32 v12, v6, 16, 1
	v_add3_u32 v3, v5, v3, s2
	v_lshrrev_b32_e32 v11, 16, v11
	v_cndmask_b32_sdwa v10, v15, v10, vcc dst_sel:DWORD dst_unused:UNUSED_PAD src0_sel:DWORD src1_sel:WORD_1
	v_cmp_o_f32_e32 vcc, v4, v4
	v_bfe_u32 v13, v7, 16, 1
	v_add3_u32 v12, v6, v12, s2
	v_lshrrev_b32_e32 v3, 16, v3
	v_cndmask_b32_e32 v4, v15, v11, vcc
	v_cmp_o_f32_e32 vcc, v5, v5
	v_bfe_u32 v16, v8, 16, 1
	v_add3_u32 v13, v7, v13, s2
	v_lshrrev_b32_e32 v12, 16, v12
	v_cndmask_b32_e32 v3, v15, v3, vcc
	;; [unrolled: 5-line block ×3, first 2 shown]
	v_cmp_o_f32_e32 vcc, v7, v7
	v_add3_u32 v17, v9, v17, s2
	v_lshrrev_b32_e32 v14, 16, v16
	v_cndmask_b32_e32 v6, v15, v13, vcc
	v_cmp_o_f32_e32 vcc, v8, v8
	v_cmp_o_f32_e64 s[0:1], v2, v2
	v_lshrrev_b32_e32 v16, 16, v17
	v_cndmask_b32_e32 v7, v15, v14, vcc
	v_cmp_o_f32_e32 vcc, v9, v9
	v_add3_u32 v2, v2, v18, s2
	v_perm_b32 v4, v3, v4, s3
	v_cndmask_b32_e32 v8, v15, v16, vcc
	s_mov_b64 vcc, s[0:1]
	v_cndmask_b32_sdwa v9, v15, v2, vcc dst_sel:DWORD dst_unused:UNUSED_PAD src0_sel:DWORD src1_sel:WORD_1
	v_perm_b32 v3, v8, v7, s3
	v_perm_b32 v2, v6, v5, s3
	v_perm_b32 v5, v9, v10, s3
	global_store_dwordx4 v[0:1], v[2:5], off
	s_endpgm
	.section	.rodata,"a",@progbits
	.p2align	6, 0x0
	.amdhsa_kernel _ZL24dequantize_block_iq3_xxsIN3c108BFloat16EEvPKvPT_
		.amdhsa_group_segment_fixed_size 0
		.amdhsa_private_segment_fixed_size 0
		.amdhsa_kernarg_size 16
		.amdhsa_user_sgpr_count 2
		.amdhsa_user_sgpr_dispatch_ptr 0
		.amdhsa_user_sgpr_queue_ptr 0
		.amdhsa_user_sgpr_kernarg_segment_ptr 1
		.amdhsa_user_sgpr_dispatch_id 0
		.amdhsa_user_sgpr_kernarg_preload_length 0
		.amdhsa_user_sgpr_kernarg_preload_offset 0
		.amdhsa_user_sgpr_private_segment_size 0
		.amdhsa_uses_dynamic_stack 0
		.amdhsa_enable_private_segment 0
		.amdhsa_system_sgpr_workgroup_id_x 1
		.amdhsa_system_sgpr_workgroup_id_y 0
		.amdhsa_system_sgpr_workgroup_id_z 0
		.amdhsa_system_sgpr_workgroup_info 0
		.amdhsa_system_vgpr_workitem_id 0
		.amdhsa_next_free_vgpr 22
		.amdhsa_next_free_sgpr 8
		.amdhsa_accum_offset 24
		.amdhsa_reserve_vcc 1
		.amdhsa_float_round_mode_32 0
		.amdhsa_float_round_mode_16_64 0
		.amdhsa_float_denorm_mode_32 3
		.amdhsa_float_denorm_mode_16_64 3
		.amdhsa_dx10_clamp 1
		.amdhsa_ieee_mode 1
		.amdhsa_fp16_overflow 0
		.amdhsa_tg_split 0
		.amdhsa_exception_fp_ieee_invalid_op 0
		.amdhsa_exception_fp_denorm_src 0
		.amdhsa_exception_fp_ieee_div_zero 0
		.amdhsa_exception_fp_ieee_overflow 0
		.amdhsa_exception_fp_ieee_underflow 0
		.amdhsa_exception_fp_ieee_inexact 0
		.amdhsa_exception_int_div_zero 0
	.end_amdhsa_kernel
	.section	.text._ZL24dequantize_block_iq3_xxsIN3c108BFloat16EEvPKvPT_,"axG",@progbits,_ZL24dequantize_block_iq3_xxsIN3c108BFloat16EEvPKvPT_,comdat
.Lfunc_end50:
	.size	_ZL24dequantize_block_iq3_xxsIN3c108BFloat16EEvPKvPT_, .Lfunc_end50-_ZL24dequantize_block_iq3_xxsIN3c108BFloat16EEvPKvPT_
                                        ; -- End function
	.set _ZL24dequantize_block_iq3_xxsIN3c108BFloat16EEvPKvPT_.num_vgpr, 22
	.set _ZL24dequantize_block_iq3_xxsIN3c108BFloat16EEvPKvPT_.num_agpr, 0
	.set _ZL24dequantize_block_iq3_xxsIN3c108BFloat16EEvPKvPT_.numbered_sgpr, 8
	.set _ZL24dequantize_block_iq3_xxsIN3c108BFloat16EEvPKvPT_.num_named_barrier, 0
	.set _ZL24dequantize_block_iq3_xxsIN3c108BFloat16EEvPKvPT_.private_seg_size, 0
	.set _ZL24dequantize_block_iq3_xxsIN3c108BFloat16EEvPKvPT_.uses_vcc, 1
	.set _ZL24dequantize_block_iq3_xxsIN3c108BFloat16EEvPKvPT_.uses_flat_scratch, 0
	.set _ZL24dequantize_block_iq3_xxsIN3c108BFloat16EEvPKvPT_.has_dyn_sized_stack, 0
	.set _ZL24dequantize_block_iq3_xxsIN3c108BFloat16EEvPKvPT_.has_recursion, 0
	.set _ZL24dequantize_block_iq3_xxsIN3c108BFloat16EEvPKvPT_.has_indirect_call, 0
	.section	.AMDGPU.csdata,"",@progbits
; Kernel info:
; codeLenInByte = 776
; TotalNumSgprs: 14
; NumVgprs: 22
; NumAgprs: 0
; TotalNumVgprs: 22
; ScratchSize: 0
; MemoryBound: 0
; FloatMode: 240
; IeeeMode: 1
; LDSByteSize: 0 bytes/workgroup (compile time only)
; SGPRBlocks: 1
; VGPRBlocks: 2
; NumSGPRsForWavesPerEU: 14
; NumVGPRsForWavesPerEU: 22
; AccumOffset: 24
; Occupancy: 8
; WaveLimiterHint : 0
; COMPUTE_PGM_RSRC2:SCRATCH_EN: 0
; COMPUTE_PGM_RSRC2:USER_SGPR: 2
; COMPUTE_PGM_RSRC2:TRAP_HANDLER: 0
; COMPUTE_PGM_RSRC2:TGID_X_EN: 1
; COMPUTE_PGM_RSRC2:TGID_Y_EN: 0
; COMPUTE_PGM_RSRC2:TGID_Z_EN: 0
; COMPUTE_PGM_RSRC2:TIDIG_COMP_CNT: 0
; COMPUTE_PGM_RSRC3_GFX90A:ACCUM_OFFSET: 5
; COMPUTE_PGM_RSRC3_GFX90A:TG_SPLIT: 0
	.section	.text._ZL22dequantize_block_iq1_sIN3c108BFloat16EEvPKvPT_,"axG",@progbits,_ZL22dequantize_block_iq1_sIN3c108BFloat16EEvPKvPT_,comdat
	.globl	_ZL22dequantize_block_iq1_sIN3c108BFloat16EEvPKvPT_ ; -- Begin function _ZL22dequantize_block_iq1_sIN3c108BFloat16EEvPKvPT_
	.p2align	8
	.type	_ZL22dequantize_block_iq1_sIN3c108BFloat16EEvPKvPT_,@function
_ZL22dequantize_block_iq1_sIN3c108BFloat16EEvPKvPT_: ; @_ZL22dequantize_block_iq1_sIN3c108BFloat16EEvPKvPT_
; %bb.0:
	s_load_dwordx4 s[4:7], s[0:1], 0x0
	s_mov_b32 s3, 0
	s_lshl_b64 s[0:1], s[2:3], 9
	s_mul_hi_u32 s3, s2, 50
	s_mul_i32 s2, s2, 50
	s_waitcnt lgkmcnt(0)
	s_add_u32 s0, s6, s0
	s_addc_u32 s1, s7, s1
	v_mov_b32_e32 v3, 0
	v_and_b32_e32 v8, 7, v0
	s_add_u32 s2, s4, s2
	s_addc_u32 s3, s5, s3
	v_lshlrev_b32_e32 v4, 1, v8
	v_mov_b32_e32 v5, v3
	v_lshl_add_u64 v[6:7], s[2:3], 0, v[4:5]
	v_lshrrev_b32_e32 v2, 3, v0
	v_lshl_add_u64 v[6:7], v[6:7], 0, v[4:5]
	v_lshl_add_u64 v[6:7], v[6:7], 0, v[2:3]
	global_load_ushort v9, v4, s[2:3] offset:34
	global_load_ushort v10, v3, s[2:3]
	global_load_ubyte v1, v[6:7], off offset:2
	v_mul_u32_u24_e32 v2, 3, v2
	s_movk_i32 s4, 0x700
	s_getpc_b64 s[2:3]
	s_add_u32 s2, s2, _ZL13iq1s_grid_gpu@rel32@lo+4
	s_addc_u32 s3, s3, _ZL13iq1s_grid_gpu@rel32@hi+12
	v_mov_b32_e32 v7, 0xbf900000
	v_mov_b32_e32 v11, 0xbf600000
	s_movk_i32 s6, 0x7fff
	v_mov_b32_e32 v14, 0x7fc0
	s_mov_b32 s7, 0x5040100
	s_waitcnt vmcnt(2)
	v_lshrrev_b32_sdwa v2, v2, v9 dst_sel:DWORD dst_unused:UNUSED_PAD src0_sel:DWORD src1_sel:WORD_0
	v_lshlrev_b32_e32 v2, 8, v2
	s_waitcnt vmcnt(0)
	v_and_or_b32 v1, v2, s4, v1
	v_lshlrev_b32_e32 v1, 3, v1
	global_load_dword v6, v1, s[2:3]
	v_mov_b32_e32 v1, v3
	v_and_b32_e32 v2, 0x3f8, v0
	v_lshlrev_b32_e32 v0, 6, v8
	v_lshlrev_b32_e32 v2, 1, v2
	v_lshl_add_u64 v[0:1], s[0:1], 0, v[0:1]
	v_lshl_add_u64 v[4:5], v[0:1], 0, v[2:3]
	v_cvt_f32_f16_e32 v1, v10
	v_lshrrev_b16_e32 v2, 11, v9
	v_bitop3_b16 v2, v2, 1, 14 bitop3:0xec
	v_cmp_lt_i16_e32 vcc, -1, v9
	v_cvt_f32_ubyte0_e32 v2, v2
	v_mul_f32_e32 v2, v1, v2
	v_cndmask_b32_e32 v0, v7, v11, vcc
	s_waitcnt vmcnt(0)
	v_and_b32_e32 v1, 0xf0f0f0f, v6
	v_bfe_u32 v3, v6, 8, 4
	v_and_b32_e32 v8, 15, v6
	v_bfe_u32 v10, v6, 16, 4
	v_lshrrev_b32_e32 v12, 28, v6
	v_bfe_u32 v11, v6, 12, 4
	v_bfe_u32 v13, v6, 4, 4
	;; [unrolled: 1-line block ×3, first 2 shown]
	v_cvt_f32_ubyte0_e32 v7, v3
	v_cvt_f32_ubyte0_e32 v6, v8
	v_cvt_f32_ubyte3_e32 v9, v1
	v_cvt_f32_ubyte0_e32 v8, v10
	v_cvt_f32_ubyte0_e32 v11, v11
	;; [unrolled: 1-line block ×5, first 2 shown]
	v_pk_add_f32 v[8:9], v[0:1], v[8:9] op_sel_hi:[0,1]
	v_pk_add_f32 v[6:7], v[0:1], v[6:7] op_sel_hi:[0,1]
	v_pk_add_f32 v[12:13], v[0:1], v[12:13] op_sel_hi:[0,1]
	v_pk_add_f32 v[0:1], v[0:1], v[10:11] op_sel_hi:[0,1]
	v_pk_mul_f32 v[6:7], v[2:3], v[6:7] op_sel_hi:[0,1]
	v_pk_mul_f32 v[0:1], v[2:3], v[0:1] op_sel_hi:[0,1]
	v_bfe_u32 v10, v6, 16, 1
	v_bfe_u32 v15, v0, 16, 1
	v_pk_mul_f32 v[8:9], v[2:3], v[8:9] op_sel_hi:[0,1]
	v_bfe_u32 v11, v7, 16, 1
	v_cmp_o_f32_e32 vcc, v0, v0
	v_add3_u32 v10, v6, v10, s6
	v_add3_u32 v0, v0, v15, s6
	v_pk_mul_f32 v[2:3], v[2:3], v[12:13] op_sel_hi:[0,1]
	v_bfe_u32 v12, v8, 16, 1
	v_add3_u32 v11, v7, v11, s6
	v_lshrrev_b32_e32 v10, 16, v10
	v_cndmask_b32_sdwa v0, v14, v0, vcc dst_sel:DWORD dst_unused:UNUSED_PAD src0_sel:DWORD src1_sel:WORD_1
	v_cmp_o_f32_e32 vcc, v6, v6
	v_bfe_u32 v13, v9, 16, 1
	v_add3_u32 v12, v8, v12, s6
	v_lshrrev_b32_e32 v11, 16, v11
	v_cndmask_b32_e32 v6, v14, v10, vcc
	v_cmp_o_f32_e32 vcc, v7, v7
	v_add3_u32 v13, v9, v13, s6
	v_lshrrev_b32_e32 v12, 16, v12
	v_cndmask_b32_e32 v7, v14, v11, vcc
	v_cmp_o_f32_e32 vcc, v8, v8
	v_bfe_u32 v16, v1, 16, 1
	v_cmp_o_f32_e64 s[0:1], v1, v1
	v_lshrrev_b32_e32 v13, 16, v13
	v_cndmask_b32_e32 v8, v14, v12, vcc
	v_cmp_o_f32_e32 vcc, v9, v9
	v_bfe_u32 v17, v2, 16, 1
	v_cmp_o_f32_e64 s[2:3], v2, v2
	v_add3_u32 v1, v1, v16, s6
	v_cndmask_b32_e32 v9, v14, v13, vcc
	s_mov_b64 vcc, s[0:1]
	v_bfe_u32 v18, v3, 16, 1
	v_cmp_o_f32_e64 s[4:5], v3, v3
	v_add3_u32 v2, v2, v17, s6
	v_cndmask_b32_sdwa v1, v14, v1, vcc dst_sel:DWORD dst_unused:UNUSED_PAD src0_sel:DWORD src1_sel:WORD_1
	s_mov_b64 vcc, s[2:3]
	v_add3_u32 v3, v3, v18, s6
	v_cndmask_b32_sdwa v10, v14, v2, vcc dst_sel:DWORD dst_unused:UNUSED_PAD src0_sel:DWORD src1_sel:WORD_1
	s_mov_b64 vcc, s[4:5]
	v_perm_b32 v2, v1, v0, s7
	v_cndmask_b32_sdwa v0, v14, v3, vcc dst_sel:DWORD dst_unused:UNUSED_PAD src0_sel:DWORD src1_sel:WORD_1
	v_perm_b32 v1, v9, v8, s7
	v_perm_b32 v3, v0, v10, s7
	;; [unrolled: 1-line block ×3, first 2 shown]
	global_store_dwordx4 v[4:5], v[0:3], off
	s_endpgm
	.section	.rodata,"a",@progbits
	.p2align	6, 0x0
	.amdhsa_kernel _ZL22dequantize_block_iq1_sIN3c108BFloat16EEvPKvPT_
		.amdhsa_group_segment_fixed_size 0
		.amdhsa_private_segment_fixed_size 0
		.amdhsa_kernarg_size 16
		.amdhsa_user_sgpr_count 2
		.amdhsa_user_sgpr_dispatch_ptr 0
		.amdhsa_user_sgpr_queue_ptr 0
		.amdhsa_user_sgpr_kernarg_segment_ptr 1
		.amdhsa_user_sgpr_dispatch_id 0
		.amdhsa_user_sgpr_kernarg_preload_length 0
		.amdhsa_user_sgpr_kernarg_preload_offset 0
		.amdhsa_user_sgpr_private_segment_size 0
		.amdhsa_uses_dynamic_stack 0
		.amdhsa_enable_private_segment 0
		.amdhsa_system_sgpr_workgroup_id_x 1
		.amdhsa_system_sgpr_workgroup_id_y 0
		.amdhsa_system_sgpr_workgroup_id_z 0
		.amdhsa_system_sgpr_workgroup_info 0
		.amdhsa_system_vgpr_workitem_id 0
		.amdhsa_next_free_vgpr 19
		.amdhsa_next_free_sgpr 8
		.amdhsa_accum_offset 20
		.amdhsa_reserve_vcc 1
		.amdhsa_float_round_mode_32 0
		.amdhsa_float_round_mode_16_64 0
		.amdhsa_float_denorm_mode_32 3
		.amdhsa_float_denorm_mode_16_64 3
		.amdhsa_dx10_clamp 1
		.amdhsa_ieee_mode 1
		.amdhsa_fp16_overflow 0
		.amdhsa_tg_split 0
		.amdhsa_exception_fp_ieee_invalid_op 0
		.amdhsa_exception_fp_denorm_src 0
		.amdhsa_exception_fp_ieee_div_zero 0
		.amdhsa_exception_fp_ieee_overflow 0
		.amdhsa_exception_fp_ieee_underflow 0
		.amdhsa_exception_fp_ieee_inexact 0
		.amdhsa_exception_int_div_zero 0
	.end_amdhsa_kernel
	.section	.text._ZL22dequantize_block_iq1_sIN3c108BFloat16EEvPKvPT_,"axG",@progbits,_ZL22dequantize_block_iq1_sIN3c108BFloat16EEvPKvPT_,comdat
.Lfunc_end51:
	.size	_ZL22dequantize_block_iq1_sIN3c108BFloat16EEvPKvPT_, .Lfunc_end51-_ZL22dequantize_block_iq1_sIN3c108BFloat16EEvPKvPT_
                                        ; -- End function
	.set _ZL22dequantize_block_iq1_sIN3c108BFloat16EEvPKvPT_.num_vgpr, 19
	.set _ZL22dequantize_block_iq1_sIN3c108BFloat16EEvPKvPT_.num_agpr, 0
	.set _ZL22dequantize_block_iq1_sIN3c108BFloat16EEvPKvPT_.numbered_sgpr, 8
	.set _ZL22dequantize_block_iq1_sIN3c108BFloat16EEvPKvPT_.num_named_barrier, 0
	.set _ZL22dequantize_block_iq1_sIN3c108BFloat16EEvPKvPT_.private_seg_size, 0
	.set _ZL22dequantize_block_iq1_sIN3c108BFloat16EEvPKvPT_.uses_vcc, 1
	.set _ZL22dequantize_block_iq1_sIN3c108BFloat16EEvPKvPT_.uses_flat_scratch, 0
	.set _ZL22dequantize_block_iq1_sIN3c108BFloat16EEvPKvPT_.has_dyn_sized_stack, 0
	.set _ZL22dequantize_block_iq1_sIN3c108BFloat16EEvPKvPT_.has_recursion, 0
	.set _ZL22dequantize_block_iq1_sIN3c108BFloat16EEvPKvPT_.has_indirect_call, 0
	.section	.AMDGPU.csdata,"",@progbits
; Kernel info:
; codeLenInByte = 732
; TotalNumSgprs: 14
; NumVgprs: 19
; NumAgprs: 0
; TotalNumVgprs: 19
; ScratchSize: 0
; MemoryBound: 0
; FloatMode: 240
; IeeeMode: 1
; LDSByteSize: 0 bytes/workgroup (compile time only)
; SGPRBlocks: 1
; VGPRBlocks: 2
; NumSGPRsForWavesPerEU: 14
; NumVGPRsForWavesPerEU: 19
; AccumOffset: 20
; Occupancy: 8
; WaveLimiterHint : 0
; COMPUTE_PGM_RSRC2:SCRATCH_EN: 0
; COMPUTE_PGM_RSRC2:USER_SGPR: 2
; COMPUTE_PGM_RSRC2:TRAP_HANDLER: 0
; COMPUTE_PGM_RSRC2:TGID_X_EN: 1
; COMPUTE_PGM_RSRC2:TGID_Y_EN: 0
; COMPUTE_PGM_RSRC2:TGID_Z_EN: 0
; COMPUTE_PGM_RSRC2:TIDIG_COMP_CNT: 0
; COMPUTE_PGM_RSRC3_GFX90A:ACCUM_OFFSET: 4
; COMPUTE_PGM_RSRC3_GFX90A:TG_SPLIT: 0
	.section	.text._ZL23dequantize_block_iq4_nlIN3c108BFloat16EEvPKvPT_,"axG",@progbits,_ZL23dequantize_block_iq4_nlIN3c108BFloat16EEvPKvPT_,comdat
	.globl	_ZL23dequantize_block_iq4_nlIN3c108BFloat16EEvPKvPT_ ; -- Begin function _ZL23dequantize_block_iq4_nlIN3c108BFloat16EEvPKvPT_
	.p2align	8
	.type	_ZL23dequantize_block_iq4_nlIN3c108BFloat16EEvPKvPT_,@function
_ZL23dequantize_block_iq4_nlIN3c108BFloat16EEvPKvPT_: ; @_ZL23dequantize_block_iq4_nlIN3c108BFloat16EEvPKvPT_
; %bb.0:
	s_load_dwordx4 s[4:7], s[0:1], 0x0
	s_lshl_b32 s0, s2, 3
	s_mul_i32 s1, s2, 0x90
	s_mul_hi_u32 s3, s0, 18
	v_and_b32_e32 v1, 7, v0
	s_waitcnt lgkmcnt(0)
	s_add_u32 s0, s4, s1
	s_addc_u32 s1, s5, s3
	s_lshl_b32 s2, s2, 8
	s_mov_b32 s3, 0
	s_lshl_b64 s[4:5], s[2:3], 1
	s_add_u32 s4, s6, s4
	s_addc_u32 s5, s7, s5
	v_lshlrev_b32_e32 v2, 6, v1
	v_mov_b32_e32 v3, 0
	v_lshrrev_b32_e32 v0, 1, v0
	v_lshl_add_u64 v[4:5], s[4:5], 0, v[2:3]
	v_and_b32_e32 v2, 0x1fc, v0
	v_mad_u64_u32 v[0:1], s[0:1], v1, 18, s[0:1]
	v_lshl_add_u64 v[6:7], v[0:1], 0, v[2:3]
	global_load_dword v9, v[6:7], off offset:2
	global_load_ushort v12, v[0:1], off
	v_mov_b32_e32 v0, 4
	s_getpc_b64 s[0:1]
	s_add_u32 s0, s0, _ZL13kvalues_iq4nl@rel32@lo+4
	s_addc_u32 s1, s1, _ZL13kvalues_iq4nl@rel32@hi+12
	v_lshlrev_b32_e32 v8, 1, v2
	v_mov_b32_e32 v1, s3
	v_mov_b32_e32 v7, s3
	s_movk_i32 s6, 0x7fff
	s_mov_b32 s8, 0x5040100
	s_waitcnt vmcnt(1)
	v_lshrrev_b32_e32 v6, 8, v9
	v_lshrrev_b16_e32 v10, 4, v9
	v_lshrrev_b16_sdwa v2, v0, v9 dst_sel:DWORD dst_unused:UNUSED_PAD src0_sel:DWORD src1_sel:BYTE_3
	v_lshrrev_b16_e32 v6, 4, v6
	v_and_b32_e32 v0, 15, v10
	v_lshl_add_u64 v[10:11], s[0:1], 0, v[2:3]
	v_and_b32_e32 v2, 15, v6
	v_and_b32_e32 v13, 15, v9
	;; [unrolled: 1-line block ×4, first 2 shown]
	v_bfe_u32 v14, v9, 8, 4
	v_bfe_u32 v15, v9, 16, 4
	;; [unrolled: 1-line block ×4, first 2 shown]
	v_lshl_add_u64 v[0:1], s[0:1], 0, v[0:1]
	v_lshl_add_u64 v[6:7], s[0:1], 0, v[6:7]
	global_load_sbyte v18, v13, s[0:1]
	global_load_sbyte v19, v14, s[0:1]
	global_load_sbyte v20, v[0:1], off
	global_load_sbyte v21, v17, s[0:1]
	global_load_sbyte v22, v15, s[0:1]
	global_load_sbyte v23, v[6:7], off
	global_load_sbyte v24, v16, s[0:1]
	global_load_sbyte v25, v[10:11], off
	v_mov_b32_e32 v9, v3
	v_lshl_add_u64 v[0:1], v[4:5], 0, v[8:9]
	s_waitcnt vmcnt(8)
	v_cvt_f32_f16_e32 v2, v12
	v_mov_b32_e32 v13, 0x7fc0
	s_waitcnt vmcnt(7)
	v_cvt_f32_i32_e32 v4, v18
	s_waitcnt vmcnt(6)
	v_cvt_f32_i32_e32 v5, v19
	;; [unrolled: 2-line block ×8, first 2 shown]
	v_pk_mul_f32 v[4:5], v[2:3], v[4:5] op_sel_hi:[0,1]
	v_pk_mul_f32 v[8:9], v[2:3], v[8:9] op_sel_hi:[0,1]
	v_bfe_u32 v12, v4, 16, 1
	v_pk_mul_f32 v[10:11], v[2:3], v[10:11] op_sel_hi:[0,1]
	v_pk_mul_f32 v[2:3], v[2:3], v[6:7] op_sel_hi:[0,1]
	v_bfe_u32 v6, v8, 16, 1
	v_bfe_u32 v15, v10, 16, 1
	;; [unrolled: 1-line block ×5, first 2 shown]
	v_add3_u32 v12, v4, v12, s6
	v_bfe_u32 v16, v11, 16, 1
	v_bfe_u32 v18, v3, 16, 1
	v_cmp_o_f32_e32 vcc, v10, v10
	v_cmp_o_f32_e64 s[2:3], v2, v2
	v_add3_u32 v6, v8, v6, s6
	v_add3_u32 v17, v2, v17, s6
	;; [unrolled: 1-line block ×4, first 2 shown]
	v_cmp_o_f32_e64 s[4:5], v3, v3
	v_add3_u32 v7, v9, v7, s6
	v_lshrrev_b32_e32 v12, 16, v12
	v_add3_u32 v18, v3, v18, s6
	v_add3_u32 v3, v11, v16, s6
	v_lshrrev_b32_e32 v6, 16, v6
	v_cmp_o_f32_e64 s[6:7], v4, v4
	v_cndmask_b32_sdwa v10, v13, v2, vcc dst_sel:DWORD dst_unused:UNUSED_PAD src0_sel:DWORD src1_sel:WORD_1
	v_cmp_o_f32_e32 vcc, v8, v8
	v_cmp_o_f32_e64 s[0:1], v11, v11
	v_lshrrev_b32_e32 v14, 16, v14
	v_lshrrev_b32_e32 v7, 16, v7
	v_cndmask_b32_e64 v4, v13, v12, s[6:7]
	v_cmp_o_f32_e64 s[6:7], v5, v5
	v_cndmask_b32_e32 v6, v13, v6, vcc
	v_cmp_o_f32_e32 vcc, v9, v9
	v_cndmask_b32_e64 v5, v13, v14, s[6:7]
	v_perm_b32 v2, v5, v4, s8
	v_cndmask_b32_e32 v7, v13, v7, vcc
	s_mov_b64 vcc, s[0:1]
	v_cndmask_b32_sdwa v4, v13, v3, vcc dst_sel:DWORD dst_unused:UNUSED_PAD src0_sel:DWORD src1_sel:WORD_1
	s_mov_b64 vcc, s[2:3]
	v_perm_b32 v3, v7, v6, s8
	v_perm_b32 v5, v4, v10, s8
	v_cndmask_b32_sdwa v4, v13, v17, vcc dst_sel:DWORD dst_unused:UNUSED_PAD src0_sel:DWORD src1_sel:WORD_1
	s_mov_b64 vcc, s[4:5]
	global_store_dwordx2 v[0:1], v[2:3], off
	v_cndmask_b32_sdwa v2, v13, v18, vcc dst_sel:DWORD dst_unused:UNUSED_PAD src0_sel:DWORD src1_sel:WORD_1
	v_perm_b32 v4, v2, v4, s8
	global_store_dwordx2 v[0:1], v[4:5], off offset:32
	s_endpgm
	.section	.rodata,"a",@progbits
	.p2align	6, 0x0
	.amdhsa_kernel _ZL23dequantize_block_iq4_nlIN3c108BFloat16EEvPKvPT_
		.amdhsa_group_segment_fixed_size 0
		.amdhsa_private_segment_fixed_size 0
		.amdhsa_kernarg_size 16
		.amdhsa_user_sgpr_count 2
		.amdhsa_user_sgpr_dispatch_ptr 0
		.amdhsa_user_sgpr_queue_ptr 0
		.amdhsa_user_sgpr_kernarg_segment_ptr 1
		.amdhsa_user_sgpr_dispatch_id 0
		.amdhsa_user_sgpr_kernarg_preload_length 0
		.amdhsa_user_sgpr_kernarg_preload_offset 0
		.amdhsa_user_sgpr_private_segment_size 0
		.amdhsa_uses_dynamic_stack 0
		.amdhsa_enable_private_segment 0
		.amdhsa_system_sgpr_workgroup_id_x 1
		.amdhsa_system_sgpr_workgroup_id_y 0
		.amdhsa_system_sgpr_workgroup_id_z 0
		.amdhsa_system_sgpr_workgroup_info 0
		.amdhsa_system_vgpr_workitem_id 0
		.amdhsa_next_free_vgpr 26
		.amdhsa_next_free_sgpr 9
		.amdhsa_accum_offset 28
		.amdhsa_reserve_vcc 1
		.amdhsa_float_round_mode_32 0
		.amdhsa_float_round_mode_16_64 0
		.amdhsa_float_denorm_mode_32 3
		.amdhsa_float_denorm_mode_16_64 3
		.amdhsa_dx10_clamp 1
		.amdhsa_ieee_mode 1
		.amdhsa_fp16_overflow 0
		.amdhsa_tg_split 0
		.amdhsa_exception_fp_ieee_invalid_op 0
		.amdhsa_exception_fp_denorm_src 0
		.amdhsa_exception_fp_ieee_div_zero 0
		.amdhsa_exception_fp_ieee_overflow 0
		.amdhsa_exception_fp_ieee_underflow 0
		.amdhsa_exception_fp_ieee_inexact 0
		.amdhsa_exception_int_div_zero 0
	.end_amdhsa_kernel
	.section	.text._ZL23dequantize_block_iq4_nlIN3c108BFloat16EEvPKvPT_,"axG",@progbits,_ZL23dequantize_block_iq4_nlIN3c108BFloat16EEvPKvPT_,comdat
.Lfunc_end52:
	.size	_ZL23dequantize_block_iq4_nlIN3c108BFloat16EEvPKvPT_, .Lfunc_end52-_ZL23dequantize_block_iq4_nlIN3c108BFloat16EEvPKvPT_
                                        ; -- End function
	.set _ZL23dequantize_block_iq4_nlIN3c108BFloat16EEvPKvPT_.num_vgpr, 26
	.set _ZL23dequantize_block_iq4_nlIN3c108BFloat16EEvPKvPT_.num_agpr, 0
	.set _ZL23dequantize_block_iq4_nlIN3c108BFloat16EEvPKvPT_.numbered_sgpr, 9
	.set _ZL23dequantize_block_iq4_nlIN3c108BFloat16EEvPKvPT_.num_named_barrier, 0
	.set _ZL23dequantize_block_iq4_nlIN3c108BFloat16EEvPKvPT_.private_seg_size, 0
	.set _ZL23dequantize_block_iq4_nlIN3c108BFloat16EEvPKvPT_.uses_vcc, 1
	.set _ZL23dequantize_block_iq4_nlIN3c108BFloat16EEvPKvPT_.uses_flat_scratch, 0
	.set _ZL23dequantize_block_iq4_nlIN3c108BFloat16EEvPKvPT_.has_dyn_sized_stack, 0
	.set _ZL23dequantize_block_iq4_nlIN3c108BFloat16EEvPKvPT_.has_recursion, 0
	.set _ZL23dequantize_block_iq4_nlIN3c108BFloat16EEvPKvPT_.has_indirect_call, 0
	.section	.AMDGPU.csdata,"",@progbits
; Kernel info:
; codeLenInByte = 780
; TotalNumSgprs: 15
; NumVgprs: 26
; NumAgprs: 0
; TotalNumVgprs: 26
; ScratchSize: 0
; MemoryBound: 0
; FloatMode: 240
; IeeeMode: 1
; LDSByteSize: 0 bytes/workgroup (compile time only)
; SGPRBlocks: 1
; VGPRBlocks: 3
; NumSGPRsForWavesPerEU: 15
; NumVGPRsForWavesPerEU: 26
; AccumOffset: 28
; Occupancy: 8
; WaveLimiterHint : 0
; COMPUTE_PGM_RSRC2:SCRATCH_EN: 0
; COMPUTE_PGM_RSRC2:USER_SGPR: 2
; COMPUTE_PGM_RSRC2:TRAP_HANDLER: 0
; COMPUTE_PGM_RSRC2:TGID_X_EN: 1
; COMPUTE_PGM_RSRC2:TGID_Y_EN: 0
; COMPUTE_PGM_RSRC2:TGID_Z_EN: 0
; COMPUTE_PGM_RSRC2:TIDIG_COMP_CNT: 0
; COMPUTE_PGM_RSRC3_GFX90A:ACCUM_OFFSET: 6
; COMPUTE_PGM_RSRC3_GFX90A:TG_SPLIT: 0
	.section	.text._ZL22dequantize_block_iq3_sIN3c108BFloat16EEvPKvPT_,"axG",@progbits,_ZL22dequantize_block_iq3_sIN3c108BFloat16EEvPKvPT_,comdat
	.globl	_ZL22dequantize_block_iq3_sIN3c108BFloat16EEvPKvPT_ ; -- Begin function _ZL22dequantize_block_iq3_sIN3c108BFloat16EEvPKvPT_
	.p2align	8
	.type	_ZL22dequantize_block_iq3_sIN3c108BFloat16EEvPKvPT_,@function
_ZL22dequantize_block_iq3_sIN3c108BFloat16EEvPKvPT_: ; @_ZL22dequantize_block_iq3_sIN3c108BFloat16EEvPKvPT_
; %bb.0:
	s_load_dwordx4 s[4:7], s[0:1], 0x0
	s_lshl_b32 s0, s2, 8
	s_mov_b32 s1, 0
	s_lshl_b64 s[0:1], s[0:1], 1
	v_and_b32_e32 v8, 7, v0
	s_waitcnt lgkmcnt(0)
	s_add_u32 s0, s6, s0
	s_addc_u32 s1, s7, s1
	v_lshlrev_b32_e32 v4, 6, v8
	v_mov_b32_e32 v5, 0
	v_lshl_add_u64 v[2:3], s[0:1], 0, v[4:5]
	v_and_b32_e32 v4, 0x3f8, v0
	s_mul_hi_u32 s1, s2, 0x6e
	s_mulk_i32 s2, 0x6e
	v_lshlrev_b32_e32 v4, 1, v4
	s_add_u32 s0, s4, s2
	v_lshrrev_b32_e32 v1, 3, v0
	v_lshl_add_u64 v[2:3], v[2:3], 0, v[4:5]
	s_addc_u32 s1, s5, s1
	v_lshlrev_b32_e32 v4, 3, v8
	v_lshl_add_u64 v[6:7], s[0:1], 0, v[4:5]
	v_lshlrev_b32_e32 v4, 1, v1
	v_lshl_add_u64 v[6:7], v[6:7], 0, v[4:5]
	v_bfe_u32 v9, v0, 1, 2
	v_lshl_add_u32 v1, v8, 2, v1
	global_load_ushort v10, v[6:7], off offset:2
	global_load_ubyte v11, v9, s[0:1] offset:106
	global_load_ubyte v12, v1, s[0:1] offset:74
	;; [unrolled: 1-line block ×3, first 2 shown]
	global_load_ushort v14, v5, s[0:1]
	v_sub_u32_e32 v1, 8, v4
	v_sub_u32_e32 v4, 7, v4
	s_movk_i32 s2, 0x100
	s_getpc_b64 s[0:1]
	s_add_u32 s0, s0, _ZL10iq3xs_grid@rel32@lo+4
	s_addc_u32 s1, s1, _ZL10iq3xs_grid@rel32@hi+12
	v_lshlrev_b32_e32 v0, 2, v0
	v_and_b32_e32 v0, 4, v0
	v_mov_b32_e32 v15, 0x7fc0
	s_mov_b32 s3, 0x5040100
	s_waitcnt vmcnt(4)
	v_and_b32_e32 v6, 0xff, v10
	v_lshrrev_b16_e32 v7, 8, v10
	s_waitcnt vmcnt(3)
	v_bfe_u32 v0, v11, v0, 4
	s_waitcnt vmcnt(1)
	v_lshlrev_b32_e32 v1, v1, v13
	v_lshlrev_b32_e32 v4, v4, v13
	v_and_or_b32 v4, v4, s2, v7
	v_and_or_b32 v1, v1, s2, v6
	v_lshlrev_b32_e32 v4, 2, v4
	v_lshlrev_b32_e32 v1, 2, v1
	global_load_dword v4, v4, s[0:1]
	s_waitcnt vmcnt(1)
	v_cvt_f32_f16_e32 v6, v14
	global_load_dword v1, v1, s[0:1]
	v_cvt_f32_ubyte0_e32 v0, v0
	v_add_f32_e32 v0, 0.5, v0
	v_mul_f32_e32 v0, v0, v6
	v_and_b32_e32 v14, 16, v12
	v_mul_f32_e32 v0, 0.5, v0
	v_and_b32_e32 v16, 32, v12
	v_cmp_eq_u16_e32 vcc, 0, v14
	v_and_b32_e32 v18, 8, v12
	v_and_b32_e32 v19, 4, v12
	;; [unrolled: 1-line block ×5, first 2 shown]
	v_cmp_lt_i16_sdwa s[0:1], sext(v12), v5 src0_sel:BYTE_0 src1_sel:DWORD
	v_mov_b32_e32 v13, 1
	s_movk_i32 s2, 0x7fff
	s_waitcnt vmcnt(1)
	v_cvt_f32_ubyte1_e32 v7, v4
	v_cvt_f32_ubyte0_e32 v6, v4
	s_waitcnt vmcnt(0)
	v_cvt_f32_ubyte1_e32 v9, v1
	v_cvt_f32_ubyte0_e32 v8, v1
	v_cvt_f32_ubyte3_e32 v11, v1
	v_cvt_f32_ubyte2_e32 v10, v1
	v_cvt_f32_ubyte3_e32 v1, v4
	v_cvt_f32_ubyte2_e32 v22, v4
	v_pk_mul_f32 v[6:7], v[0:1], v[6:7] op_sel_hi:[0,1]
	v_mul_f32_e32 v4, v0, v22
	v_pk_mul_f32 v[10:11], v[0:1], v[10:11] op_sel_hi:[0,1]
	v_pk_mul_f32 v[8:9], v[0:1], v[8:9] op_sel_hi:[0,1]
	v_mul_f32_e32 v0, v0, v1
	v_cndmask_b32_e64 v1, -v6, v6, vcc
	v_cmp_eq_u16_e32 vcc, 0, v16
	v_cndmask_b32_e64 v0, v0, -v0, s[0:1]
	v_cmp_o_f32_e64 s[0:1], v0, v0
	v_cndmask_b32_e64 v6, -v7, v7, vcc
	v_cmp_eq_u16_e32 vcc, 0, v18
	v_and_b32_sdwa v5, v6, v13 dst_sel:DWORD dst_unused:UNUSED_PAD src0_sel:WORD_1 src1_sel:DWORD
	v_and_b32_sdwa v18, v0, v13 dst_sel:DWORD dst_unused:UNUSED_PAD src0_sel:WORD_1 src1_sel:DWORD
	v_cndmask_b32_e64 v7, -v11, v11, vcc
	v_cmp_eq_u16_e32 vcc, 0, v19
	v_and_b32_sdwa v11, v1, v13 dst_sel:DWORD dst_unused:UNUSED_PAD src0_sel:WORD_1 src1_sel:DWORD
	v_add3_u32 v11, v1, v11, s2
	v_cndmask_b32_e64 v10, -v10, v10, vcc
	v_cmp_eq_u16_e32 vcc, 0, v20
	v_add3_u32 v5, v6, v5, s2
	v_lshrrev_b32_e32 v11, 16, v11
	v_cndmask_b32_e64 v9, -v9, v9, vcc
	v_cmp_eq_u16_e32 vcc, 0, v21
	v_bfe_u32 v14, v9, 16, 1
	v_lshrrev_b32_e32 v5, 16, v5
	v_cndmask_b32_e64 v8, -v8, v8, vcc
	v_cmp_eq_u16_e32 vcc, 0, v17
	v_bfe_u32 v12, v8, 16, 1
	v_add3_u32 v12, v8, v12, s2
	v_cndmask_b32_e64 v4, -v4, v4, vcc
	v_and_b32_sdwa v13, v4, v13 dst_sel:DWORD dst_unused:UNUSED_PAD src0_sel:WORD_1 src1_sel:DWORD
	v_cmp_o_f32_e32 vcc, v4, v4
	v_add3_u32 v4, v4, v13, s2
	v_bfe_u32 v16, v10, 16, 1
	v_cndmask_b32_sdwa v4, v15, v4, vcc dst_sel:DWORD dst_unused:UNUSED_PAD src0_sel:DWORD src1_sel:WORD_1
	v_cmp_o_f32_e32 vcc, v1, v1
	v_add3_u32 v14, v9, v14, s2
	v_lshrrev_b32_e32 v12, 16, v12
	v_cndmask_b32_e32 v1, v15, v11, vcc
	v_cmp_o_f32_e32 vcc, v6, v6
	v_bfe_u32 v17, v7, 16, 1
	v_add3_u32 v16, v10, v16, s2
	v_cndmask_b32_e32 v5, v15, v5, vcc
	v_cmp_o_f32_e32 vcc, v8, v8
	v_lshrrev_b32_e32 v13, 16, v14
	v_add3_u32 v17, v7, v17, s2
	v_cndmask_b32_e32 v8, v15, v12, vcc
	v_cmp_o_f32_e32 vcc, v9, v9
	v_lshrrev_b32_e32 v14, 16, v16
	v_lshrrev_b32_e32 v16, 16, v17
	v_cndmask_b32_e32 v9, v15, v13, vcc
	v_cmp_o_f32_e32 vcc, v10, v10
	v_add3_u32 v0, v0, v18, s2
	v_perm_b32 v6, v5, v1, s3
	v_cndmask_b32_e32 v10, v15, v14, vcc
	v_cmp_o_f32_e32 vcc, v7, v7
	s_nop 1
	v_cndmask_b32_e32 v11, v15, v16, vcc
	s_mov_b64 vcc, s[0:1]
	v_cndmask_b32_sdwa v0, v15, v0, vcc dst_sel:DWORD dst_unused:UNUSED_PAD src0_sel:DWORD src1_sel:WORD_1
	v_perm_b32 v7, v0, v4, s3
	v_perm_b32 v5, v11, v10, s3
	;; [unrolled: 1-line block ×3, first 2 shown]
	global_store_dwordx4 v[2:3], v[4:7], off
	s_endpgm
	.section	.rodata,"a",@progbits
	.p2align	6, 0x0
	.amdhsa_kernel _ZL22dequantize_block_iq3_sIN3c108BFloat16EEvPKvPT_
		.amdhsa_group_segment_fixed_size 0
		.amdhsa_private_segment_fixed_size 0
		.amdhsa_kernarg_size 16
		.amdhsa_user_sgpr_count 2
		.amdhsa_user_sgpr_dispatch_ptr 0
		.amdhsa_user_sgpr_queue_ptr 0
		.amdhsa_user_sgpr_kernarg_segment_ptr 1
		.amdhsa_user_sgpr_dispatch_id 0
		.amdhsa_user_sgpr_kernarg_preload_length 0
		.amdhsa_user_sgpr_kernarg_preload_offset 0
		.amdhsa_user_sgpr_private_segment_size 0
		.amdhsa_uses_dynamic_stack 0
		.amdhsa_enable_private_segment 0
		.amdhsa_system_sgpr_workgroup_id_x 1
		.amdhsa_system_sgpr_workgroup_id_y 0
		.amdhsa_system_sgpr_workgroup_id_z 0
		.amdhsa_system_sgpr_workgroup_info 0
		.amdhsa_system_vgpr_workitem_id 0
		.amdhsa_next_free_vgpr 23
		.amdhsa_next_free_sgpr 8
		.amdhsa_accum_offset 24
		.amdhsa_reserve_vcc 1
		.amdhsa_float_round_mode_32 0
		.amdhsa_float_round_mode_16_64 0
		.amdhsa_float_denorm_mode_32 3
		.amdhsa_float_denorm_mode_16_64 3
		.amdhsa_dx10_clamp 1
		.amdhsa_ieee_mode 1
		.amdhsa_fp16_overflow 0
		.amdhsa_tg_split 0
		.amdhsa_exception_fp_ieee_invalid_op 0
		.amdhsa_exception_fp_denorm_src 0
		.amdhsa_exception_fp_ieee_div_zero 0
		.amdhsa_exception_fp_ieee_overflow 0
		.amdhsa_exception_fp_ieee_underflow 0
		.amdhsa_exception_fp_ieee_inexact 0
		.amdhsa_exception_int_div_zero 0
	.end_amdhsa_kernel
	.section	.text._ZL22dequantize_block_iq3_sIN3c108BFloat16EEvPKvPT_,"axG",@progbits,_ZL22dequantize_block_iq3_sIN3c108BFloat16EEvPKvPT_,comdat
.Lfunc_end53:
	.size	_ZL22dequantize_block_iq3_sIN3c108BFloat16EEvPKvPT_, .Lfunc_end53-_ZL22dequantize_block_iq3_sIN3c108BFloat16EEvPKvPT_
                                        ; -- End function
	.set _ZL22dequantize_block_iq3_sIN3c108BFloat16EEvPKvPT_.num_vgpr, 23
	.set _ZL22dequantize_block_iq3_sIN3c108BFloat16EEvPKvPT_.num_agpr, 0
	.set _ZL22dequantize_block_iq3_sIN3c108BFloat16EEvPKvPT_.numbered_sgpr, 8
	.set _ZL22dequantize_block_iq3_sIN3c108BFloat16EEvPKvPT_.num_named_barrier, 0
	.set _ZL22dequantize_block_iq3_sIN3c108BFloat16EEvPKvPT_.private_seg_size, 0
	.set _ZL22dequantize_block_iq3_sIN3c108BFloat16EEvPKvPT_.uses_vcc, 1
	.set _ZL22dequantize_block_iq3_sIN3c108BFloat16EEvPKvPT_.uses_flat_scratch, 0
	.set _ZL22dequantize_block_iq3_sIN3c108BFloat16EEvPKvPT_.has_dyn_sized_stack, 0
	.set _ZL22dequantize_block_iq3_sIN3c108BFloat16EEvPKvPT_.has_recursion, 0
	.set _ZL22dequantize_block_iq3_sIN3c108BFloat16EEvPKvPT_.has_indirect_call, 0
	.section	.AMDGPU.csdata,"",@progbits
; Kernel info:
; codeLenInByte = 824
; TotalNumSgprs: 14
; NumVgprs: 23
; NumAgprs: 0
; TotalNumVgprs: 23
; ScratchSize: 0
; MemoryBound: 0
; FloatMode: 240
; IeeeMode: 1
; LDSByteSize: 0 bytes/workgroup (compile time only)
; SGPRBlocks: 1
; VGPRBlocks: 2
; NumSGPRsForWavesPerEU: 14
; NumVGPRsForWavesPerEU: 23
; AccumOffset: 24
; Occupancy: 8
; WaveLimiterHint : 0
; COMPUTE_PGM_RSRC2:SCRATCH_EN: 0
; COMPUTE_PGM_RSRC2:USER_SGPR: 2
; COMPUTE_PGM_RSRC2:TRAP_HANDLER: 0
; COMPUTE_PGM_RSRC2:TGID_X_EN: 1
; COMPUTE_PGM_RSRC2:TGID_Y_EN: 0
; COMPUTE_PGM_RSRC2:TGID_Z_EN: 0
; COMPUTE_PGM_RSRC2:TIDIG_COMP_CNT: 0
; COMPUTE_PGM_RSRC3_GFX90A:ACCUM_OFFSET: 5
; COMPUTE_PGM_RSRC3_GFX90A:TG_SPLIT: 0
	.section	.text._ZL22dequantize_block_iq2_sIN3c108BFloat16EEvPKvPT_,"axG",@progbits,_ZL22dequantize_block_iq2_sIN3c108BFloat16EEvPKvPT_,comdat
	.globl	_ZL22dequantize_block_iq2_sIN3c108BFloat16EEvPKvPT_ ; -- Begin function _ZL22dequantize_block_iq2_sIN3c108BFloat16EEvPKvPT_
	.p2align	8
	.type	_ZL22dequantize_block_iq2_sIN3c108BFloat16EEvPKvPT_,@function
_ZL22dequantize_block_iq2_sIN3c108BFloat16EEvPKvPT_: ; @_ZL22dequantize_block_iq2_sIN3c108BFloat16EEvPKvPT_
; %bb.0:
	s_load_dwordx4 s[4:7], s[0:1], 0x0
	s_lshl_b32 s0, s2, 8
	s_mov_b32 s1, 0
	s_lshl_b64 s[0:1], s[0:1], 1
	s_mul_hi_u32 s3, s2, 0x52
	s_waitcnt lgkmcnt(0)
	s_add_u32 s0, s6, s0
	s_addc_u32 s1, s7, s1
	s_mulk_i32 s2, 0x52
	s_add_u32 s2, s4, s2
	v_lshrrev_b32_e32 v2, 3, v0
	v_and_b32_e32 v4, 7, v0
	s_addc_u32 s3, s5, s3
	v_lshl_add_u32 v3, v4, 2, v2
	global_load_ubyte v5, v4, s[2:3] offset:66
	global_load_ubyte v6, v3, s[2:3] offset:2
	v_mov_b32_e32 v1, 0
	v_lshlrev_b32_e32 v2, 1, v2
	global_load_ushort v7, v1, s[2:3]
	global_load_ubyte v12, v3, s[2:3] offset:34
	global_load_ubyte v8, v4, s[2:3] offset:74
	v_sub_u32_e32 v2, 8, v2
	s_movk_i32 s4, 0x300
	s_getpc_b64 s[2:3]
	s_add_u32 s2, s2, _ZL9iq2s_grid@rel32@lo+4
	s_addc_u32 s3, s3, _ZL9iq2s_grid@rel32@hi+12
	v_mov_b32_e32 v14, 1
	v_mov_b32_e32 v13, 0x7fc0
	s_waitcnt vmcnt(4)
	v_lshlrev_b32_e32 v2, v2, v5
	s_waitcnt vmcnt(3)
	v_and_or_b32 v2, v2, s4, v6
	v_lshlrev_b32_e32 v2, 3, v2
	global_load_dwordx2 v[2:3], v2, s[2:3]
	v_and_b32_e32 v6, 0x3f8, v0
	v_lshrrev_b32_e32 v5, 2, v0
	v_lshlrev_b32_e32 v0, 6, v4
	v_and_b32_e32 v9, 0xfc, v5
	v_lshl_add_u64 v[4:5], s[0:1], 0, v[0:1]
	v_lshlrev_b32_e32 v0, 1, v6
	v_lshl_add_u64 v[4:5], v[4:5], 0, v[0:1]
	s_waitcnt vmcnt(3)
	v_cvt_f32_f16_e32 v0, v7
	s_waitcnt vmcnt(1)
	v_bfe_u32 v6, v8, v9, 4
	v_cvt_f32_ubyte0_e32 v6, v6
	v_add_f32_e32 v6, 0.5, v6
	v_mul_f32_e32 v0, v6, v0
	v_and_b32_e32 v15, 8, v12
	v_mul_f32_e32 v0, 0x3e800000, v0
	v_and_b32_e32 v16, 4, v12
	v_cmp_eq_u16_e32 vcc, 0, v15
	v_and_b32_e32 v17, 2, v12
	v_and_b32_e32 v18, 1, v12
	;; [unrolled: 1-line block ×5, first 2 shown]
	v_cmp_lt_i16_sdwa s[0:1], sext(v12), v1 src0_sel:BYTE_0 src1_sel:DWORD
	s_movk_i32 s2, 0x7fff
	s_mov_b32 s3, 0x5040100
	s_waitcnt vmcnt(0)
	v_cvt_f32_ubyte3_e32 v9, v2
	v_cvt_f32_ubyte2_e32 v8, v2
	v_cvt_f32_ubyte1_e32 v7, v2
	v_cvt_f32_ubyte0_e32 v6, v2
	v_cvt_f32_ubyte1_e32 v11, v3
	v_cvt_f32_ubyte0_e32 v10, v3
	v_cvt_f32_ubyte2_e32 v22, v3
	v_cvt_f32_ubyte3_e32 v23, v3
	v_pk_mul_f32 v[2:3], v[0:1], v[8:9] op_sel_hi:[0,1]
	v_cndmask_b32_e64 v3, -v3, v3, vcc
	v_cmp_eq_u16_e32 vcc, 0, v16
	v_pk_mul_f32 v[6:7], v[0:1], v[6:7] op_sel_hi:[0,1]
	v_pk_mul_f32 v[8:9], v[0:1], v[10:11] op_sel_hi:[0,1]
	v_cndmask_b32_e64 v2, -v2, v2, vcc
	v_cmp_eq_u16_e32 vcc, 0, v17
	v_mul_f32_e32 v10, v0, v22
	v_mul_f32_e32 v0, v0, v23
	v_cndmask_b32_e64 v7, -v7, v7, vcc
	v_cmp_eq_u16_e32 vcc, 0, v18
	v_cndmask_b32_e64 v0, v0, -v0, s[0:1]
	v_and_b32_sdwa v18, v0, v14 dst_sel:DWORD dst_unused:UNUSED_PAD src0_sel:WORD_1 src1_sel:DWORD
	v_cndmask_b32_e64 v6, -v6, v6, vcc
	v_cmp_eq_u16_e32 vcc, 0, v19
	v_bfe_u32 v1, v6, 16, 1
	v_bfe_u32 v11, v7, 16, 1
	v_cndmask_b32_e64 v8, -v8, v8, vcc
	v_cmp_eq_u16_e32 vcc, 0, v20
	v_and_b32_sdwa v17, v8, v14 dst_sel:DWORD dst_unused:UNUSED_PAD src0_sel:WORD_1 src1_sel:DWORD
	v_add3_u32 v1, v6, v1, s2
	v_cndmask_b32_e64 v9, -v9, v9, vcc
	v_cmp_eq_u16_e32 vcc, 0, v21
	v_and_b32_sdwa v16, v9, v14 dst_sel:DWORD dst_unused:UNUSED_PAD src0_sel:WORD_1 src1_sel:DWORD
	v_bfe_u32 v12, v2, 16, 1
	v_cndmask_b32_e64 v10, -v10, v10, vcc
	v_and_b32_sdwa v14, v10, v14 dst_sel:DWORD dst_unused:UNUSED_PAD src0_sel:WORD_1 src1_sel:DWORD
	v_cmp_o_f32_e32 vcc, v10, v10
	v_add3_u32 v10, v10, v14, s2
	v_add3_u32 v11, v7, v11, s2
	v_lshrrev_b32_e32 v1, 16, v1
	v_cndmask_b32_sdwa v10, v13, v10, vcc dst_sel:DWORD dst_unused:UNUSED_PAD src0_sel:DWORD src1_sel:WORD_1
	v_cmp_o_f32_e32 vcc, v6, v6
	v_bfe_u32 v15, v3, 16, 1
	v_add3_u32 v12, v2, v12, s2
	v_lshrrev_b32_e32 v11, 16, v11
	v_cndmask_b32_e32 v6, v13, v1, vcc
	v_cmp_o_f32_e32 vcc, v7, v7
	v_add3_u32 v15, v3, v15, s2
	v_lshrrev_b32_e32 v12, 16, v12
	v_cndmask_b32_e32 v7, v13, v11, vcc
	v_cmp_o_f32_e32 vcc, v2, v2
	;; [unrolled: 4-line block ×4, first 2 shown]
	v_cmp_o_f32_e64 s[0:1], v0, v0
	v_lshrrev_b32_e32 v16, 16, v16
	v_cndmask_b32_e32 v2, v13, v15, vcc
	v_cmp_o_f32_e32 vcc, v9, v9
	v_add3_u32 v0, v0, v18, s2
	v_perm_b32 v1, v11, v1, s3
	v_cndmask_b32_e32 v8, v13, v16, vcc
	s_mov_b64 vcc, s[0:1]
	v_cndmask_b32_sdwa v0, v13, v0, vcc dst_sel:DWORD dst_unused:UNUSED_PAD src0_sel:DWORD src1_sel:WORD_1
	v_perm_b32 v3, v0, v10, s3
	v_perm_b32 v2, v8, v2, s3
	;; [unrolled: 1-line block ×3, first 2 shown]
	global_store_dwordx4 v[4:5], v[0:3], off
	s_endpgm
	.section	.rodata,"a",@progbits
	.p2align	6, 0x0
	.amdhsa_kernel _ZL22dequantize_block_iq2_sIN3c108BFloat16EEvPKvPT_
		.amdhsa_group_segment_fixed_size 0
		.amdhsa_private_segment_fixed_size 0
		.amdhsa_kernarg_size 16
		.amdhsa_user_sgpr_count 2
		.amdhsa_user_sgpr_dispatch_ptr 0
		.amdhsa_user_sgpr_queue_ptr 0
		.amdhsa_user_sgpr_kernarg_segment_ptr 1
		.amdhsa_user_sgpr_dispatch_id 0
		.amdhsa_user_sgpr_kernarg_preload_length 0
		.amdhsa_user_sgpr_kernarg_preload_offset 0
		.amdhsa_user_sgpr_private_segment_size 0
		.amdhsa_uses_dynamic_stack 0
		.amdhsa_enable_private_segment 0
		.amdhsa_system_sgpr_workgroup_id_x 1
		.amdhsa_system_sgpr_workgroup_id_y 0
		.amdhsa_system_sgpr_workgroup_id_z 0
		.amdhsa_system_sgpr_workgroup_info 0
		.amdhsa_system_vgpr_workitem_id 0
		.amdhsa_next_free_vgpr 24
		.amdhsa_next_free_sgpr 8
		.amdhsa_accum_offset 24
		.amdhsa_reserve_vcc 1
		.amdhsa_float_round_mode_32 0
		.amdhsa_float_round_mode_16_64 0
		.amdhsa_float_denorm_mode_32 3
		.amdhsa_float_denorm_mode_16_64 3
		.amdhsa_dx10_clamp 1
		.amdhsa_ieee_mode 1
		.amdhsa_fp16_overflow 0
		.amdhsa_tg_split 0
		.amdhsa_exception_fp_ieee_invalid_op 0
		.amdhsa_exception_fp_denorm_src 0
		.amdhsa_exception_fp_ieee_div_zero 0
		.amdhsa_exception_fp_ieee_overflow 0
		.amdhsa_exception_fp_ieee_underflow 0
		.amdhsa_exception_fp_ieee_inexact 0
		.amdhsa_exception_int_div_zero 0
	.end_amdhsa_kernel
	.section	.text._ZL22dequantize_block_iq2_sIN3c108BFloat16EEvPKvPT_,"axG",@progbits,_ZL22dequantize_block_iq2_sIN3c108BFloat16EEvPKvPT_,comdat
.Lfunc_end54:
	.size	_ZL22dequantize_block_iq2_sIN3c108BFloat16EEvPKvPT_, .Lfunc_end54-_ZL22dequantize_block_iq2_sIN3c108BFloat16EEvPKvPT_
                                        ; -- End function
	.set _ZL22dequantize_block_iq2_sIN3c108BFloat16EEvPKvPT_.num_vgpr, 24
	.set _ZL22dequantize_block_iq2_sIN3c108BFloat16EEvPKvPT_.num_agpr, 0
	.set _ZL22dequantize_block_iq2_sIN3c108BFloat16EEvPKvPT_.numbered_sgpr, 8
	.set _ZL22dequantize_block_iq2_sIN3c108BFloat16EEvPKvPT_.num_named_barrier, 0
	.set _ZL22dequantize_block_iq2_sIN3c108BFloat16EEvPKvPT_.private_seg_size, 0
	.set _ZL22dequantize_block_iq2_sIN3c108BFloat16EEvPKvPT_.uses_vcc, 1
	.set _ZL22dequantize_block_iq2_sIN3c108BFloat16EEvPKvPT_.uses_flat_scratch, 0
	.set _ZL22dequantize_block_iq2_sIN3c108BFloat16EEvPKvPT_.has_dyn_sized_stack, 0
	.set _ZL22dequantize_block_iq2_sIN3c108BFloat16EEvPKvPT_.has_recursion, 0
	.set _ZL22dequantize_block_iq2_sIN3c108BFloat16EEvPKvPT_.has_indirect_call, 0
	.section	.AMDGPU.csdata,"",@progbits
; Kernel info:
; codeLenInByte = 756
; TotalNumSgprs: 14
; NumVgprs: 24
; NumAgprs: 0
; TotalNumVgprs: 24
; ScratchSize: 0
; MemoryBound: 0
; FloatMode: 240
; IeeeMode: 1
; LDSByteSize: 0 bytes/workgroup (compile time only)
; SGPRBlocks: 1
; VGPRBlocks: 2
; NumSGPRsForWavesPerEU: 14
; NumVGPRsForWavesPerEU: 24
; AccumOffset: 24
; Occupancy: 8
; WaveLimiterHint : 0
; COMPUTE_PGM_RSRC2:SCRATCH_EN: 0
; COMPUTE_PGM_RSRC2:USER_SGPR: 2
; COMPUTE_PGM_RSRC2:TRAP_HANDLER: 0
; COMPUTE_PGM_RSRC2:TGID_X_EN: 1
; COMPUTE_PGM_RSRC2:TGID_Y_EN: 0
; COMPUTE_PGM_RSRC2:TGID_Z_EN: 0
; COMPUTE_PGM_RSRC2:TIDIG_COMP_CNT: 0
; COMPUTE_PGM_RSRC3_GFX90A:ACCUM_OFFSET: 5
; COMPUTE_PGM_RSRC3_GFX90A:TG_SPLIT: 0
	.section	.text._ZL23dequantize_block_iq4_xsIN3c108BFloat16EEvPKvPT_,"axG",@progbits,_ZL23dequantize_block_iq4_xsIN3c108BFloat16EEvPKvPT_,comdat
	.globl	_ZL23dequantize_block_iq4_xsIN3c108BFloat16EEvPKvPT_ ; -- Begin function _ZL23dequantize_block_iq4_xsIN3c108BFloat16EEvPKvPT_
	.p2align	8
	.type	_ZL23dequantize_block_iq4_xsIN3c108BFloat16EEvPKvPT_,@function
_ZL23dequantize_block_iq4_xsIN3c108BFloat16EEvPKvPT_: ; @_ZL23dequantize_block_iq4_xsIN3c108BFloat16EEvPKvPT_
; %bb.0:
	s_load_dwordx4 s[4:7], s[0:1], 0x0
	s_lshl_b32 s0, s2, 8
	s_mov_b32 s1, 0
	s_lshl_b64 s[8:9], s[0:1], 1
	v_and_b32_e32 v1, 7, v0
	s_waitcnt lgkmcnt(0)
	s_add_u32 s6, s6, s8
	s_addc_u32 s7, s7, s9
	s_mul_hi_u32 s0, s2, 0x88
	s_mulk_i32 s2, 0x88
	v_lshlrev_b32_e32 v2, 6, v1
	v_mov_b32_e32 v3, 0
	s_add_u32 s2, s4, s2
	v_lshl_add_u64 v[4:5], s[6:7], 0, v[2:3]
	v_lshrrev_b32_e32 v2, 1, v0
	s_addc_u32 s3, s5, s0
	v_lshlrev_b32_e32 v6, 4, v1
	v_mov_b32_e32 v7, v3
	v_and_b32_e32 v2, 0x1fc, v2
	v_lshl_add_u64 v[6:7], s[2:3], 0, v[6:7]
	v_lshl_add_u64 v[6:7], v[6:7], 0, v[2:3]
	global_load_dword v6, v[6:7], off offset:8
	v_bfe_u32 v7, v0, 1, 2
	global_load_dword v11, v3, s[2:3]
	global_load_ubyte v14, v7, s[2:3] offset:4
	v_mov_b32_e32 v8, 4
	v_mov_b32_e32 v7, s1
	;; [unrolled: 1-line block ×3, first 2 shown]
	v_lshlrev_b32_e32 v10, 1, v2
	s_getpc_b64 s[0:1]
	s_add_u32 s0, s0, _ZL13kvalues_iq4nl@rel32@lo+4
	s_addc_u32 s1, s1, _ZL13kvalues_iq4nl@rel32@hi+12
	v_lshlrev_b32_e32 v0, 2, v0
	v_lshlrev_b32_e32 v1, 1, v1
	v_and_b32_e32 v0, 4, v0
	s_movk_i32 s6, 0x7fff
	s_mov_b32 s8, 0x5040100
	s_waitcnt vmcnt(2)
	v_lshrrev_b32_e32 v12, 8, v6
	v_lshrrev_b16_e32 v13, 4, v6
	v_lshrrev_b16_sdwa v2, v8, v6 dst_sel:DWORD dst_unused:UNUSED_PAD src0_sel:DWORD src1_sel:BYTE_3
	v_lshrrev_b16_e32 v8, 4, v12
	v_and_b32_e32 v15, 15, v6
	v_bfe_u32 v16, v6, 8, 4
	v_bfe_u32 v17, v6, 16, 4
	v_bfe_u32 v18, v6, 20, 4
	v_bfe_u32 v19, v6, 24, 4
	v_and_b32_e32 v6, 15, v13
	v_lshl_add_u64 v[12:13], s[0:1], 0, v[2:3]
	v_and_b32_e32 v2, 15, v8
	v_and_b32_e32 v6, 0xffff, v6
	;; [unrolled: 1-line block ×3, first 2 shown]
	v_lshl_add_u64 v[6:7], s[0:1], 0, v[6:7]
	v_lshl_add_u64 v[8:9], s[0:1], 0, v[8:9]
	global_load_sbyte v20, v15, s[0:1]
	global_load_sbyte v21, v16, s[0:1]
	global_load_sbyte v22, v[6:7], off
	global_load_sbyte v23, v19, s[0:1]
	global_load_sbyte v24, v17, s[0:1]
	global_load_sbyte v25, v[8:9], off
	global_load_sbyte v26, v18, s[0:1]
	global_load_sbyte v27, v[12:13], off
	s_waitcnt vmcnt(9)
	v_lshrrev_b32_sdwa v1, v1, v11 dst_sel:DWORD dst_unused:UNUSED_PAD src0_sel:DWORD src1_sel:WORD_1
	s_waitcnt vmcnt(8)
	v_bfe_u32 v0, v14, v0, 4
	v_lshlrev_b32_e32 v1, 4, v1
	v_and_or_b32 v0, v1, 48, v0
	v_subrev_u32_e32 v0, 32, v0
	v_cvt_f32_f16_e32 v2, v11
	v_cvt_f32_i32_e32 v6, v0
	v_mov_b32_e32 v11, v3
	v_lshl_add_u64 v[0:1], v[4:5], 0, v[10:11]
	v_mov_b32_e32 v12, 0x7fc0
	v_mul_f32_e32 v2, v2, v6
	s_waitcnt vmcnt(7)
	v_cvt_f32_i32_e32 v4, v20
	s_waitcnt vmcnt(6)
	v_cvt_f32_i32_e32 v5, v21
	;; [unrolled: 2-line block ×8, first 2 shown]
	v_pk_mul_f32 v[4:5], v[2:3], v[4:5] op_sel_hi:[0,1]
	v_pk_mul_f32 v[8:9], v[2:3], v[8:9] op_sel_hi:[0,1]
	v_bfe_u32 v13, v4, 16, 1
	v_pk_mul_f32 v[10:11], v[2:3], v[10:11] op_sel_hi:[0,1]
	v_pk_mul_f32 v[2:3], v[2:3], v[6:7] op_sel_hi:[0,1]
	v_bfe_u32 v6, v8, 16, 1
	v_bfe_u32 v15, v10, 16, 1
	;; [unrolled: 1-line block ×5, first 2 shown]
	v_add3_u32 v13, v4, v13, s6
	v_bfe_u32 v16, v11, 16, 1
	v_bfe_u32 v18, v3, 16, 1
	v_cmp_o_f32_e32 vcc, v10, v10
	v_cmp_o_f32_e64 s[2:3], v2, v2
	v_add3_u32 v6, v8, v6, s6
	v_add3_u32 v17, v2, v17, s6
	;; [unrolled: 1-line block ×4, first 2 shown]
	v_cmp_o_f32_e64 s[4:5], v3, v3
	v_add3_u32 v7, v9, v7, s6
	v_lshrrev_b32_e32 v13, 16, v13
	v_add3_u32 v18, v3, v18, s6
	v_add3_u32 v3, v11, v16, s6
	v_lshrrev_b32_e32 v6, 16, v6
	v_cmp_o_f32_e64 s[6:7], v4, v4
	v_cndmask_b32_sdwa v10, v12, v2, vcc dst_sel:DWORD dst_unused:UNUSED_PAD src0_sel:DWORD src1_sel:WORD_1
	v_cmp_o_f32_e32 vcc, v8, v8
	v_cmp_o_f32_e64 s[0:1], v11, v11
	v_lshrrev_b32_e32 v14, 16, v14
	v_lshrrev_b32_e32 v7, 16, v7
	v_cndmask_b32_e64 v4, v12, v13, s[6:7]
	v_cmp_o_f32_e64 s[6:7], v5, v5
	v_cndmask_b32_e32 v6, v12, v6, vcc
	v_cmp_o_f32_e32 vcc, v9, v9
	v_cndmask_b32_e64 v5, v12, v14, s[6:7]
	v_perm_b32 v2, v5, v4, s8
	v_cndmask_b32_e32 v7, v12, v7, vcc
	s_mov_b64 vcc, s[0:1]
	v_cndmask_b32_sdwa v4, v12, v3, vcc dst_sel:DWORD dst_unused:UNUSED_PAD src0_sel:DWORD src1_sel:WORD_1
	s_mov_b64 vcc, s[2:3]
	v_perm_b32 v3, v7, v6, s8
	v_perm_b32 v5, v4, v10, s8
	v_cndmask_b32_sdwa v4, v12, v17, vcc dst_sel:DWORD dst_unused:UNUSED_PAD src0_sel:DWORD src1_sel:WORD_1
	s_mov_b64 vcc, s[4:5]
	global_store_dwordx2 v[0:1], v[2:3], off
	v_cndmask_b32_sdwa v2, v12, v18, vcc dst_sel:DWORD dst_unused:UNUSED_PAD src0_sel:DWORD src1_sel:WORD_1
	v_perm_b32 v4, v2, v4, s8
	global_store_dwordx2 v[0:1], v[4:5], off offset:32
	s_endpgm
	.section	.rodata,"a",@progbits
	.p2align	6, 0x0
	.amdhsa_kernel _ZL23dequantize_block_iq4_xsIN3c108BFloat16EEvPKvPT_
		.amdhsa_group_segment_fixed_size 0
		.amdhsa_private_segment_fixed_size 0
		.amdhsa_kernarg_size 16
		.amdhsa_user_sgpr_count 2
		.amdhsa_user_sgpr_dispatch_ptr 0
		.amdhsa_user_sgpr_queue_ptr 0
		.amdhsa_user_sgpr_kernarg_segment_ptr 1
		.amdhsa_user_sgpr_dispatch_id 0
		.amdhsa_user_sgpr_kernarg_preload_length 0
		.amdhsa_user_sgpr_kernarg_preload_offset 0
		.amdhsa_user_sgpr_private_segment_size 0
		.amdhsa_uses_dynamic_stack 0
		.amdhsa_enable_private_segment 0
		.amdhsa_system_sgpr_workgroup_id_x 1
		.amdhsa_system_sgpr_workgroup_id_y 0
		.amdhsa_system_sgpr_workgroup_id_z 0
		.amdhsa_system_sgpr_workgroup_info 0
		.amdhsa_system_vgpr_workitem_id 0
		.amdhsa_next_free_vgpr 28
		.amdhsa_next_free_sgpr 10
		.amdhsa_accum_offset 28
		.amdhsa_reserve_vcc 1
		.amdhsa_float_round_mode_32 0
		.amdhsa_float_round_mode_16_64 0
		.amdhsa_float_denorm_mode_32 3
		.amdhsa_float_denorm_mode_16_64 3
		.amdhsa_dx10_clamp 1
		.amdhsa_ieee_mode 1
		.amdhsa_fp16_overflow 0
		.amdhsa_tg_split 0
		.amdhsa_exception_fp_ieee_invalid_op 0
		.amdhsa_exception_fp_denorm_src 0
		.amdhsa_exception_fp_ieee_div_zero 0
		.amdhsa_exception_fp_ieee_overflow 0
		.amdhsa_exception_fp_ieee_underflow 0
		.amdhsa_exception_fp_ieee_inexact 0
		.amdhsa_exception_int_div_zero 0
	.end_amdhsa_kernel
	.section	.text._ZL23dequantize_block_iq4_xsIN3c108BFloat16EEvPKvPT_,"axG",@progbits,_ZL23dequantize_block_iq4_xsIN3c108BFloat16EEvPKvPT_,comdat
.Lfunc_end55:
	.size	_ZL23dequantize_block_iq4_xsIN3c108BFloat16EEvPKvPT_, .Lfunc_end55-_ZL23dequantize_block_iq4_xsIN3c108BFloat16EEvPKvPT_
                                        ; -- End function
	.set _ZL23dequantize_block_iq4_xsIN3c108BFloat16EEvPKvPT_.num_vgpr, 28
	.set _ZL23dequantize_block_iq4_xsIN3c108BFloat16EEvPKvPT_.num_agpr, 0
	.set _ZL23dequantize_block_iq4_xsIN3c108BFloat16EEvPKvPT_.numbered_sgpr, 10
	.set _ZL23dequantize_block_iq4_xsIN3c108BFloat16EEvPKvPT_.num_named_barrier, 0
	.set _ZL23dequantize_block_iq4_xsIN3c108BFloat16EEvPKvPT_.private_seg_size, 0
	.set _ZL23dequantize_block_iq4_xsIN3c108BFloat16EEvPKvPT_.uses_vcc, 1
	.set _ZL23dequantize_block_iq4_xsIN3c108BFloat16EEvPKvPT_.uses_flat_scratch, 0
	.set _ZL23dequantize_block_iq4_xsIN3c108BFloat16EEvPKvPT_.has_dyn_sized_stack, 0
	.set _ZL23dequantize_block_iq4_xsIN3c108BFloat16EEvPKvPT_.has_recursion, 0
	.set _ZL23dequantize_block_iq4_xsIN3c108BFloat16EEvPKvPT_.has_indirect_call, 0
	.section	.AMDGPU.csdata,"",@progbits
; Kernel info:
; codeLenInByte = 856
; TotalNumSgprs: 16
; NumVgprs: 28
; NumAgprs: 0
; TotalNumVgprs: 28
; ScratchSize: 0
; MemoryBound: 0
; FloatMode: 240
; IeeeMode: 1
; LDSByteSize: 0 bytes/workgroup (compile time only)
; SGPRBlocks: 1
; VGPRBlocks: 3
; NumSGPRsForWavesPerEU: 16
; NumVGPRsForWavesPerEU: 28
; AccumOffset: 28
; Occupancy: 8
; WaveLimiterHint : 0
; COMPUTE_PGM_RSRC2:SCRATCH_EN: 0
; COMPUTE_PGM_RSRC2:USER_SGPR: 2
; COMPUTE_PGM_RSRC2:TRAP_HANDLER: 0
; COMPUTE_PGM_RSRC2:TGID_X_EN: 1
; COMPUTE_PGM_RSRC2:TGID_Y_EN: 0
; COMPUTE_PGM_RSRC2:TGID_Z_EN: 0
; COMPUTE_PGM_RSRC2:TIDIG_COMP_CNT: 0
; COMPUTE_PGM_RSRC3_GFX90A:ACCUM_OFFSET: 6
; COMPUTE_PGM_RSRC3_GFX90A:TG_SPLIT: 0
	.section	.text._ZL22dequantize_block_iq1_mIN3c108BFloat16EEvPKvPT_,"axG",@progbits,_ZL22dequantize_block_iq1_mIN3c108BFloat16EEvPKvPT_,comdat
	.globl	_ZL22dequantize_block_iq1_mIN3c108BFloat16EEvPKvPT_ ; -- Begin function _ZL22dequantize_block_iq1_mIN3c108BFloat16EEvPKvPT_
	.p2align	8
	.type	_ZL22dequantize_block_iq1_mIN3c108BFloat16EEvPKvPT_,@function
_ZL22dequantize_block_iq1_mIN3c108BFloat16EEvPKvPT_: ; @_ZL22dequantize_block_iq1_mIN3c108BFloat16EEvPKvPT_
; %bb.0:
	s_load_dwordx4 s[4:7], s[0:1], 0x0
	s_mov_b32 s3, 0
	s_lshl_b64 s[0:1], s[2:3], 9
	s_mul_hi_u32 s3, s2, 56
	s_mul_i32 s2, s2, 56
	s_waitcnt lgkmcnt(0)
	s_add_u32 s0, s6, s0
	s_addc_u32 s1, s7, s1
	v_mov_b32_e32 v3, 0
	v_and_b32_e32 v8, 7, v0
	s_add_u32 s2, s4, s2
	s_addc_u32 s3, s5, s3
	v_lshlrev_b32_e32 v4, 2, v8
	v_mov_b32_e32 v5, v3
	v_lshrrev_b32_e32 v2, 3, v0
	v_lshl_add_u64 v[4:5], s[2:3], 0, v[4:5]
	v_lshlrev_b32_e32 v1, 1, v8
	v_lshrrev_b32_e32 v9, 4, v0
	v_lshl_add_u64 v[4:5], v[4:5], 0, v[2:3]
	v_add_u32_e32 v10, v1, v9
	global_load_ubyte v2, v[4:5], off
	global_load_ubyte v11, v10, s[2:3] offset:32
	global_load_dwordx2 v[6:7], v3, s[2:3] offset:48
	v_add_u16_e32 v1, v1, v9
	v_lshrrev_b16_e32 v1, 1, v1
	v_mov_b32_e32 v5, v3
	v_and_b32_e32 v4, 62, v1
	v_lshrrev_b32_e32 v1, 1, v0
	v_lshl_add_u64 v[4:5], s[2:3], 0, v[4:5]
	v_and_b32_e32 v1, 4, v1
	global_load_ushort v9, v[4:5], off offset:48
	s_movk_i32 s4, 0x700
	s_getpc_b64 s[2:3]
	s_add_u32 s2, s2, _ZL13iq1s_grid_gpu@rel32@lo+4
	s_addc_u32 s3, s3, _ZL13iq1s_grid_gpu@rel32@hi+12
	v_and_b32_e32 v4, 3, v10
	v_mov_b32_e32 v13, 0xbf900000
	v_mov_b32_e32 v14, 0xbf600000
	s_movk_i32 s6, 0x7fff
	v_mov_b32_e32 v15, 0x7fc0
	s_mov_b32 s7, 0x5040100
	s_waitcnt vmcnt(2)
	v_lshrrev_b32_e32 v11, v1, v11
	v_lshlrev_b32_e32 v1, 8, v11
	v_and_or_b32 v1, v1, s4, v2
	v_lshlrev_b32_e32 v1, 3, v1
	global_load_dword v12, v1, s[2:3]
	v_mov_b32_e32 v1, v3
	v_and_b32_e32 v2, 0x3f8, v0
	v_lshlrev_b32_e32 v0, 6, v8
	s_mov_b32 s2, 0x8000c
	v_lshlrev_b32_e32 v2, 1, v2
	v_lshl_add_u64 v[0:1], s[0:1], 0, v[0:1]
	s_movk_i32 s3, 0xf0
	v_mul_u32_u24_e32 v8, 3, v4
	v_lshl_add_u64 v[4:5], v[0:1], 0, v[2:3]
	s_waitcnt vmcnt(2)
	v_pk_lshrrev_b16 v0, s2, v6
	v_pk_lshrrev_b16 v1, 4, v7
	v_and_b32_sdwa v2, v0, s3 dst_sel:DWORD dst_unused:UNUSED_PAD src0_sel:WORD_1 src1_sel:DWORD
	v_and_b32_e32 v1, 0xf0000f00, v1
	v_or_b32_e32 v0, v2, v0
	v_or_b32_e32 v0, v0, v1
	v_or_b32_sdwa v0, v0, v1 dst_sel:DWORD dst_unused:UNUSED_PAD src0_sel:DWORD src1_sel:WORD_1
	s_waitcnt vmcnt(1)
	v_lshrrev_b32_e32 v3, v8, v9
	v_cvt_f32_f16_e32 v1, v0
	v_lshlrev_b32_e32 v2, 1, v3
	v_and_or_b32 v2, v2, 14, 1
	v_and_b32_e32 v3, 8, v11
	v_cvt_f32_ubyte0_e32 v2, v2
	v_cmp_eq_u32_e32 vcc, 0, v3
	v_mul_f32_e32 v2, v1, v2
	s_waitcnt vmcnt(0)
	v_and_b32_e32 v1, 0xf0f0f0f, v12
	v_cndmask_b32_e32 v0, v13, v14, vcc
	v_bfe_u32 v3, v12, 8, 4
	v_and_b32_e32 v6, 15, v12
	v_bfe_u32 v8, v12, 16, 4
	v_lshrrev_b32_e32 v13, 28, v12
	v_bfe_u32 v10, v12, 12, 4
	v_bfe_u32 v14, v12, 4, 4
	;; [unrolled: 1-line block ×3, first 2 shown]
	v_cvt_f32_ubyte0_e32 v7, v3
	v_cvt_f32_ubyte0_e32 v6, v6
	v_cvt_f32_ubyte3_e32 v9, v1
	v_cvt_f32_ubyte0_e32 v8, v8
	v_cvt_f32_ubyte0_e32 v11, v10
	v_cvt_f32_ubyte0_e32 v10, v14
	v_cvt_f32_ubyte0_e32 v13, v13
	v_cvt_f32_ubyte0_e32 v12, v12
	v_pk_add_f32 v[8:9], v[0:1], v[8:9] op_sel_hi:[0,1]
	v_pk_add_f32 v[6:7], v[0:1], v[6:7] op_sel_hi:[0,1]
	;; [unrolled: 1-line block ×4, first 2 shown]
	v_pk_mul_f32 v[6:7], v[2:3], v[6:7] op_sel_hi:[0,1]
	v_pk_mul_f32 v[0:1], v[2:3], v[0:1] op_sel_hi:[0,1]
	v_bfe_u32 v10, v6, 16, 1
	v_bfe_u32 v14, v0, 16, 1
	v_pk_mul_f32 v[8:9], v[2:3], v[8:9] op_sel_hi:[0,1]
	v_bfe_u32 v11, v7, 16, 1
	v_cmp_o_f32_e32 vcc, v0, v0
	v_add3_u32 v10, v6, v10, s6
	v_add3_u32 v0, v0, v14, s6
	v_pk_mul_f32 v[2:3], v[2:3], v[12:13] op_sel_hi:[0,1]
	v_bfe_u32 v12, v8, 16, 1
	v_add3_u32 v11, v7, v11, s6
	v_lshrrev_b32_e32 v10, 16, v10
	v_cndmask_b32_sdwa v0, v15, v0, vcc dst_sel:DWORD dst_unused:UNUSED_PAD src0_sel:DWORD src1_sel:WORD_1
	v_cmp_o_f32_e32 vcc, v6, v6
	v_bfe_u32 v13, v9, 16, 1
	v_add3_u32 v12, v8, v12, s6
	v_lshrrev_b32_e32 v11, 16, v11
	v_cndmask_b32_e32 v6, v15, v10, vcc
	v_cmp_o_f32_e32 vcc, v7, v7
	v_add3_u32 v13, v9, v13, s6
	v_lshrrev_b32_e32 v12, 16, v12
	v_cndmask_b32_e32 v7, v15, v11, vcc
	v_cmp_o_f32_e32 vcc, v8, v8
	v_bfe_u32 v16, v1, 16, 1
	v_cmp_o_f32_e64 s[0:1], v1, v1
	v_lshrrev_b32_e32 v13, 16, v13
	v_cndmask_b32_e32 v8, v15, v12, vcc
	v_cmp_o_f32_e32 vcc, v9, v9
	v_bfe_u32 v17, v2, 16, 1
	v_cmp_o_f32_e64 s[2:3], v2, v2
	v_add3_u32 v1, v1, v16, s6
	v_cndmask_b32_e32 v9, v15, v13, vcc
	s_mov_b64 vcc, s[0:1]
	v_bfe_u32 v18, v3, 16, 1
	v_cmp_o_f32_e64 s[4:5], v3, v3
	v_add3_u32 v2, v2, v17, s6
	v_cndmask_b32_sdwa v1, v15, v1, vcc dst_sel:DWORD dst_unused:UNUSED_PAD src0_sel:DWORD src1_sel:WORD_1
	s_mov_b64 vcc, s[2:3]
	v_add3_u32 v3, v3, v18, s6
	v_cndmask_b32_sdwa v10, v15, v2, vcc dst_sel:DWORD dst_unused:UNUSED_PAD src0_sel:DWORD src1_sel:WORD_1
	s_mov_b64 vcc, s[4:5]
	v_perm_b32 v2, v1, v0, s7
	v_cndmask_b32_sdwa v0, v15, v3, vcc dst_sel:DWORD dst_unused:UNUSED_PAD src0_sel:DWORD src1_sel:WORD_1
	v_perm_b32 v1, v9, v8, s7
	v_perm_b32 v3, v0, v10, s7
	;; [unrolled: 1-line block ×3, first 2 shown]
	global_store_dwordx4 v[4:5], v[0:3], off
	s_endpgm
	.section	.rodata,"a",@progbits
	.p2align	6, 0x0
	.amdhsa_kernel _ZL22dequantize_block_iq1_mIN3c108BFloat16EEvPKvPT_
		.amdhsa_group_segment_fixed_size 0
		.amdhsa_private_segment_fixed_size 0
		.amdhsa_kernarg_size 16
		.amdhsa_user_sgpr_count 2
		.amdhsa_user_sgpr_dispatch_ptr 0
		.amdhsa_user_sgpr_queue_ptr 0
		.amdhsa_user_sgpr_kernarg_segment_ptr 1
		.amdhsa_user_sgpr_dispatch_id 0
		.amdhsa_user_sgpr_kernarg_preload_length 0
		.amdhsa_user_sgpr_kernarg_preload_offset 0
		.amdhsa_user_sgpr_private_segment_size 0
		.amdhsa_uses_dynamic_stack 0
		.amdhsa_enable_private_segment 0
		.amdhsa_system_sgpr_workgroup_id_x 1
		.amdhsa_system_sgpr_workgroup_id_y 0
		.amdhsa_system_sgpr_workgroup_id_z 0
		.amdhsa_system_sgpr_workgroup_info 0
		.amdhsa_system_vgpr_workitem_id 0
		.amdhsa_next_free_vgpr 19
		.amdhsa_next_free_sgpr 8
		.amdhsa_accum_offset 20
		.amdhsa_reserve_vcc 1
		.amdhsa_float_round_mode_32 0
		.amdhsa_float_round_mode_16_64 0
		.amdhsa_float_denorm_mode_32 3
		.amdhsa_float_denorm_mode_16_64 3
		.amdhsa_dx10_clamp 1
		.amdhsa_ieee_mode 1
		.amdhsa_fp16_overflow 0
		.amdhsa_tg_split 0
		.amdhsa_exception_fp_ieee_invalid_op 0
		.amdhsa_exception_fp_denorm_src 0
		.amdhsa_exception_fp_ieee_div_zero 0
		.amdhsa_exception_fp_ieee_overflow 0
		.amdhsa_exception_fp_ieee_underflow 0
		.amdhsa_exception_fp_ieee_inexact 0
		.amdhsa_exception_int_div_zero 0
	.end_amdhsa_kernel
	.section	.text._ZL22dequantize_block_iq1_mIN3c108BFloat16EEvPKvPT_,"axG",@progbits,_ZL22dequantize_block_iq1_mIN3c108BFloat16EEvPKvPT_,comdat
.Lfunc_end56:
	.size	_ZL22dequantize_block_iq1_mIN3c108BFloat16EEvPKvPT_, .Lfunc_end56-_ZL22dequantize_block_iq1_mIN3c108BFloat16EEvPKvPT_
                                        ; -- End function
	.set _ZL22dequantize_block_iq1_mIN3c108BFloat16EEvPKvPT_.num_vgpr, 19
	.set _ZL22dequantize_block_iq1_mIN3c108BFloat16EEvPKvPT_.num_agpr, 0
	.set _ZL22dequantize_block_iq1_mIN3c108BFloat16EEvPKvPT_.numbered_sgpr, 8
	.set _ZL22dequantize_block_iq1_mIN3c108BFloat16EEvPKvPT_.num_named_barrier, 0
	.set _ZL22dequantize_block_iq1_mIN3c108BFloat16EEvPKvPT_.private_seg_size, 0
	.set _ZL22dequantize_block_iq1_mIN3c108BFloat16EEvPKvPT_.uses_vcc, 1
	.set _ZL22dequantize_block_iq1_mIN3c108BFloat16EEvPKvPT_.uses_flat_scratch, 0
	.set _ZL22dequantize_block_iq1_mIN3c108BFloat16EEvPKvPT_.has_dyn_sized_stack, 0
	.set _ZL22dequantize_block_iq1_mIN3c108BFloat16EEvPKvPT_.has_recursion, 0
	.set _ZL22dequantize_block_iq1_mIN3c108BFloat16EEvPKvPT_.has_indirect_call, 0
	.section	.AMDGPU.csdata,"",@progbits
; Kernel info:
; codeLenInByte = 848
; TotalNumSgprs: 14
; NumVgprs: 19
; NumAgprs: 0
; TotalNumVgprs: 19
; ScratchSize: 0
; MemoryBound: 0
; FloatMode: 240
; IeeeMode: 1
; LDSByteSize: 0 bytes/workgroup (compile time only)
; SGPRBlocks: 1
; VGPRBlocks: 2
; NumSGPRsForWavesPerEU: 14
; NumVGPRsForWavesPerEU: 19
; AccumOffset: 20
; Occupancy: 8
; WaveLimiterHint : 0
; COMPUTE_PGM_RSRC2:SCRATCH_EN: 0
; COMPUTE_PGM_RSRC2:USER_SGPR: 2
; COMPUTE_PGM_RSRC2:TRAP_HANDLER: 0
; COMPUTE_PGM_RSRC2:TGID_X_EN: 1
; COMPUTE_PGM_RSRC2:TGID_Y_EN: 0
; COMPUTE_PGM_RSRC2:TGID_Z_EN: 0
; COMPUTE_PGM_RSRC2:TIDIG_COMP_CNT: 0
; COMPUTE_PGM_RSRC3_GFX90A:ACCUM_OFFSET: 4
; COMPUTE_PGM_RSRC3_GFX90A:TG_SPLIT: 0
	.section	.text._ZL13quantize_q8_1IfEvPKT_Pvii,"axG",@progbits,_ZL13quantize_q8_1IfEvPKT_Pvii,comdat
	.globl	_ZL13quantize_q8_1IfEvPKT_Pvii  ; -- Begin function _ZL13quantize_q8_1IfEvPKT_Pvii
	.p2align	8
	.type	_ZL13quantize_q8_1IfEvPKT_Pvii,@function
_ZL13quantize_q8_1IfEvPKT_Pvii:         ; @_ZL13quantize_q8_1IfEvPKT_Pvii
; %bb.0:
	s_load_dword s6, s[0:1], 0x24
	s_load_dwordx2 s[4:5], s[0:1], 0x10
	s_add_u32 s8, s0, 24
	s_addc_u32 s9, s1, 0
	v_and_b32_e32 v1, 0x3ff, v0
	s_waitcnt lgkmcnt(0)
	s_and_b32 s6, s6, 0xffff
	s_mul_i32 s2, s2, s6
	v_add_u32_e32 v2, s2, v1
	v_cmp_gt_u32_e32 vcc, s5, v2
	s_and_saveexec_b64 s[6:7], vcc
	s_cbranch_execz .LBB57_7
; %bb.1:
	s_load_dword s2, s[8:9], 0xc
	s_load_dwordx2 s[6:7], s[0:1], 0x8
	v_bfe_u32 v0, v0, 10, 10
	v_cmp_gt_u32_e32 vcc, s4, v2
	v_mov_b32_e32 v3, 0
	s_waitcnt lgkmcnt(0)
	s_lshr_b32 s2, s2, 16
	s_mul_i32 s3, s3, s2
	v_add_u32_e32 v0, s3, v0
	v_mov_b32_e32 v1, 0
	s_and_saveexec_b64 s[2:3], vcc
	s_cbranch_execz .LBB57_3
; %bb.2:
	s_load_dwordx2 s[0:1], s[0:1], 0x0
	v_mad_u64_u32 v[4:5], s[8:9], v0, s4, v[2:3]
	v_mov_b32_e32 v5, 0
	s_waitcnt lgkmcnt(0)
	v_lshl_add_u64 v[4:5], v[4:5], 2, s[0:1]
	global_load_dword v1, v[4:5], off
.LBB57_3:
	s_or_b64 exec, exec, s[2:3]
	v_mbcnt_lo_u32_b32 v5, -1, 0
	v_mbcnt_hi_u32_b32 v5, -1, v5
	v_and_b32_e32 v6, 0x60, v5
	v_add_u32_e32 v6, 32, v6
	v_xor_b32_e32 v7, 16, v5
	v_cmp_lt_i32_e32 vcc, v7, v6
	s_waitcnt vmcnt(0)
	v_and_b32_e32 v4, 0x7fffffff, v1
	v_max_f32_e64 v8, |v1|, |v1|
	v_cndmask_b32_e32 v7, v5, v7, vcc
	v_lshlrev_b32_e32 v7, 2, v7
	ds_bpermute_b32 v4, v7, v4
	ds_bpermute_b32 v7, v7, v1
	s_mov_b32 s3, 0x42fe0000
	s_brev_b32 s2, -2
	s_waitcnt lgkmcnt(1)
	v_max_f32_e32 v4, v4, v4
	v_max_f32_e32 v4, v8, v4
	v_xor_b32_e32 v8, 8, v5
	v_cmp_lt_i32_e32 vcc, v8, v6
	s_waitcnt lgkmcnt(0)
	v_add_f32_e32 v7, v1, v7
	v_cndmask_b32_e32 v8, v5, v8, vcc
	v_lshlrev_b32_e32 v8, 2, v8
	ds_bpermute_b32 v9, v8, v4
	ds_bpermute_b32 v8, v8, v7
	s_waitcnt lgkmcnt(1)
	v_max_f32_e32 v9, v9, v9
	v_max_f32_e32 v4, v4, v9
	v_xor_b32_e32 v9, 4, v5
	v_cmp_lt_i32_e32 vcc, v9, v6
	s_waitcnt lgkmcnt(0)
	v_add_f32_e32 v7, v7, v8
	v_cndmask_b32_e32 v9, v5, v9, vcc
	v_lshlrev_b32_e32 v9, 2, v9
	ds_bpermute_b32 v10, v9, v4
	ds_bpermute_b32 v8, v9, v7
	;; [unrolled: 11-line block ×3, first 2 shown]
	s_waitcnt lgkmcnt(1)
	v_max_f32_e32 v9, v11, v11
	v_max_f32_e32 v4, v4, v9
	v_xor_b32_e32 v9, 1, v5
	v_cmp_lt_i32_e32 vcc, v9, v6
	s_nop 1
	v_cndmask_b32_e32 v5, v5, v9, vcc
	v_lshlrev_b32_e32 v5, 2, v5
	ds_bpermute_b32 v6, v5, v4
	s_waitcnt lgkmcnt(0)
	v_max_f32_e32 v6, v6, v6
	v_max_f32_e32 v9, v4, v6
	v_div_scale_f32 v6, s[0:1], s3, s3, v9
	v_rcp_f32_e32 v10, v6
	v_add_f32_e32 v4, v7, v8
	ds_bpermute_b32 v5, v5, v4
	v_fma_f32 v7, -v6, v10, 1.0
	v_fmac_f32_e32 v10, v7, v10
	v_div_scale_f32 v7, vcc, v9, s3, v9
	v_mul_f32_e32 v8, v7, v10
	v_fma_f32 v11, -v6, v8, v7
	v_fmac_f32_e32 v8, v11, v10
	v_fma_f32 v6, -v6, v8, v7
	v_div_fmas_f32 v6, v6, v10, v8
	v_div_fixup_f32 v6, v6, s3, v9
	v_cmp_neq_f32_e32 vcc, 0, v9
	s_and_saveexec_b64 s[0:1], vcc
	s_cbranch_execz .LBB57_5
; %bb.4:
	v_div_scale_f32 v3, s[8:9], v6, v6, v1
	v_rcp_f32_e32 v7, v3
	v_div_scale_f32 v8, vcc, v1, v6, v1
	v_fma_f32 v9, -v3, v7, 1.0
	v_fmac_f32_e32 v7, v9, v7
	v_mul_f32_e32 v9, v8, v7
	v_fma_f32 v10, -v3, v9, v8
	v_fmac_f32_e32 v9, v10, v7
	v_fma_f32 v3, -v3, v9, v8
	v_div_fmas_f32 v3, v3, v7, v9
	v_div_fixup_f32 v1, v3, v6, v1
	v_trunc_f32_e32 v3, v1
	v_sub_f32_e32 v7, v1, v3
	v_cmp_ge_f32_e64 s[8:9], |v7|, 0.5
	s_nop 1
	v_cndmask_b32_e64 v7, 0, 1.0, s[8:9]
	v_bfi_b32 v1, s2, v7, v1
	v_add_f32_e32 v1, v3, v1
	v_cvt_i32_f32_e32 v3, v1
.LBB57_5:
	s_or_b64 exec, exec, s[0:1]
	v_mad_u64_u32 v[0:1], s[0:1], v0, s5, v[2:3]
	v_ashrrev_i32_e32 v1, 31, v0
	v_lshrrev_b32_e32 v1, 27, v1
	v_add_u32_e32 v1, v0, v1
	v_ashrrev_i32_e32 v2, 5, v1
	v_and_b32_e32 v1, 0xffffffe0, v1
	v_sub_u32_e32 v8, v0, v1
	v_mad_i64_i32 v[0:1], s[0:1], v2, 36, s[6:7]
	v_ashrrev_i32_e32 v9, 31, v8
	v_lshl_add_u64 v[10:11], v[0:1], 0, v[8:9]
	v_cmp_gt_i32_e32 vcc, 1, v8
	global_store_byte v[10:11], v3, off offset:4
	s_and_b64 exec, exec, vcc
	s_cbranch_execz .LBB57_7
; %bb.6:
	s_waitcnt lgkmcnt(0)
	v_add_f32_e32 v2, v4, v5
	v_cvt_pk_f16_f32 v2, v6, v2
	global_store_dword v[0:1], v2, off
.LBB57_7:
	s_endpgm
	.section	.rodata,"a",@progbits
	.p2align	6, 0x0
	.amdhsa_kernel _ZL13quantize_q8_1IfEvPKT_Pvii
		.amdhsa_group_segment_fixed_size 0
		.amdhsa_private_segment_fixed_size 0
		.amdhsa_kernarg_size 280
		.amdhsa_user_sgpr_count 2
		.amdhsa_user_sgpr_dispatch_ptr 0
		.amdhsa_user_sgpr_queue_ptr 0
		.amdhsa_user_sgpr_kernarg_segment_ptr 1
		.amdhsa_user_sgpr_dispatch_id 0
		.amdhsa_user_sgpr_kernarg_preload_length 0
		.amdhsa_user_sgpr_kernarg_preload_offset 0
		.amdhsa_user_sgpr_private_segment_size 0
		.amdhsa_uses_dynamic_stack 0
		.amdhsa_enable_private_segment 0
		.amdhsa_system_sgpr_workgroup_id_x 1
		.amdhsa_system_sgpr_workgroup_id_y 1
		.amdhsa_system_sgpr_workgroup_id_z 0
		.amdhsa_system_sgpr_workgroup_info 0
		.amdhsa_system_vgpr_workitem_id 1
		.amdhsa_next_free_vgpr 12
		.amdhsa_next_free_sgpr 10
		.amdhsa_accum_offset 12
		.amdhsa_reserve_vcc 1
		.amdhsa_float_round_mode_32 0
		.amdhsa_float_round_mode_16_64 0
		.amdhsa_float_denorm_mode_32 3
		.amdhsa_float_denorm_mode_16_64 3
		.amdhsa_dx10_clamp 1
		.amdhsa_ieee_mode 1
		.amdhsa_fp16_overflow 0
		.amdhsa_tg_split 0
		.amdhsa_exception_fp_ieee_invalid_op 0
		.amdhsa_exception_fp_denorm_src 0
		.amdhsa_exception_fp_ieee_div_zero 0
		.amdhsa_exception_fp_ieee_overflow 0
		.amdhsa_exception_fp_ieee_underflow 0
		.amdhsa_exception_fp_ieee_inexact 0
		.amdhsa_exception_int_div_zero 0
	.end_amdhsa_kernel
	.section	.text._ZL13quantize_q8_1IfEvPKT_Pvii,"axG",@progbits,_ZL13quantize_q8_1IfEvPKT_Pvii,comdat
.Lfunc_end57:
	.size	_ZL13quantize_q8_1IfEvPKT_Pvii, .Lfunc_end57-_ZL13quantize_q8_1IfEvPKT_Pvii
                                        ; -- End function
	.set _ZL13quantize_q8_1IfEvPKT_Pvii.num_vgpr, 12
	.set _ZL13quantize_q8_1IfEvPKT_Pvii.num_agpr, 0
	.set _ZL13quantize_q8_1IfEvPKT_Pvii.numbered_sgpr, 10
	.set _ZL13quantize_q8_1IfEvPKT_Pvii.num_named_barrier, 0
	.set _ZL13quantize_q8_1IfEvPKT_Pvii.private_seg_size, 0
	.set _ZL13quantize_q8_1IfEvPKT_Pvii.uses_vcc, 1
	.set _ZL13quantize_q8_1IfEvPKT_Pvii.uses_flat_scratch, 0
	.set _ZL13quantize_q8_1IfEvPKT_Pvii.has_dyn_sized_stack, 0
	.set _ZL13quantize_q8_1IfEvPKT_Pvii.has_recursion, 0
	.set _ZL13quantize_q8_1IfEvPKT_Pvii.has_indirect_call, 0
	.section	.AMDGPU.csdata,"",@progbits
; Kernel info:
; codeLenInByte = 788
; TotalNumSgprs: 16
; NumVgprs: 12
; NumAgprs: 0
; TotalNumVgprs: 12
; ScratchSize: 0
; MemoryBound: 0
; FloatMode: 240
; IeeeMode: 1
; LDSByteSize: 0 bytes/workgroup (compile time only)
; SGPRBlocks: 1
; VGPRBlocks: 1
; NumSGPRsForWavesPerEU: 16
; NumVGPRsForWavesPerEU: 12
; AccumOffset: 12
; Occupancy: 8
; WaveLimiterHint : 0
; COMPUTE_PGM_RSRC2:SCRATCH_EN: 0
; COMPUTE_PGM_RSRC2:USER_SGPR: 2
; COMPUTE_PGM_RSRC2:TRAP_HANDLER: 0
; COMPUTE_PGM_RSRC2:TGID_X_EN: 1
; COMPUTE_PGM_RSRC2:TGID_Y_EN: 1
; COMPUTE_PGM_RSRC2:TGID_Z_EN: 0
; COMPUTE_PGM_RSRC2:TIDIG_COMP_CNT: 1
; COMPUTE_PGM_RSRC3_GFX90A:ACCUM_OFFSET: 2
; COMPUTE_PGM_RSRC3_GFX90A:TG_SPLIT: 0
	.section	.text._ZL13mul_mat_vec_qIfLi32ELi4E10block_q4_0Li2EXadL_ZL17vec_dot_q4_0_q8_1PKvPK10block_q8_1RKiEEEvS2_S2_PT_iii,"axG",@progbits,_ZL13mul_mat_vec_qIfLi32ELi4E10block_q4_0Li2EXadL_ZL17vec_dot_q4_0_q8_1PKvPK10block_q8_1RKiEEEvS2_S2_PT_iii,comdat
	.globl	_ZL13mul_mat_vec_qIfLi32ELi4E10block_q4_0Li2EXadL_ZL17vec_dot_q4_0_q8_1PKvPK10block_q8_1RKiEEEvS2_S2_PT_iii ; -- Begin function _ZL13mul_mat_vec_qIfLi32ELi4E10block_q4_0Li2EXadL_ZL17vec_dot_q4_0_q8_1PKvPK10block_q8_1RKiEEEvS2_S2_PT_iii
	.p2align	8
	.type	_ZL13mul_mat_vec_qIfLi32ELi4E10block_q4_0Li2EXadL_ZL17vec_dot_q4_0_q8_1PKvPK10block_q8_1RKiEEEvS2_S2_PT_iii,@function
_ZL13mul_mat_vec_qIfLi32ELi4E10block_q4_0Li2EXadL_ZL17vec_dot_q4_0_q8_1PKvPK10block_q8_1RKiEEEvS2_S2_PT_iii: ; @_ZL13mul_mat_vec_qIfLi32ELi4E10block_q4_0Li2EXadL_ZL17vec_dot_q4_0_q8_1PKvPK10block_q8_1RKiEEEvS2_S2_PT_iii
; %bb.0:
	s_load_dword s8, s[0:1], 0x34
	s_load_dwordx4 s[4:7], s[0:1], 0x18
	v_bfe_u32 v1, v0, 10, 10
	s_waitcnt lgkmcnt(0)
	s_lshr_b32 s7, s8, 16
	s_mul_i32 s2, s2, s7
	v_add_u32_e32 v4, s2, v1
	s_cmp_lt_u32 s3, s6
	v_cmp_gt_u32_e32 vcc, s5, v4
	s_cselect_b64 s[6:7], -1, 0
	s_and_b64 s[6:7], s[6:7], vcc
	s_and_saveexec_b64 s[8:9], s[6:7]
	s_cbranch_execz .LBB58_7
; %bb.1:
	s_load_dwordx2 s[6:7], s[0:1], 0x10
	s_ashr_i32 s2, s4, 31
	s_lshr_b32 s2, s2, 27
	s_add_i32 s2, s4, s2
	s_ashr_i32 s2, s2, 5
	v_bfe_u32 v7, v0, 1, 9
	v_and_b32_e32 v5, 0x3ff, v0
	v_cmp_gt_u32_e32 vcc, s2, v7
	v_mov_b32_e32 v6, 0
	s_and_saveexec_b64 s[12:13], vcc
	s_cbranch_execz .LBB58_5
; %bb.2:
	s_load_dwordx4 s[8:11], s[0:1], 0x0
	s_add_i32 s0, s4, 0x1ff
	s_ashr_i32 s1, s0, 31
	s_lshr_b32 s1, s1, 23
	s_add_i32 s0, s0, s1
	s_ashr_i32 s0, s0, 9
	s_mul_i32 s0, s3, s0
	v_lshlrev_b32_e32 v0, 3, v5
	v_mov_b32_e32 v1, 0
	v_mul_lo_u32 v8, v4, s2
	s_lshl_b32 s4, s0, 4
	v_and_b32_e32 v0, 8, v0
	s_mov_b64 s[0:1], 0
	v_mov_b32_e32 v3, 4.0
	v_mov_b32_e32 v6, v1
.LBB58_3:                               ; =>This Inner Loop Header: Depth=1
	v_add_u32_e32 v2, v8, v7
	v_add_u32_e32 v9, s4, v7
	s_waitcnt lgkmcnt(0)
	v_mad_i64_i32 v[10:11], s[14:15], v2, 18, s[8:9]
	v_mad_i64_i32 v[12:13], s[14:15], v9, 36, s[10:11]
	v_lshl_add_u64 v[14:15], v[10:11], 0, v[0:1]
	v_lshl_add_u64 v[16:17], v[12:13], 0, v[0:1]
	global_load_dwordx2 v[18:19], v[14:15], off offset:2
	global_load_dwordx2 v[20:21], v[16:17], off offset:4
	;; [unrolled: 1-line block ×3, first 2 shown]
	global_load_dword v2, v[12:13], off
	global_load_ushort v9, v[10:11], off
	v_mov_b32_e32 v12, 0
	v_add_u32_e32 v7, 32, v7
	v_cmp_le_u32_e32 vcc, s2, v7
	s_or_b64 s[0:1], vcc, s[0:1]
	s_waitcnt vmcnt(4)
	v_lshrrev_b32_e32 v13, 4, v18
	v_and_b32_e32 v13, 0xf0f0f0f, v13
	v_and_b32_e32 v14, 0xf0f0f0f, v19
	s_waitcnt vmcnt(1)
	v_cvt_f32_f16_e32 v10, v2
	v_cvt_f32_f16_sdwa v11, v2 dst_sel:DWORD dst_unused:UNUSED_PAD src0_sel:WORD_1
	v_and_b32_e32 v2, 0xf0f0f0f, v18
	v_dot4c_i32_i8_e32 v12, v2, v20
	v_lshrrev_b32_e32 v15, 4, v19
	v_dot4c_i32_i8_e32 v12, v13, v22
	v_and_b32_e32 v2, 0xf0f0f0f, v15
	v_dot4c_i32_i8_e32 v12, v14, v21
	v_dot4c_i32_i8_e32 v12, v2, v23
	s_nop 2
	v_cvt_f32_i32_e32 v2, v12
	v_pk_mul_f32 v[10:11], v[2:3], v[10:11]
	s_nop 0
	v_sub_f32_e32 v2, v10, v11
	s_waitcnt vmcnt(0)
	v_fma_mix_f32 v6, v2, v9, v6 op_sel_hi:[0,1,0]
	s_andn2_b64 exec, exec, s[0:1]
	s_cbranch_execnz .LBB58_3
; %bb.4:
	s_or_b64 exec, exec, s[0:1]
.LBB58_5:
	s_or_b64 exec, exec, s[12:13]
	v_mbcnt_lo_u32_b32 v0, -1, 0
	v_mbcnt_hi_u32_b32 v1, -1, v0
	v_and_b32_e32 v0, 64, v1
	v_add_u32_e32 v2, 64, v0
	v_xor_b32_e32 v0, 32, v1
	v_cmp_lt_i32_e32 vcc, v0, v2
	v_xor_b32_e32 v3, 16, v1
	s_nop 0
	v_cndmask_b32_e32 v0, v1, v0, vcc
	v_lshlrev_b32_e32 v0, 2, v0
	ds_bpermute_b32 v0, v0, v6
	v_cmp_lt_i32_e32 vcc, v3, v2
	s_waitcnt lgkmcnt(0)
	v_add_f32_e32 v0, v6, v0
	v_cndmask_b32_e32 v3, v1, v3, vcc
	v_lshlrev_b32_e32 v3, 2, v3
	ds_bpermute_b32 v3, v3, v0
	v_xor_b32_e32 v6, 8, v1
	v_cmp_lt_i32_e32 vcc, v6, v2
	s_waitcnt lgkmcnt(0)
	v_add_f32_e32 v0, v0, v3
	v_cndmask_b32_e32 v3, v1, v6, vcc
	v_lshlrev_b32_e32 v3, 2, v3
	ds_bpermute_b32 v3, v3, v0
	v_xor_b32_e32 v6, 4, v1
	;; [unrolled: 7-line block ×4, first 2 shown]
	v_cmp_lt_i32_e32 vcc, v6, v2
	s_waitcnt lgkmcnt(0)
	v_add_f32_e32 v0, v0, v3
	v_cndmask_b32_e32 v1, v1, v6, vcc
	v_lshlrev_b32_e32 v1, 2, v1
	ds_bpermute_b32 v1, v1, v0
	v_cmp_eq_u32_e32 vcc, 0, v5
	s_and_b64 exec, exec, vcc
	s_cbranch_execz .LBB58_7
; %bb.6:
	s_mul_i32 s0, s5, s3
	s_waitcnt lgkmcnt(0)
	v_add_f32_e32 v2, v0, v1
	v_add_u32_e32 v0, s0, v4
	v_mov_b32_e32 v1, 0
	v_lshl_add_u64 v[0:1], v[0:1], 2, s[6:7]
	global_store_dword v[0:1], v2, off
.LBB58_7:
	s_endpgm
	.section	.rodata,"a",@progbits
	.p2align	6, 0x0
	.amdhsa_kernel _ZL13mul_mat_vec_qIfLi32ELi4E10block_q4_0Li2EXadL_ZL17vec_dot_q4_0_q8_1PKvPK10block_q8_1RKiEEEvS2_S2_PT_iii
		.amdhsa_group_segment_fixed_size 0
		.amdhsa_private_segment_fixed_size 0
		.amdhsa_kernarg_size 296
		.amdhsa_user_sgpr_count 2
		.amdhsa_user_sgpr_dispatch_ptr 0
		.amdhsa_user_sgpr_queue_ptr 0
		.amdhsa_user_sgpr_kernarg_segment_ptr 1
		.amdhsa_user_sgpr_dispatch_id 0
		.amdhsa_user_sgpr_kernarg_preload_length 0
		.amdhsa_user_sgpr_kernarg_preload_offset 0
		.amdhsa_user_sgpr_private_segment_size 0
		.amdhsa_uses_dynamic_stack 0
		.amdhsa_enable_private_segment 0
		.amdhsa_system_sgpr_workgroup_id_x 1
		.amdhsa_system_sgpr_workgroup_id_y 1
		.amdhsa_system_sgpr_workgroup_id_z 0
		.amdhsa_system_sgpr_workgroup_info 0
		.amdhsa_system_vgpr_workitem_id 1
		.amdhsa_next_free_vgpr 24
		.amdhsa_next_free_sgpr 16
		.amdhsa_accum_offset 24
		.amdhsa_reserve_vcc 1
		.amdhsa_float_round_mode_32 0
		.amdhsa_float_round_mode_16_64 0
		.amdhsa_float_denorm_mode_32 3
		.amdhsa_float_denorm_mode_16_64 3
		.amdhsa_dx10_clamp 1
		.amdhsa_ieee_mode 1
		.amdhsa_fp16_overflow 0
		.amdhsa_tg_split 0
		.amdhsa_exception_fp_ieee_invalid_op 0
		.amdhsa_exception_fp_denorm_src 0
		.amdhsa_exception_fp_ieee_div_zero 0
		.amdhsa_exception_fp_ieee_overflow 0
		.amdhsa_exception_fp_ieee_underflow 0
		.amdhsa_exception_fp_ieee_inexact 0
		.amdhsa_exception_int_div_zero 0
	.end_amdhsa_kernel
	.section	.text._ZL13mul_mat_vec_qIfLi32ELi4E10block_q4_0Li2EXadL_ZL17vec_dot_q4_0_q8_1PKvPK10block_q8_1RKiEEEvS2_S2_PT_iii,"axG",@progbits,_ZL13mul_mat_vec_qIfLi32ELi4E10block_q4_0Li2EXadL_ZL17vec_dot_q4_0_q8_1PKvPK10block_q8_1RKiEEEvS2_S2_PT_iii,comdat
.Lfunc_end58:
	.size	_ZL13mul_mat_vec_qIfLi32ELi4E10block_q4_0Li2EXadL_ZL17vec_dot_q4_0_q8_1PKvPK10block_q8_1RKiEEEvS2_S2_PT_iii, .Lfunc_end58-_ZL13mul_mat_vec_qIfLi32ELi4E10block_q4_0Li2EXadL_ZL17vec_dot_q4_0_q8_1PKvPK10block_q8_1RKiEEEvS2_S2_PT_iii
                                        ; -- End function
	.set _ZL13mul_mat_vec_qIfLi32ELi4E10block_q4_0Li2EXadL_ZL17vec_dot_q4_0_q8_1PKvPK10block_q8_1RKiEEEvS2_S2_PT_iii.num_vgpr, 24
	.set _ZL13mul_mat_vec_qIfLi32ELi4E10block_q4_0Li2EXadL_ZL17vec_dot_q4_0_q8_1PKvPK10block_q8_1RKiEEEvS2_S2_PT_iii.num_agpr, 0
	.set _ZL13mul_mat_vec_qIfLi32ELi4E10block_q4_0Li2EXadL_ZL17vec_dot_q4_0_q8_1PKvPK10block_q8_1RKiEEEvS2_S2_PT_iii.numbered_sgpr, 16
	.set _ZL13mul_mat_vec_qIfLi32ELi4E10block_q4_0Li2EXadL_ZL17vec_dot_q4_0_q8_1PKvPK10block_q8_1RKiEEEvS2_S2_PT_iii.num_named_barrier, 0
	.set _ZL13mul_mat_vec_qIfLi32ELi4E10block_q4_0Li2EXadL_ZL17vec_dot_q4_0_q8_1PKvPK10block_q8_1RKiEEEvS2_S2_PT_iii.private_seg_size, 0
	.set _ZL13mul_mat_vec_qIfLi32ELi4E10block_q4_0Li2EXadL_ZL17vec_dot_q4_0_q8_1PKvPK10block_q8_1RKiEEEvS2_S2_PT_iii.uses_vcc, 1
	.set _ZL13mul_mat_vec_qIfLi32ELi4E10block_q4_0Li2EXadL_ZL17vec_dot_q4_0_q8_1PKvPK10block_q8_1RKiEEEvS2_S2_PT_iii.uses_flat_scratch, 0
	.set _ZL13mul_mat_vec_qIfLi32ELi4E10block_q4_0Li2EXadL_ZL17vec_dot_q4_0_q8_1PKvPK10block_q8_1RKiEEEvS2_S2_PT_iii.has_dyn_sized_stack, 0
	.set _ZL13mul_mat_vec_qIfLi32ELi4E10block_q4_0Li2EXadL_ZL17vec_dot_q4_0_q8_1PKvPK10block_q8_1RKiEEEvS2_S2_PT_iii.has_recursion, 0
	.set _ZL13mul_mat_vec_qIfLi32ELi4E10block_q4_0Li2EXadL_ZL17vec_dot_q4_0_q8_1PKvPK10block_q8_1RKiEEEvS2_S2_PT_iii.has_indirect_call, 0
	.section	.AMDGPU.csdata,"",@progbits
; Kernel info:
; codeLenInByte = 684
; TotalNumSgprs: 22
; NumVgprs: 24
; NumAgprs: 0
; TotalNumVgprs: 24
; ScratchSize: 0
; MemoryBound: 0
; FloatMode: 240
; IeeeMode: 1
; LDSByteSize: 0 bytes/workgroup (compile time only)
; SGPRBlocks: 2
; VGPRBlocks: 2
; NumSGPRsForWavesPerEU: 22
; NumVGPRsForWavesPerEU: 24
; AccumOffset: 24
; Occupancy: 8
; WaveLimiterHint : 0
; COMPUTE_PGM_RSRC2:SCRATCH_EN: 0
; COMPUTE_PGM_RSRC2:USER_SGPR: 2
; COMPUTE_PGM_RSRC2:TRAP_HANDLER: 0
; COMPUTE_PGM_RSRC2:TGID_X_EN: 1
; COMPUTE_PGM_RSRC2:TGID_Y_EN: 1
; COMPUTE_PGM_RSRC2:TGID_Z_EN: 0
; COMPUTE_PGM_RSRC2:TIDIG_COMP_CNT: 1
; COMPUTE_PGM_RSRC3_GFX90A:ACCUM_OFFSET: 5
; COMPUTE_PGM_RSRC3_GFX90A:TG_SPLIT: 0
	.section	.text._ZL13mul_mat_vec_qIfLi32ELi4E10block_q4_1Li2EXadL_ZL17vec_dot_q4_1_q8_1PKvPK10block_q8_1RKiEEEvS2_S2_PT_iii,"axG",@progbits,_ZL13mul_mat_vec_qIfLi32ELi4E10block_q4_1Li2EXadL_ZL17vec_dot_q4_1_q8_1PKvPK10block_q8_1RKiEEEvS2_S2_PT_iii,comdat
	.globl	_ZL13mul_mat_vec_qIfLi32ELi4E10block_q4_1Li2EXadL_ZL17vec_dot_q4_1_q8_1PKvPK10block_q8_1RKiEEEvS2_S2_PT_iii ; -- Begin function _ZL13mul_mat_vec_qIfLi32ELi4E10block_q4_1Li2EXadL_ZL17vec_dot_q4_1_q8_1PKvPK10block_q8_1RKiEEEvS2_S2_PT_iii
	.p2align	8
	.type	_ZL13mul_mat_vec_qIfLi32ELi4E10block_q4_1Li2EXadL_ZL17vec_dot_q4_1_q8_1PKvPK10block_q8_1RKiEEEvS2_S2_PT_iii,@function
_ZL13mul_mat_vec_qIfLi32ELi4E10block_q4_1Li2EXadL_ZL17vec_dot_q4_1_q8_1PKvPK10block_q8_1RKiEEEvS2_S2_PT_iii: ; @_ZL13mul_mat_vec_qIfLi32ELi4E10block_q4_1Li2EXadL_ZL17vec_dot_q4_1_q8_1PKvPK10block_q8_1RKiEEEvS2_S2_PT_iii
; %bb.0:
	s_load_dword s8, s[0:1], 0x34
	s_load_dwordx4 s[4:7], s[0:1], 0x18
	v_bfe_u32 v1, v0, 10, 10
	s_waitcnt lgkmcnt(0)
	s_lshr_b32 s7, s8, 16
	s_mul_i32 s2, s2, s7
	v_add_u32_e32 v4, s2, v1
	s_cmp_lt_u32 s3, s6
	v_cmp_gt_u32_e32 vcc, s5, v4
	s_cselect_b64 s[6:7], -1, 0
	s_and_b64 s[6:7], s[6:7], vcc
	s_and_saveexec_b64 s[8:9], s[6:7]
	s_cbranch_execz .LBB59_7
; %bb.1:
	s_load_dwordx2 s[6:7], s[0:1], 0x10
	s_ashr_i32 s2, s4, 31
	s_lshr_b32 s2, s2, 27
	s_add_i32 s2, s4, s2
	s_ashr_i32 s2, s2, 5
	v_bfe_u32 v7, v0, 1, 9
	v_and_b32_e32 v5, 0x3ff, v0
	v_cmp_gt_u32_e32 vcc, s2, v7
	v_mov_b32_e32 v6, 0
	s_and_saveexec_b64 s[12:13], vcc
	s_cbranch_execz .LBB59_5
; %bb.2:
	s_load_dwordx4 s[8:11], s[0:1], 0x0
	s_add_i32 s0, s4, 0x1ff
	s_ashr_i32 s1, s0, 31
	s_lshr_b32 s1, s1, 23
	s_add_i32 s0, s0, s1
	s_ashr_i32 s0, s0, 9
	s_mul_i32 s0, s3, s0
	v_lshlrev_b32_e32 v0, 3, v5
	v_mov_b32_e32 v1, 0
	v_mul_lo_u32 v8, v4, s2
	s_lshl_b32 s4, s0, 4
	v_and_b32_e32 v0, 8, v0
	s_mov_b64 s[0:1], 0
	v_mov_b32_e32 v3, 0.5
	v_mov_b32_e32 v6, v1
.LBB59_3:                               ; =>This Inner Loop Header: Depth=1
	v_add_u32_e32 v2, v8, v7
	v_add_u32_e32 v9, s4, v7
	s_waitcnt lgkmcnt(0)
	v_mad_i64_i32 v[10:11], s[14:15], v2, 20, s[8:9]
	v_mad_i64_i32 v[12:13], s[14:15], v9, 36, s[10:11]
	v_lshl_add_u64 v[14:15], v[10:11], 0, v[0:1]
	v_lshl_add_u64 v[16:17], v[12:13], 0, v[0:1]
	global_load_dword v2, v[10:11], off
	global_load_dwordx2 v[18:19], v[14:15], off offset:4
	global_load_dwordx2 v[20:21], v[16:17], off offset:4
	;; [unrolled: 1-line block ×3, first 2 shown]
	global_load_dword v9, v[12:13], off
	v_mov_b32_e32 v12, 0
	v_add_u32_e32 v7, 32, v7
	v_cmp_le_u32_e32 vcc, s2, v7
	s_or_b64 s[0:1], vcc, s[0:1]
	s_waitcnt vmcnt(3)
	v_lshrrev_b32_e32 v13, 4, v18
	v_and_b32_e32 v14, 0xf0f0f0f, v19
	v_lshrrev_b32_e32 v15, 4, v19
	s_waitcnt vmcnt(0)
	v_pk_mul_f16 v2, v2, v9
	v_and_b32_e32 v9, 0xf0f0f0f, v18
	v_cvt_f32_f16_e32 v10, v2
	v_cvt_f32_f16_sdwa v11, v2 dst_sel:DWORD dst_unused:UNUSED_PAD src0_sel:WORD_1
	v_and_b32_e32 v2, 0xf0f0f0f, v13
	v_dot4c_i32_i8_e32 v12, v9, v20
	v_dot4c_i32_i8_e32 v12, v2, v22
	v_and_b32_e32 v9, 0xf0f0f0f, v15
	v_dot4c_i32_i8_e32 v12, v14, v21
	v_dot4c_i32_i8_e32 v12, v9, v23
	s_nop 2
	v_cvt_f32_i32_e32 v2, v12
	v_pk_mul_f32 v[10:11], v[2:3], v[10:11]
	s_nop 0
	v_add_f32_e32 v2, v11, v10
	v_add_f32_e32 v6, v6, v2
	s_andn2_b64 exec, exec, s[0:1]
	s_cbranch_execnz .LBB59_3
; %bb.4:
	s_or_b64 exec, exec, s[0:1]
.LBB59_5:
	s_or_b64 exec, exec, s[12:13]
	v_mbcnt_lo_u32_b32 v0, -1, 0
	v_mbcnt_hi_u32_b32 v1, -1, v0
	v_and_b32_e32 v0, 64, v1
	v_add_u32_e32 v2, 64, v0
	v_xor_b32_e32 v0, 32, v1
	v_cmp_lt_i32_e32 vcc, v0, v2
	v_xor_b32_e32 v3, 16, v1
	s_nop 0
	v_cndmask_b32_e32 v0, v1, v0, vcc
	v_lshlrev_b32_e32 v0, 2, v0
	ds_bpermute_b32 v0, v0, v6
	v_cmp_lt_i32_e32 vcc, v3, v2
	s_waitcnt lgkmcnt(0)
	v_add_f32_e32 v0, v6, v0
	v_cndmask_b32_e32 v3, v1, v3, vcc
	v_lshlrev_b32_e32 v3, 2, v3
	ds_bpermute_b32 v3, v3, v0
	v_xor_b32_e32 v6, 8, v1
	v_cmp_lt_i32_e32 vcc, v6, v2
	s_waitcnt lgkmcnt(0)
	v_add_f32_e32 v0, v0, v3
	v_cndmask_b32_e32 v3, v1, v6, vcc
	v_lshlrev_b32_e32 v3, 2, v3
	ds_bpermute_b32 v3, v3, v0
	v_xor_b32_e32 v6, 4, v1
	;; [unrolled: 7-line block ×4, first 2 shown]
	v_cmp_lt_i32_e32 vcc, v6, v2
	s_waitcnt lgkmcnt(0)
	v_add_f32_e32 v0, v0, v3
	v_cndmask_b32_e32 v1, v1, v6, vcc
	v_lshlrev_b32_e32 v1, 2, v1
	ds_bpermute_b32 v1, v1, v0
	v_cmp_eq_u32_e32 vcc, 0, v5
	s_and_b64 exec, exec, vcc
	s_cbranch_execz .LBB59_7
; %bb.6:
	s_mul_i32 s0, s5, s3
	s_waitcnt lgkmcnt(0)
	v_add_f32_e32 v2, v0, v1
	v_add_u32_e32 v0, s0, v4
	v_mov_b32_e32 v1, 0
	v_lshl_add_u64 v[0:1], v[0:1], 2, s[6:7]
	global_store_dword v[0:1], v2, off
.LBB59_7:
	s_endpgm
	.section	.rodata,"a",@progbits
	.p2align	6, 0x0
	.amdhsa_kernel _ZL13mul_mat_vec_qIfLi32ELi4E10block_q4_1Li2EXadL_ZL17vec_dot_q4_1_q8_1PKvPK10block_q8_1RKiEEEvS2_S2_PT_iii
		.amdhsa_group_segment_fixed_size 0
		.amdhsa_private_segment_fixed_size 0
		.amdhsa_kernarg_size 296
		.amdhsa_user_sgpr_count 2
		.amdhsa_user_sgpr_dispatch_ptr 0
		.amdhsa_user_sgpr_queue_ptr 0
		.amdhsa_user_sgpr_kernarg_segment_ptr 1
		.amdhsa_user_sgpr_dispatch_id 0
		.amdhsa_user_sgpr_kernarg_preload_length 0
		.amdhsa_user_sgpr_kernarg_preload_offset 0
		.amdhsa_user_sgpr_private_segment_size 0
		.amdhsa_uses_dynamic_stack 0
		.amdhsa_enable_private_segment 0
		.amdhsa_system_sgpr_workgroup_id_x 1
		.amdhsa_system_sgpr_workgroup_id_y 1
		.amdhsa_system_sgpr_workgroup_id_z 0
		.amdhsa_system_sgpr_workgroup_info 0
		.amdhsa_system_vgpr_workitem_id 1
		.amdhsa_next_free_vgpr 24
		.amdhsa_next_free_sgpr 16
		.amdhsa_accum_offset 24
		.amdhsa_reserve_vcc 1
		.amdhsa_float_round_mode_32 0
		.amdhsa_float_round_mode_16_64 0
		.amdhsa_float_denorm_mode_32 3
		.amdhsa_float_denorm_mode_16_64 3
		.amdhsa_dx10_clamp 1
		.amdhsa_ieee_mode 1
		.amdhsa_fp16_overflow 0
		.amdhsa_tg_split 0
		.amdhsa_exception_fp_ieee_invalid_op 0
		.amdhsa_exception_fp_denorm_src 0
		.amdhsa_exception_fp_ieee_div_zero 0
		.amdhsa_exception_fp_ieee_overflow 0
		.amdhsa_exception_fp_ieee_underflow 0
		.amdhsa_exception_fp_ieee_inexact 0
		.amdhsa_exception_int_div_zero 0
	.end_amdhsa_kernel
	.section	.text._ZL13mul_mat_vec_qIfLi32ELi4E10block_q4_1Li2EXadL_ZL17vec_dot_q4_1_q8_1PKvPK10block_q8_1RKiEEEvS2_S2_PT_iii,"axG",@progbits,_ZL13mul_mat_vec_qIfLi32ELi4E10block_q4_1Li2EXadL_ZL17vec_dot_q4_1_q8_1PKvPK10block_q8_1RKiEEEvS2_S2_PT_iii,comdat
.Lfunc_end59:
	.size	_ZL13mul_mat_vec_qIfLi32ELi4E10block_q4_1Li2EXadL_ZL17vec_dot_q4_1_q8_1PKvPK10block_q8_1RKiEEEvS2_S2_PT_iii, .Lfunc_end59-_ZL13mul_mat_vec_qIfLi32ELi4E10block_q4_1Li2EXadL_ZL17vec_dot_q4_1_q8_1PKvPK10block_q8_1RKiEEEvS2_S2_PT_iii
                                        ; -- End function
	.set _ZL13mul_mat_vec_qIfLi32ELi4E10block_q4_1Li2EXadL_ZL17vec_dot_q4_1_q8_1PKvPK10block_q8_1RKiEEEvS2_S2_PT_iii.num_vgpr, 24
	.set _ZL13mul_mat_vec_qIfLi32ELi4E10block_q4_1Li2EXadL_ZL17vec_dot_q4_1_q8_1PKvPK10block_q8_1RKiEEEvS2_S2_PT_iii.num_agpr, 0
	.set _ZL13mul_mat_vec_qIfLi32ELi4E10block_q4_1Li2EXadL_ZL17vec_dot_q4_1_q8_1PKvPK10block_q8_1RKiEEEvS2_S2_PT_iii.numbered_sgpr, 16
	.set _ZL13mul_mat_vec_qIfLi32ELi4E10block_q4_1Li2EXadL_ZL17vec_dot_q4_1_q8_1PKvPK10block_q8_1RKiEEEvS2_S2_PT_iii.num_named_barrier, 0
	.set _ZL13mul_mat_vec_qIfLi32ELi4E10block_q4_1Li2EXadL_ZL17vec_dot_q4_1_q8_1PKvPK10block_q8_1RKiEEEvS2_S2_PT_iii.private_seg_size, 0
	.set _ZL13mul_mat_vec_qIfLi32ELi4E10block_q4_1Li2EXadL_ZL17vec_dot_q4_1_q8_1PKvPK10block_q8_1RKiEEEvS2_S2_PT_iii.uses_vcc, 1
	.set _ZL13mul_mat_vec_qIfLi32ELi4E10block_q4_1Li2EXadL_ZL17vec_dot_q4_1_q8_1PKvPK10block_q8_1RKiEEEvS2_S2_PT_iii.uses_flat_scratch, 0
	.set _ZL13mul_mat_vec_qIfLi32ELi4E10block_q4_1Li2EXadL_ZL17vec_dot_q4_1_q8_1PKvPK10block_q8_1RKiEEEvS2_S2_PT_iii.has_dyn_sized_stack, 0
	.set _ZL13mul_mat_vec_qIfLi32ELi4E10block_q4_1Li2EXadL_ZL17vec_dot_q4_1_q8_1PKvPK10block_q8_1RKiEEEvS2_S2_PT_iii.has_recursion, 0
	.set _ZL13mul_mat_vec_qIfLi32ELi4E10block_q4_1Li2EXadL_ZL17vec_dot_q4_1_q8_1PKvPK10block_q8_1RKiEEEvS2_S2_PT_iii.has_indirect_call, 0
	.section	.AMDGPU.csdata,"",@progbits
; Kernel info:
; codeLenInByte = 684
; TotalNumSgprs: 22
; NumVgprs: 24
; NumAgprs: 0
; TotalNumVgprs: 24
; ScratchSize: 0
; MemoryBound: 0
; FloatMode: 240
; IeeeMode: 1
; LDSByteSize: 0 bytes/workgroup (compile time only)
; SGPRBlocks: 2
; VGPRBlocks: 2
; NumSGPRsForWavesPerEU: 22
; NumVGPRsForWavesPerEU: 24
; AccumOffset: 24
; Occupancy: 8
; WaveLimiterHint : 0
; COMPUTE_PGM_RSRC2:SCRATCH_EN: 0
; COMPUTE_PGM_RSRC2:USER_SGPR: 2
; COMPUTE_PGM_RSRC2:TRAP_HANDLER: 0
; COMPUTE_PGM_RSRC2:TGID_X_EN: 1
; COMPUTE_PGM_RSRC2:TGID_Y_EN: 1
; COMPUTE_PGM_RSRC2:TGID_Z_EN: 0
; COMPUTE_PGM_RSRC2:TIDIG_COMP_CNT: 1
; COMPUTE_PGM_RSRC3_GFX90A:ACCUM_OFFSET: 5
; COMPUTE_PGM_RSRC3_GFX90A:TG_SPLIT: 0
	.section	.text._ZL13mul_mat_vec_qIfLi32ELi4E10block_q5_0Li2EXadL_ZL17vec_dot_q5_0_q8_1PKvPK10block_q8_1RKiEEEvS2_S2_PT_iii,"axG",@progbits,_ZL13mul_mat_vec_qIfLi32ELi4E10block_q5_0Li2EXadL_ZL17vec_dot_q5_0_q8_1PKvPK10block_q8_1RKiEEEvS2_S2_PT_iii,comdat
	.globl	_ZL13mul_mat_vec_qIfLi32ELi4E10block_q5_0Li2EXadL_ZL17vec_dot_q5_0_q8_1PKvPK10block_q8_1RKiEEEvS2_S2_PT_iii ; -- Begin function _ZL13mul_mat_vec_qIfLi32ELi4E10block_q5_0Li2EXadL_ZL17vec_dot_q5_0_q8_1PKvPK10block_q8_1RKiEEEvS2_S2_PT_iii
	.p2align	8
	.type	_ZL13mul_mat_vec_qIfLi32ELi4E10block_q5_0Li2EXadL_ZL17vec_dot_q5_0_q8_1PKvPK10block_q8_1RKiEEEvS2_S2_PT_iii,@function
_ZL13mul_mat_vec_qIfLi32ELi4E10block_q5_0Li2EXadL_ZL17vec_dot_q5_0_q8_1PKvPK10block_q8_1RKiEEEvS2_S2_PT_iii: ; @_ZL13mul_mat_vec_qIfLi32ELi4E10block_q5_0Li2EXadL_ZL17vec_dot_q5_0_q8_1PKvPK10block_q8_1RKiEEEvS2_S2_PT_iii
; %bb.0:
	s_load_dword s8, s[0:1], 0x34
	s_load_dwordx4 s[4:7], s[0:1], 0x18
	v_bfe_u32 v1, v0, 10, 10
	s_waitcnt lgkmcnt(0)
	s_lshr_b32 s7, s8, 16
	s_mul_i32 s2, s2, s7
	v_add_u32_e32 v4, s2, v1
	s_cmp_lt_u32 s3, s6
	v_cmp_gt_u32_e32 vcc, s5, v4
	s_cselect_b64 s[6:7], -1, 0
	s_and_b64 s[6:7], s[6:7], vcc
	s_and_saveexec_b64 s[8:9], s[6:7]
	s_cbranch_execz .LBB60_7
; %bb.1:
	s_load_dwordx2 s[6:7], s[0:1], 0x10
	s_ashr_i32 s2, s4, 31
	s_lshr_b32 s2, s2, 27
	s_add_i32 s2, s4, s2
	s_ashr_i32 s2, s2, 5
	v_bfe_u32 v6, v0, 1, 9
	v_and_b32_e32 v5, 0x3ff, v0
	v_cmp_gt_u32_e32 vcc, s2, v6
	v_mov_b32_e32 v7, 0
	s_and_saveexec_b64 s[12:13], vcc
	s_cbranch_execz .LBB60_5
; %bb.2:
	s_load_dwordx4 s[8:11], s[0:1], 0x0
	s_add_i32 s0, s4, 0x1ff
	s_ashr_i32 s1, s0, 31
	s_lshr_b32 s1, s1, 23
	s_add_i32 s0, s0, s1
	s_ashr_i32 s0, s0, 9
	v_lshlrev_b32_e32 v0, 3, v5
	s_mul_i32 s0, s3, s0
	v_and_b32_e32 v0, 8, v0
	v_mov_b32_e32 v1, 0
	v_mul_lo_u32 v8, v4, s2
	s_lshl_b32 s4, s0, 4
	v_or_b32_e32 v9, 4, v0
	s_mov_b64 s[0:1], 0
	v_mov_b32_e32 v3, 0x41000000
	v_mov_b32_e32 v7, v1
.LBB60_3:                               ; =>This Inner Loop Header: Depth=1
	v_add_u32_e32 v2, v8, v6
	s_waitcnt lgkmcnt(0)
	v_mad_i64_i32 v[10:11], s[14:15], v2, 22, s[8:9]
	global_load_dword v2, v[10:11], off offset:2
	v_add_u32_e32 v12, s4, v6
	v_mad_i64_i32 v[12:13], s[14:15], v12, 36, s[10:11]
	v_lshl_add_u64 v[14:15], v[10:11], 0, v[0:1]
	v_lshl_add_u64 v[16:17], v[12:13], 0, v[0:1]
	global_load_dwordx2 v[18:19], v[14:15], off offset:6
	global_load_dwordx2 v[20:21], v[16:17], off offset:4
	;; [unrolled: 1-line block ×3, first 2 shown]
	global_load_dword v24, v[12:13], off
	global_load_ushort v25, v[10:11], off
	v_mov_b32_e32 v12, 0
	v_add_u32_e32 v6, 32, v6
	v_cmp_le_u32_e32 vcc, s2, v6
	s_or_b64 s[0:1], vcc, s[0:1]
	s_waitcnt vmcnt(5)
	v_ashrrev_i32_e32 v13, v0, v2
	v_lshlrev_b32_e32 v15, 4, v13
	v_lshlrev_b32_e32 v16, 11, v13
	v_ashrrev_i32_e32 v2, v9, v2
	s_waitcnt vmcnt(4)
	v_and_b32_e32 v14, 0xf0f0f0f, v18
	s_waitcnt vmcnt(1)
	v_cvt_f32_f16_e32 v10, v24
	v_cvt_f32_f16_sdwa v11, v24 dst_sel:DWORD dst_unused:UNUSED_PAD src0_sel:WORD_1
	v_lshlrev_b32_e32 v17, 18, v13
	v_lshlrev_b32_e32 v24, 25, v13
	v_lshrrev_b32_e32 v26, 12, v13
	v_lshrrev_b32_e32 v27, 5, v13
	v_lshlrev_b32_e32 v28, 2, v13
	v_and_b32_e32 v15, 16, v15
	v_and_b32_e32 v16, 0x1000, v16
	v_lshrrev_b32_e32 v18, 4, v18
	v_lshlrev_b32_e32 v13, 9, v13
	v_lshlrev_b32_e32 v30, 4, v2
	;; [unrolled: 1-line block ×4, first 2 shown]
	v_and_b32_e32 v17, 0x100000, v17
	v_and_b32_e32 v24, 0x10000000, v24
	;; [unrolled: 1-line block ×5, first 2 shown]
	v_or3_b32 v14, v15, v14, v16
	v_lshlrev_b32_e32 v33, 25, v2
	v_lshrrev_b32_e32 v34, 12, v2
	v_lshrrev_b32_e32 v35, 5, v2
	v_lshlrev_b32_e32 v36, 2, v2
	v_and_b32_e32 v18, 0xf0f0f0f, v18
	v_and_b32_e32 v13, 0x10000000, v13
	;; [unrolled: 1-line block ×5, first 2 shown]
	v_or3_b32 v15, v27, v26, v28
	v_or3_b32 v14, v14, v17, v24
	v_and_b32_e32 v29, 0xf0f0f0f, v19
	v_lshrrev_b32_e32 v19, 4, v19
	v_lshlrev_b32_e32 v2, 9, v2
	v_and_b32_e32 v33, 0x10000000, v33
	v_and_b32_e32 v34, 16, v34
	;; [unrolled: 1-line block ×4, first 2 shown]
	v_or3_b32 v16, v31, v30, v32
	v_or3_b32 v13, v15, v13, v18
	v_dot4c_i32_i8_e32 v12, v14, v20
	v_and_b32_e32 v19, 0xf0f0f0f, v19
	v_and_b32_e32 v2, 0x10000000, v2
	v_or3_b32 v26, v35, v34, v36
	v_or3_b32 v15, v16, v33, v29
	v_dot4c_i32_i8_e32 v12, v13, v22
	v_or3_b32 v2, v26, v2, v19
	v_dot4c_i32_i8_e32 v12, v15, v21
	v_dot4c_i32_i8_e32 v12, v2, v23
	s_nop 2
	v_cvt_f32_i32_e32 v2, v12
	v_pk_mul_f32 v[10:11], v[2:3], v[10:11]
	s_nop 0
	v_sub_f32_e32 v2, v10, v11
	s_waitcnt vmcnt(0)
	v_fma_mix_f32 v7, v2, v25, v7 op_sel_hi:[0,1,0]
	s_andn2_b64 exec, exec, s[0:1]
	s_cbranch_execnz .LBB60_3
; %bb.4:
	s_or_b64 exec, exec, s[0:1]
.LBB60_5:
	s_or_b64 exec, exec, s[12:13]
	v_mbcnt_lo_u32_b32 v0, -1, 0
	v_mbcnt_hi_u32_b32 v1, -1, v0
	v_and_b32_e32 v0, 64, v1
	v_add_u32_e32 v2, 64, v0
	v_xor_b32_e32 v0, 32, v1
	v_cmp_lt_i32_e32 vcc, v0, v2
	v_xor_b32_e32 v3, 16, v1
	v_xor_b32_e32 v6, 8, v1
	v_cndmask_b32_e32 v0, v1, v0, vcc
	v_lshlrev_b32_e32 v0, 2, v0
	ds_bpermute_b32 v0, v0, v7
	v_cmp_lt_i32_e32 vcc, v3, v2
	s_waitcnt lgkmcnt(0)
	v_add_f32_e32 v0, v7, v0
	v_cndmask_b32_e32 v3, v1, v3, vcc
	v_lshlrev_b32_e32 v3, 2, v3
	ds_bpermute_b32 v3, v3, v0
	v_cmp_lt_i32_e32 vcc, v6, v2
	s_waitcnt lgkmcnt(0)
	v_add_f32_e32 v0, v0, v3
	v_cndmask_b32_e32 v3, v1, v6, vcc
	v_lshlrev_b32_e32 v3, 2, v3
	ds_bpermute_b32 v3, v3, v0
	v_xor_b32_e32 v6, 4, v1
	v_cmp_lt_i32_e32 vcc, v6, v2
	s_waitcnt lgkmcnt(0)
	v_add_f32_e32 v0, v0, v3
	v_cndmask_b32_e32 v3, v1, v6, vcc
	v_lshlrev_b32_e32 v3, 2, v3
	ds_bpermute_b32 v3, v3, v0
	v_xor_b32_e32 v6, 2, v1
	;; [unrolled: 7-line block ×3, first 2 shown]
	v_cmp_lt_i32_e32 vcc, v6, v2
	s_waitcnt lgkmcnt(0)
	v_add_f32_e32 v0, v0, v3
	v_cndmask_b32_e32 v1, v1, v6, vcc
	v_lshlrev_b32_e32 v1, 2, v1
	ds_bpermute_b32 v1, v1, v0
	v_cmp_eq_u32_e32 vcc, 0, v5
	s_and_b64 exec, exec, vcc
	s_cbranch_execz .LBB60_7
; %bb.6:
	s_mul_i32 s0, s5, s3
	s_waitcnt lgkmcnt(0)
	v_add_f32_e32 v2, v0, v1
	v_add_u32_e32 v0, s0, v4
	v_mov_b32_e32 v1, 0
	v_lshl_add_u64 v[0:1], v[0:1], 2, s[6:7]
	global_store_dword v[0:1], v2, off
.LBB60_7:
	s_endpgm
	.section	.rodata,"a",@progbits
	.p2align	6, 0x0
	.amdhsa_kernel _ZL13mul_mat_vec_qIfLi32ELi4E10block_q5_0Li2EXadL_ZL17vec_dot_q5_0_q8_1PKvPK10block_q8_1RKiEEEvS2_S2_PT_iii
		.amdhsa_group_segment_fixed_size 0
		.amdhsa_private_segment_fixed_size 0
		.amdhsa_kernarg_size 296
		.amdhsa_user_sgpr_count 2
		.amdhsa_user_sgpr_dispatch_ptr 0
		.amdhsa_user_sgpr_queue_ptr 0
		.amdhsa_user_sgpr_kernarg_segment_ptr 1
		.amdhsa_user_sgpr_dispatch_id 0
		.amdhsa_user_sgpr_kernarg_preload_length 0
		.amdhsa_user_sgpr_kernarg_preload_offset 0
		.amdhsa_user_sgpr_private_segment_size 0
		.amdhsa_uses_dynamic_stack 0
		.amdhsa_enable_private_segment 0
		.amdhsa_system_sgpr_workgroup_id_x 1
		.amdhsa_system_sgpr_workgroup_id_y 1
		.amdhsa_system_sgpr_workgroup_id_z 0
		.amdhsa_system_sgpr_workgroup_info 0
		.amdhsa_system_vgpr_workitem_id 1
		.amdhsa_next_free_vgpr 37
		.amdhsa_next_free_sgpr 16
		.amdhsa_accum_offset 40
		.amdhsa_reserve_vcc 1
		.amdhsa_float_round_mode_32 0
		.amdhsa_float_round_mode_16_64 0
		.amdhsa_float_denorm_mode_32 3
		.amdhsa_float_denorm_mode_16_64 3
		.amdhsa_dx10_clamp 1
		.amdhsa_ieee_mode 1
		.amdhsa_fp16_overflow 0
		.amdhsa_tg_split 0
		.amdhsa_exception_fp_ieee_invalid_op 0
		.amdhsa_exception_fp_denorm_src 0
		.amdhsa_exception_fp_ieee_div_zero 0
		.amdhsa_exception_fp_ieee_overflow 0
		.amdhsa_exception_fp_ieee_underflow 0
		.amdhsa_exception_fp_ieee_inexact 0
		.amdhsa_exception_int_div_zero 0
	.end_amdhsa_kernel
	.section	.text._ZL13mul_mat_vec_qIfLi32ELi4E10block_q5_0Li2EXadL_ZL17vec_dot_q5_0_q8_1PKvPK10block_q8_1RKiEEEvS2_S2_PT_iii,"axG",@progbits,_ZL13mul_mat_vec_qIfLi32ELi4E10block_q5_0Li2EXadL_ZL17vec_dot_q5_0_q8_1PKvPK10block_q8_1RKiEEEvS2_S2_PT_iii,comdat
.Lfunc_end60:
	.size	_ZL13mul_mat_vec_qIfLi32ELi4E10block_q5_0Li2EXadL_ZL17vec_dot_q5_0_q8_1PKvPK10block_q8_1RKiEEEvS2_S2_PT_iii, .Lfunc_end60-_ZL13mul_mat_vec_qIfLi32ELi4E10block_q5_0Li2EXadL_ZL17vec_dot_q5_0_q8_1PKvPK10block_q8_1RKiEEEvS2_S2_PT_iii
                                        ; -- End function
	.set _ZL13mul_mat_vec_qIfLi32ELi4E10block_q5_0Li2EXadL_ZL17vec_dot_q5_0_q8_1PKvPK10block_q8_1RKiEEEvS2_S2_PT_iii.num_vgpr, 37
	.set _ZL13mul_mat_vec_qIfLi32ELi4E10block_q5_0Li2EXadL_ZL17vec_dot_q5_0_q8_1PKvPK10block_q8_1RKiEEEvS2_S2_PT_iii.num_agpr, 0
	.set _ZL13mul_mat_vec_qIfLi32ELi4E10block_q5_0Li2EXadL_ZL17vec_dot_q5_0_q8_1PKvPK10block_q8_1RKiEEEvS2_S2_PT_iii.numbered_sgpr, 16
	.set _ZL13mul_mat_vec_qIfLi32ELi4E10block_q5_0Li2EXadL_ZL17vec_dot_q5_0_q8_1PKvPK10block_q8_1RKiEEEvS2_S2_PT_iii.num_named_barrier, 0
	.set _ZL13mul_mat_vec_qIfLi32ELi4E10block_q5_0Li2EXadL_ZL17vec_dot_q5_0_q8_1PKvPK10block_q8_1RKiEEEvS2_S2_PT_iii.private_seg_size, 0
	.set _ZL13mul_mat_vec_qIfLi32ELi4E10block_q5_0Li2EXadL_ZL17vec_dot_q5_0_q8_1PKvPK10block_q8_1RKiEEEvS2_S2_PT_iii.uses_vcc, 1
	.set _ZL13mul_mat_vec_qIfLi32ELi4E10block_q5_0Li2EXadL_ZL17vec_dot_q5_0_q8_1PKvPK10block_q8_1RKiEEEvS2_S2_PT_iii.uses_flat_scratch, 0
	.set _ZL13mul_mat_vec_qIfLi32ELi4E10block_q5_0Li2EXadL_ZL17vec_dot_q5_0_q8_1PKvPK10block_q8_1RKiEEEvS2_S2_PT_iii.has_dyn_sized_stack, 0
	.set _ZL13mul_mat_vec_qIfLi32ELi4E10block_q5_0Li2EXadL_ZL17vec_dot_q5_0_q8_1PKvPK10block_q8_1RKiEEEvS2_S2_PT_iii.has_recursion, 0
	.set _ZL13mul_mat_vec_qIfLi32ELi4E10block_q5_0Li2EXadL_ZL17vec_dot_q5_0_q8_1PKvPK10block_q8_1RKiEEEvS2_S2_PT_iii.has_indirect_call, 0
	.section	.AMDGPU.csdata,"",@progbits
; Kernel info:
; codeLenInByte = 948
; TotalNumSgprs: 22
; NumVgprs: 37
; NumAgprs: 0
; TotalNumVgprs: 37
; ScratchSize: 0
; MemoryBound: 0
; FloatMode: 240
; IeeeMode: 1
; LDSByteSize: 0 bytes/workgroup (compile time only)
; SGPRBlocks: 2
; VGPRBlocks: 4
; NumSGPRsForWavesPerEU: 22
; NumVGPRsForWavesPerEU: 37
; AccumOffset: 40
; Occupancy: 8
; WaveLimiterHint : 0
; COMPUTE_PGM_RSRC2:SCRATCH_EN: 0
; COMPUTE_PGM_RSRC2:USER_SGPR: 2
; COMPUTE_PGM_RSRC2:TRAP_HANDLER: 0
; COMPUTE_PGM_RSRC2:TGID_X_EN: 1
; COMPUTE_PGM_RSRC2:TGID_Y_EN: 1
; COMPUTE_PGM_RSRC2:TGID_Z_EN: 0
; COMPUTE_PGM_RSRC2:TIDIG_COMP_CNT: 1
; COMPUTE_PGM_RSRC3_GFX90A:ACCUM_OFFSET: 9
; COMPUTE_PGM_RSRC3_GFX90A:TG_SPLIT: 0
	.section	.text._ZL13mul_mat_vec_qIfLi32ELi4E10block_q5_1Li2EXadL_ZL17vec_dot_q5_1_q8_1PKvPK10block_q8_1RKiEEEvS2_S2_PT_iii,"axG",@progbits,_ZL13mul_mat_vec_qIfLi32ELi4E10block_q5_1Li2EXadL_ZL17vec_dot_q5_1_q8_1PKvPK10block_q8_1RKiEEEvS2_S2_PT_iii,comdat
	.globl	_ZL13mul_mat_vec_qIfLi32ELi4E10block_q5_1Li2EXadL_ZL17vec_dot_q5_1_q8_1PKvPK10block_q8_1RKiEEEvS2_S2_PT_iii ; -- Begin function _ZL13mul_mat_vec_qIfLi32ELi4E10block_q5_1Li2EXadL_ZL17vec_dot_q5_1_q8_1PKvPK10block_q8_1RKiEEEvS2_S2_PT_iii
	.p2align	8
	.type	_ZL13mul_mat_vec_qIfLi32ELi4E10block_q5_1Li2EXadL_ZL17vec_dot_q5_1_q8_1PKvPK10block_q8_1RKiEEEvS2_S2_PT_iii,@function
_ZL13mul_mat_vec_qIfLi32ELi4E10block_q5_1Li2EXadL_ZL17vec_dot_q5_1_q8_1PKvPK10block_q8_1RKiEEEvS2_S2_PT_iii: ; @_ZL13mul_mat_vec_qIfLi32ELi4E10block_q5_1Li2EXadL_ZL17vec_dot_q5_1_q8_1PKvPK10block_q8_1RKiEEEvS2_S2_PT_iii
; %bb.0:
	s_load_dword s8, s[0:1], 0x34
	s_load_dwordx4 s[4:7], s[0:1], 0x18
	v_bfe_u32 v1, v0, 10, 10
	s_waitcnt lgkmcnt(0)
	s_lshr_b32 s7, s8, 16
	s_mul_i32 s2, s2, s7
	v_add_u32_e32 v4, s2, v1
	s_cmp_lt_u32 s3, s6
	v_cmp_gt_u32_e32 vcc, s5, v4
	s_cselect_b64 s[6:7], -1, 0
	s_and_b64 s[6:7], s[6:7], vcc
	s_and_saveexec_b64 s[8:9], s[6:7]
	s_cbranch_execz .LBB61_7
; %bb.1:
	s_load_dwordx2 s[6:7], s[0:1], 0x10
	s_ashr_i32 s2, s4, 31
	s_lshr_b32 s2, s2, 27
	s_add_i32 s2, s4, s2
	s_ashr_i32 s2, s2, 5
	v_bfe_u32 v6, v0, 1, 9
	v_and_b32_e32 v5, 0x3ff, v0
	v_cmp_gt_u32_e32 vcc, s2, v6
	v_mov_b32_e32 v7, 0
	s_and_saveexec_b64 s[12:13], vcc
	s_cbranch_execz .LBB61_5
; %bb.2:
	s_load_dwordx4 s[8:11], s[0:1], 0x0
	s_add_i32 s0, s4, 0x1ff
	s_ashr_i32 s1, s0, 31
	s_lshr_b32 s1, s1, 23
	s_add_i32 s0, s0, s1
	s_ashr_i32 s0, s0, 9
	v_lshlrev_b32_e32 v0, 3, v5
	s_mul_i32 s0, s3, s0
	v_and_b32_e32 v0, 8, v0
	v_mov_b32_e32 v1, 0
	v_mul_lo_u32 v8, v4, s2
	s_lshl_b32 s4, s0, 4
	v_or_b32_e32 v9, 4, v0
	s_mov_b64 s[0:1], 0
	v_mov_b32_e32 v3, 0.5
	v_mov_b32_e32 v7, v1
.LBB61_3:                               ; =>This Inner Loop Header: Depth=1
	v_add_u32_e32 v2, v8, v6
	v_add_u32_e32 v12, s4, v6
	s_waitcnt lgkmcnt(0)
	v_mad_i64_i32 v[10:11], s[14:15], v2, 24, s[8:9]
	v_mad_i64_i32 v[12:13], s[14:15], v12, 36, s[10:11]
	global_load_dwordx2 v[14:15], v[10:11], off
	v_lshl_add_u64 v[10:11], v[10:11], 0, v[0:1]
	v_lshl_add_u64 v[16:17], v[12:13], 0, v[0:1]
	global_load_dwordx2 v[18:19], v[10:11], off offset:8
	global_load_dwordx2 v[20:21], v[16:17], off offset:4
	;; [unrolled: 1-line block ×3, first 2 shown]
	global_load_dword v2, v[12:13], off
	v_mov_b32_e32 v12, 0
	v_add_u32_e32 v6, 32, v6
	v_cmp_le_u32_e32 vcc, s2, v6
	s_or_b64 s[0:1], vcc, s[0:1]
	s_waitcnt vmcnt(3)
	v_and_b32_e32 v13, 0xf0f0f0f, v18
	v_ashrrev_i32_e32 v10, v0, v15
	v_ashrrev_i32_e32 v11, v9, v15
	s_waitcnt vmcnt(0)
	v_pk_mul_f16 v2, v14, v2
	v_lshlrev_b32_e32 v14, 4, v10
	v_lshlrev_b32_e32 v15, 11, v10
	;; [unrolled: 1-line block ×4, first 2 shown]
	v_lshrrev_b32_e32 v18, 4, v18
	v_lshrrev_b32_e32 v24, 12, v10
	;; [unrolled: 1-line block ×3, first 2 shown]
	v_lshlrev_b32_e32 v26, 2, v10
	v_lshlrev_b32_e32 v27, 9, v10
	;; [unrolled: 1-line block ×6, first 2 shown]
	v_lshrrev_b32_e32 v33, 12, v11
	v_lshrrev_b32_e32 v34, 5, v11
	v_lshlrev_b32_e32 v35, 2, v11
	v_lshlrev_b32_e32 v36, 9, v11
	v_cvt_f32_f16_e32 v10, v2
	v_cvt_f32_f16_sdwa v11, v2 dst_sel:DWORD dst_unused:UNUSED_PAD src0_sel:WORD_1
	v_and_b32_e32 v2, 16, v14
	v_and_b32_e32 v14, 0x1000, v15
	v_and_b32_e32 v15, 0x100000, v16
	v_and_b32_e32 v16, 0x10000000, v17
	v_and_b32_e32 v17, 0xf0f0f0f, v18
	v_and_b32_e32 v18, 16, v24
	v_and_b32_e32 v24, 0x1000, v25
	v_and_b32_e32 v25, 0x100000, v26
	v_or3_b32 v2, v2, v13, v14
	v_and_b32_e32 v26, 0x10000000, v27
	v_and_b32_e32 v27, 16, v29
	;; [unrolled: 1-line block ×4, first 2 shown]
	v_or3_b32 v13, v24, v18, v25
	v_or3_b32 v2, v2, v15, v16
	v_and_b32_e32 v28, 0xf0f0f0f, v19
	v_lshrrev_b32_e32 v19, 4, v19
	v_and_b32_e32 v31, 0x10000000, v32
	v_and_b32_e32 v32, 16, v33
	v_and_b32_e32 v33, 0x1000, v34
	v_and_b32_e32 v34, 0x100000, v35
	v_or3_b32 v14, v29, v27, v30
	v_or3_b32 v13, v13, v26, v17
	v_dot4c_i32_i8_e32 v12, v2, v20
	v_and_b32_e32 v19, 0xf0f0f0f, v19
	v_and_b32_e32 v35, 0x10000000, v36
	v_or3_b32 v18, v33, v32, v34
	v_or3_b32 v14, v14, v31, v28
	v_dot4c_i32_i8_e32 v12, v13, v22
	v_or3_b32 v15, v18, v35, v19
	v_dot4c_i32_i8_e32 v12, v14, v21
	v_dot4c_i32_i8_e32 v12, v15, v23
	s_nop 2
	v_cvt_f32_i32_e32 v2, v12
	v_pk_mul_f32 v[10:11], v[2:3], v[10:11]
	s_nop 0
	v_add_f32_e32 v2, v11, v10
	v_add_f32_e32 v7, v7, v2
	s_andn2_b64 exec, exec, s[0:1]
	s_cbranch_execnz .LBB61_3
; %bb.4:
	s_or_b64 exec, exec, s[0:1]
.LBB61_5:
	s_or_b64 exec, exec, s[12:13]
	v_mbcnt_lo_u32_b32 v0, -1, 0
	v_mbcnt_hi_u32_b32 v1, -1, v0
	v_and_b32_e32 v0, 64, v1
	v_add_u32_e32 v2, 64, v0
	v_xor_b32_e32 v0, 32, v1
	v_cmp_lt_i32_e32 vcc, v0, v2
	v_xor_b32_e32 v3, 16, v1
	v_xor_b32_e32 v6, 8, v1
	v_cndmask_b32_e32 v0, v1, v0, vcc
	v_lshlrev_b32_e32 v0, 2, v0
	ds_bpermute_b32 v0, v0, v7
	v_cmp_lt_i32_e32 vcc, v3, v2
	s_waitcnt lgkmcnt(0)
	v_add_f32_e32 v0, v7, v0
	v_cndmask_b32_e32 v3, v1, v3, vcc
	v_lshlrev_b32_e32 v3, 2, v3
	ds_bpermute_b32 v3, v3, v0
	v_cmp_lt_i32_e32 vcc, v6, v2
	s_waitcnt lgkmcnt(0)
	v_add_f32_e32 v0, v0, v3
	v_cndmask_b32_e32 v3, v1, v6, vcc
	v_lshlrev_b32_e32 v3, 2, v3
	ds_bpermute_b32 v3, v3, v0
	v_xor_b32_e32 v6, 4, v1
	v_cmp_lt_i32_e32 vcc, v6, v2
	s_waitcnt lgkmcnt(0)
	v_add_f32_e32 v0, v0, v3
	v_cndmask_b32_e32 v3, v1, v6, vcc
	v_lshlrev_b32_e32 v3, 2, v3
	ds_bpermute_b32 v3, v3, v0
	v_xor_b32_e32 v6, 2, v1
	;; [unrolled: 7-line block ×3, first 2 shown]
	v_cmp_lt_i32_e32 vcc, v6, v2
	s_waitcnt lgkmcnt(0)
	v_add_f32_e32 v0, v0, v3
	v_cndmask_b32_e32 v1, v1, v6, vcc
	v_lshlrev_b32_e32 v1, 2, v1
	ds_bpermute_b32 v1, v1, v0
	v_cmp_eq_u32_e32 vcc, 0, v5
	s_and_b64 exec, exec, vcc
	s_cbranch_execz .LBB61_7
; %bb.6:
	s_mul_i32 s0, s5, s3
	s_waitcnt lgkmcnt(0)
	v_add_f32_e32 v2, v0, v1
	v_add_u32_e32 v0, s0, v4
	v_mov_b32_e32 v1, 0
	v_lshl_add_u64 v[0:1], v[0:1], 2, s[6:7]
	global_store_dword v[0:1], v2, off
.LBB61_7:
	s_endpgm
	.section	.rodata,"a",@progbits
	.p2align	6, 0x0
	.amdhsa_kernel _ZL13mul_mat_vec_qIfLi32ELi4E10block_q5_1Li2EXadL_ZL17vec_dot_q5_1_q8_1PKvPK10block_q8_1RKiEEEvS2_S2_PT_iii
		.amdhsa_group_segment_fixed_size 0
		.amdhsa_private_segment_fixed_size 0
		.amdhsa_kernarg_size 296
		.amdhsa_user_sgpr_count 2
		.amdhsa_user_sgpr_dispatch_ptr 0
		.amdhsa_user_sgpr_queue_ptr 0
		.amdhsa_user_sgpr_kernarg_segment_ptr 1
		.amdhsa_user_sgpr_dispatch_id 0
		.amdhsa_user_sgpr_kernarg_preload_length 0
		.amdhsa_user_sgpr_kernarg_preload_offset 0
		.amdhsa_user_sgpr_private_segment_size 0
		.amdhsa_uses_dynamic_stack 0
		.amdhsa_enable_private_segment 0
		.amdhsa_system_sgpr_workgroup_id_x 1
		.amdhsa_system_sgpr_workgroup_id_y 1
		.amdhsa_system_sgpr_workgroup_id_z 0
		.amdhsa_system_sgpr_workgroup_info 0
		.amdhsa_system_vgpr_workitem_id 1
		.amdhsa_next_free_vgpr 37
		.amdhsa_next_free_sgpr 16
		.amdhsa_accum_offset 40
		.amdhsa_reserve_vcc 1
		.amdhsa_float_round_mode_32 0
		.amdhsa_float_round_mode_16_64 0
		.amdhsa_float_denorm_mode_32 3
		.amdhsa_float_denorm_mode_16_64 3
		.amdhsa_dx10_clamp 1
		.amdhsa_ieee_mode 1
		.amdhsa_fp16_overflow 0
		.amdhsa_tg_split 0
		.amdhsa_exception_fp_ieee_invalid_op 0
		.amdhsa_exception_fp_denorm_src 0
		.amdhsa_exception_fp_ieee_div_zero 0
		.amdhsa_exception_fp_ieee_overflow 0
		.amdhsa_exception_fp_ieee_underflow 0
		.amdhsa_exception_fp_ieee_inexact 0
		.amdhsa_exception_int_div_zero 0
	.end_amdhsa_kernel
	.section	.text._ZL13mul_mat_vec_qIfLi32ELi4E10block_q5_1Li2EXadL_ZL17vec_dot_q5_1_q8_1PKvPK10block_q8_1RKiEEEvS2_S2_PT_iii,"axG",@progbits,_ZL13mul_mat_vec_qIfLi32ELi4E10block_q5_1Li2EXadL_ZL17vec_dot_q5_1_q8_1PKvPK10block_q8_1RKiEEEvS2_S2_PT_iii,comdat
.Lfunc_end61:
	.size	_ZL13mul_mat_vec_qIfLi32ELi4E10block_q5_1Li2EXadL_ZL17vec_dot_q5_1_q8_1PKvPK10block_q8_1RKiEEEvS2_S2_PT_iii, .Lfunc_end61-_ZL13mul_mat_vec_qIfLi32ELi4E10block_q5_1Li2EXadL_ZL17vec_dot_q5_1_q8_1PKvPK10block_q8_1RKiEEEvS2_S2_PT_iii
                                        ; -- End function
	.set _ZL13mul_mat_vec_qIfLi32ELi4E10block_q5_1Li2EXadL_ZL17vec_dot_q5_1_q8_1PKvPK10block_q8_1RKiEEEvS2_S2_PT_iii.num_vgpr, 37
	.set _ZL13mul_mat_vec_qIfLi32ELi4E10block_q5_1Li2EXadL_ZL17vec_dot_q5_1_q8_1PKvPK10block_q8_1RKiEEEvS2_S2_PT_iii.num_agpr, 0
	.set _ZL13mul_mat_vec_qIfLi32ELi4E10block_q5_1Li2EXadL_ZL17vec_dot_q5_1_q8_1PKvPK10block_q8_1RKiEEEvS2_S2_PT_iii.numbered_sgpr, 16
	.set _ZL13mul_mat_vec_qIfLi32ELi4E10block_q5_1Li2EXadL_ZL17vec_dot_q5_1_q8_1PKvPK10block_q8_1RKiEEEvS2_S2_PT_iii.num_named_barrier, 0
	.set _ZL13mul_mat_vec_qIfLi32ELi4E10block_q5_1Li2EXadL_ZL17vec_dot_q5_1_q8_1PKvPK10block_q8_1RKiEEEvS2_S2_PT_iii.private_seg_size, 0
	.set _ZL13mul_mat_vec_qIfLi32ELi4E10block_q5_1Li2EXadL_ZL17vec_dot_q5_1_q8_1PKvPK10block_q8_1RKiEEEvS2_S2_PT_iii.uses_vcc, 1
	.set _ZL13mul_mat_vec_qIfLi32ELi4E10block_q5_1Li2EXadL_ZL17vec_dot_q5_1_q8_1PKvPK10block_q8_1RKiEEEvS2_S2_PT_iii.uses_flat_scratch, 0
	.set _ZL13mul_mat_vec_qIfLi32ELi4E10block_q5_1Li2EXadL_ZL17vec_dot_q5_1_q8_1PKvPK10block_q8_1RKiEEEvS2_S2_PT_iii.has_dyn_sized_stack, 0
	.set _ZL13mul_mat_vec_qIfLi32ELi4E10block_q5_1Li2EXadL_ZL17vec_dot_q5_1_q8_1PKvPK10block_q8_1RKiEEEvS2_S2_PT_iii.has_recursion, 0
	.set _ZL13mul_mat_vec_qIfLi32ELi4E10block_q5_1Li2EXadL_ZL17vec_dot_q5_1_q8_1PKvPK10block_q8_1RKiEEEvS2_S2_PT_iii.has_indirect_call, 0
	.section	.AMDGPU.csdata,"",@progbits
; Kernel info:
; codeLenInByte = 932
; TotalNumSgprs: 22
; NumVgprs: 37
; NumAgprs: 0
; TotalNumVgprs: 37
; ScratchSize: 0
; MemoryBound: 0
; FloatMode: 240
; IeeeMode: 1
; LDSByteSize: 0 bytes/workgroup (compile time only)
; SGPRBlocks: 2
; VGPRBlocks: 4
; NumSGPRsForWavesPerEU: 22
; NumVGPRsForWavesPerEU: 37
; AccumOffset: 40
; Occupancy: 8
; WaveLimiterHint : 0
; COMPUTE_PGM_RSRC2:SCRATCH_EN: 0
; COMPUTE_PGM_RSRC2:USER_SGPR: 2
; COMPUTE_PGM_RSRC2:TRAP_HANDLER: 0
; COMPUTE_PGM_RSRC2:TGID_X_EN: 1
; COMPUTE_PGM_RSRC2:TGID_Y_EN: 1
; COMPUTE_PGM_RSRC2:TGID_Z_EN: 0
; COMPUTE_PGM_RSRC2:TIDIG_COMP_CNT: 1
; COMPUTE_PGM_RSRC3_GFX90A:ACCUM_OFFSET: 9
; COMPUTE_PGM_RSRC3_GFX90A:TG_SPLIT: 0
	.section	.text._ZL13mul_mat_vec_qIfLi32ELi8E10block_q8_0Li2EXadL_ZL17vec_dot_q8_0_q8_1PKvPK10block_q8_1RKiEEEvS2_S2_PT_iii,"axG",@progbits,_ZL13mul_mat_vec_qIfLi32ELi8E10block_q8_0Li2EXadL_ZL17vec_dot_q8_0_q8_1PKvPK10block_q8_1RKiEEEvS2_S2_PT_iii,comdat
	.globl	_ZL13mul_mat_vec_qIfLi32ELi8E10block_q8_0Li2EXadL_ZL17vec_dot_q8_0_q8_1PKvPK10block_q8_1RKiEEEvS2_S2_PT_iii ; -- Begin function _ZL13mul_mat_vec_qIfLi32ELi8E10block_q8_0Li2EXadL_ZL17vec_dot_q8_0_q8_1PKvPK10block_q8_1RKiEEEvS2_S2_PT_iii
	.p2align	8
	.type	_ZL13mul_mat_vec_qIfLi32ELi8E10block_q8_0Li2EXadL_ZL17vec_dot_q8_0_q8_1PKvPK10block_q8_1RKiEEEvS2_S2_PT_iii,@function
_ZL13mul_mat_vec_qIfLi32ELi8E10block_q8_0Li2EXadL_ZL17vec_dot_q8_0_q8_1PKvPK10block_q8_1RKiEEEvS2_S2_PT_iii: ; @_ZL13mul_mat_vec_qIfLi32ELi8E10block_q8_0Li2EXadL_ZL17vec_dot_q8_0_q8_1PKvPK10block_q8_1RKiEEEvS2_S2_PT_iii
; %bb.0:
	s_load_dword s8, s[0:1], 0x34
	s_load_dwordx4 s[4:7], s[0:1], 0x18
	v_bfe_u32 v1, v0, 10, 10
	s_waitcnt lgkmcnt(0)
	s_lshr_b32 s7, s8, 16
	s_mul_i32 s2, s2, s7
	v_add_u32_e32 v2, s2, v1
	s_cmp_lt_u32 s3, s6
	v_cmp_gt_u32_e32 vcc, s5, v2
	s_cselect_b64 s[6:7], -1, 0
	s_and_b64 s[6:7], s[6:7], vcc
	s_and_saveexec_b64 s[8:9], s[6:7]
	s_cbranch_execz .LBB62_7
; %bb.1:
	s_load_dwordx2 s[6:7], s[0:1], 0x10
	s_ashr_i32 s2, s4, 31
	s_lshr_b32 s2, s2, 27
	s_add_i32 s2, s4, s2
	s_ashr_i32 s2, s2, 5
	v_bfe_u32 v5, v0, 2, 8
	v_and_b32_e32 v3, 0x3ff, v0
	v_cmp_gt_u32_e32 vcc, s2, v5
	v_mov_b32_e32 v4, 0
	s_and_saveexec_b64 s[12:13], vcc
	s_cbranch_execz .LBB62_5
; %bb.2:
	s_load_dwordx4 s[8:11], s[0:1], 0x0
	s_add_i32 s0, s4, 0x1ff
	s_ashr_i32 s1, s0, 31
	s_lshr_b32 s1, s1, 23
	s_add_i32 s0, s0, s1
	s_ashr_i32 s0, s0, 9
	s_mul_i32 s0, s3, s0
	v_lshlrev_b32_e32 v0, 3, v3
	v_mov_b32_e32 v1, 0
	v_mul_lo_u32 v6, v2, s2
	s_lshl_b32 s4, s0, 4
	v_and_b32_e32 v0, 24, v0
	s_mov_b64 s[0:1], 0
	v_mov_b32_e32 v4, v1
.LBB62_3:                               ; =>This Inner Loop Header: Depth=1
	v_add_u32_e32 v7, v6, v5
	v_add_u32_e32 v10, s4, v5
	s_waitcnt lgkmcnt(0)
	v_mad_i64_i32 v[8:9], s[14:15], v7, 34, s[8:9]
	v_mad_i64_i32 v[10:11], s[14:15], v10, 36, s[10:11]
	v_lshl_add_u64 v[12:13], v[8:9], 0, v[0:1]
	v_lshl_add_u64 v[14:15], v[10:11], 0, v[0:1]
	global_load_ushort v7, v[8:9], off
	global_load_dwordx2 v[16:17], v[12:13], off offset:2
	global_load_dwordx2 v[18:19], v[14:15], off offset:4
	global_load_dword v20, v[10:11], off
	v_mov_b32_e32 v8, 0
	v_add_u32_e32 v5, 16, v5
	v_cmp_le_u32_e32 vcc, s2, v5
	s_or_b64 s[0:1], vcc, s[0:1]
	s_waitcnt vmcnt(3)
	v_cvt_f32_f16_e32 v7, v7
	s_waitcnt vmcnt(1)
	v_dot4c_i32_i8_e32 v8, v16, v18
	s_waitcnt vmcnt(0)
	v_cvt_f32_f16_e32 v9, v20
	v_dot4c_i32_i8_e32 v8, v17, v19
	v_mul_f32_e32 v7, v7, v9
	s_nop 1
	v_cvt_f32_i32_e32 v8, v8
	v_fmac_f32_e32 v4, v7, v8
	s_andn2_b64 exec, exec, s[0:1]
	s_cbranch_execnz .LBB62_3
; %bb.4:
	s_or_b64 exec, exec, s[0:1]
.LBB62_5:
	s_or_b64 exec, exec, s[12:13]
	v_mbcnt_lo_u32_b32 v0, -1, 0
	v_mbcnt_hi_u32_b32 v1, -1, v0
	v_and_b32_e32 v0, 64, v1
	v_add_u32_e32 v5, 64, v0
	v_xor_b32_e32 v0, 32, v1
	v_cmp_lt_i32_e32 vcc, v0, v5
	v_xor_b32_e32 v6, 16, v1
	s_nop 0
	v_cndmask_b32_e32 v0, v1, v0, vcc
	v_lshlrev_b32_e32 v0, 2, v0
	ds_bpermute_b32 v0, v0, v4
	v_cmp_lt_i32_e32 vcc, v6, v5
	s_waitcnt lgkmcnt(0)
	v_add_f32_e32 v0, v4, v0
	v_cndmask_b32_e32 v4, v1, v6, vcc
	v_lshlrev_b32_e32 v4, 2, v4
	ds_bpermute_b32 v4, v4, v0
	v_xor_b32_e32 v6, 8, v1
	v_cmp_lt_i32_e32 vcc, v6, v5
	s_waitcnt lgkmcnt(0)
	v_add_f32_e32 v0, v0, v4
	v_cndmask_b32_e32 v4, v1, v6, vcc
	v_lshlrev_b32_e32 v4, 2, v4
	ds_bpermute_b32 v4, v4, v0
	v_xor_b32_e32 v6, 4, v1
	;; [unrolled: 7-line block ×4, first 2 shown]
	v_cmp_lt_i32_e32 vcc, v6, v5
	s_waitcnt lgkmcnt(0)
	v_add_f32_e32 v0, v0, v4
	v_cndmask_b32_e32 v1, v1, v6, vcc
	v_lshlrev_b32_e32 v1, 2, v1
	ds_bpermute_b32 v1, v1, v0
	v_cmp_eq_u32_e32 vcc, 0, v3
	s_and_b64 exec, exec, vcc
	s_cbranch_execz .LBB62_7
; %bb.6:
	s_mul_i32 s0, s5, s3
	s_waitcnt lgkmcnt(0)
	v_add_f32_e32 v3, v0, v1
	v_add_u32_e32 v0, s0, v2
	v_mov_b32_e32 v1, 0
	v_lshl_add_u64 v[0:1], v[0:1], 2, s[6:7]
	global_store_dword v[0:1], v3, off
.LBB62_7:
	s_endpgm
	.section	.rodata,"a",@progbits
	.p2align	6, 0x0
	.amdhsa_kernel _ZL13mul_mat_vec_qIfLi32ELi8E10block_q8_0Li2EXadL_ZL17vec_dot_q8_0_q8_1PKvPK10block_q8_1RKiEEEvS2_S2_PT_iii
		.amdhsa_group_segment_fixed_size 0
		.amdhsa_private_segment_fixed_size 0
		.amdhsa_kernarg_size 296
		.amdhsa_user_sgpr_count 2
		.amdhsa_user_sgpr_dispatch_ptr 0
		.amdhsa_user_sgpr_queue_ptr 0
		.amdhsa_user_sgpr_kernarg_segment_ptr 1
		.amdhsa_user_sgpr_dispatch_id 0
		.amdhsa_user_sgpr_kernarg_preload_length 0
		.amdhsa_user_sgpr_kernarg_preload_offset 0
		.amdhsa_user_sgpr_private_segment_size 0
		.amdhsa_uses_dynamic_stack 0
		.amdhsa_enable_private_segment 0
		.amdhsa_system_sgpr_workgroup_id_x 1
		.amdhsa_system_sgpr_workgroup_id_y 1
		.amdhsa_system_sgpr_workgroup_id_z 0
		.amdhsa_system_sgpr_workgroup_info 0
		.amdhsa_system_vgpr_workitem_id 1
		.amdhsa_next_free_vgpr 21
		.amdhsa_next_free_sgpr 16
		.amdhsa_accum_offset 24
		.amdhsa_reserve_vcc 1
		.amdhsa_float_round_mode_32 0
		.amdhsa_float_round_mode_16_64 0
		.amdhsa_float_denorm_mode_32 3
		.amdhsa_float_denorm_mode_16_64 3
		.amdhsa_dx10_clamp 1
		.amdhsa_ieee_mode 1
		.amdhsa_fp16_overflow 0
		.amdhsa_tg_split 0
		.amdhsa_exception_fp_ieee_invalid_op 0
		.amdhsa_exception_fp_denorm_src 0
		.amdhsa_exception_fp_ieee_div_zero 0
		.amdhsa_exception_fp_ieee_overflow 0
		.amdhsa_exception_fp_ieee_underflow 0
		.amdhsa_exception_fp_ieee_inexact 0
		.amdhsa_exception_int_div_zero 0
	.end_amdhsa_kernel
	.section	.text._ZL13mul_mat_vec_qIfLi32ELi8E10block_q8_0Li2EXadL_ZL17vec_dot_q8_0_q8_1PKvPK10block_q8_1RKiEEEvS2_S2_PT_iii,"axG",@progbits,_ZL13mul_mat_vec_qIfLi32ELi8E10block_q8_0Li2EXadL_ZL17vec_dot_q8_0_q8_1PKvPK10block_q8_1RKiEEEvS2_S2_PT_iii,comdat
.Lfunc_end62:
	.size	_ZL13mul_mat_vec_qIfLi32ELi8E10block_q8_0Li2EXadL_ZL17vec_dot_q8_0_q8_1PKvPK10block_q8_1RKiEEEvS2_S2_PT_iii, .Lfunc_end62-_ZL13mul_mat_vec_qIfLi32ELi8E10block_q8_0Li2EXadL_ZL17vec_dot_q8_0_q8_1PKvPK10block_q8_1RKiEEEvS2_S2_PT_iii
                                        ; -- End function
	.set _ZL13mul_mat_vec_qIfLi32ELi8E10block_q8_0Li2EXadL_ZL17vec_dot_q8_0_q8_1PKvPK10block_q8_1RKiEEEvS2_S2_PT_iii.num_vgpr, 21
	.set _ZL13mul_mat_vec_qIfLi32ELi8E10block_q8_0Li2EXadL_ZL17vec_dot_q8_0_q8_1PKvPK10block_q8_1RKiEEEvS2_S2_PT_iii.num_agpr, 0
	.set _ZL13mul_mat_vec_qIfLi32ELi8E10block_q8_0Li2EXadL_ZL17vec_dot_q8_0_q8_1PKvPK10block_q8_1RKiEEEvS2_S2_PT_iii.numbered_sgpr, 16
	.set _ZL13mul_mat_vec_qIfLi32ELi8E10block_q8_0Li2EXadL_ZL17vec_dot_q8_0_q8_1PKvPK10block_q8_1RKiEEEvS2_S2_PT_iii.num_named_barrier, 0
	.set _ZL13mul_mat_vec_qIfLi32ELi8E10block_q8_0Li2EXadL_ZL17vec_dot_q8_0_q8_1PKvPK10block_q8_1RKiEEEvS2_S2_PT_iii.private_seg_size, 0
	.set _ZL13mul_mat_vec_qIfLi32ELi8E10block_q8_0Li2EXadL_ZL17vec_dot_q8_0_q8_1PKvPK10block_q8_1RKiEEEvS2_S2_PT_iii.uses_vcc, 1
	.set _ZL13mul_mat_vec_qIfLi32ELi8E10block_q8_0Li2EXadL_ZL17vec_dot_q8_0_q8_1PKvPK10block_q8_1RKiEEEvS2_S2_PT_iii.uses_flat_scratch, 0
	.set _ZL13mul_mat_vec_qIfLi32ELi8E10block_q8_0Li2EXadL_ZL17vec_dot_q8_0_q8_1PKvPK10block_q8_1RKiEEEvS2_S2_PT_iii.has_dyn_sized_stack, 0
	.set _ZL13mul_mat_vec_qIfLi32ELi8E10block_q8_0Li2EXadL_ZL17vec_dot_q8_0_q8_1PKvPK10block_q8_1RKiEEEvS2_S2_PT_iii.has_recursion, 0
	.set _ZL13mul_mat_vec_qIfLi32ELi8E10block_q8_0Li2EXadL_ZL17vec_dot_q8_0_q8_1PKvPK10block_q8_1RKiEEEvS2_S2_PT_iii.has_indirect_call, 0
	.section	.AMDGPU.csdata,"",@progbits
; Kernel info:
; codeLenInByte = 604
; TotalNumSgprs: 22
; NumVgprs: 21
; NumAgprs: 0
; TotalNumVgprs: 21
; ScratchSize: 0
; MemoryBound: 0
; FloatMode: 240
; IeeeMode: 1
; LDSByteSize: 0 bytes/workgroup (compile time only)
; SGPRBlocks: 2
; VGPRBlocks: 2
; NumSGPRsForWavesPerEU: 22
; NumVGPRsForWavesPerEU: 21
; AccumOffset: 24
; Occupancy: 8
; WaveLimiterHint : 0
; COMPUTE_PGM_RSRC2:SCRATCH_EN: 0
; COMPUTE_PGM_RSRC2:USER_SGPR: 2
; COMPUTE_PGM_RSRC2:TRAP_HANDLER: 0
; COMPUTE_PGM_RSRC2:TGID_X_EN: 1
; COMPUTE_PGM_RSRC2:TGID_Y_EN: 1
; COMPUTE_PGM_RSRC2:TGID_Z_EN: 0
; COMPUTE_PGM_RSRC2:TIDIG_COMP_CNT: 1
; COMPUTE_PGM_RSRC3_GFX90A:ACCUM_OFFSET: 5
; COMPUTE_PGM_RSRC3_GFX90A:TG_SPLIT: 0
	.section	.text._ZL13mul_mat_vec_qIfLi256ELi16E10block_q2_KLi1EXadL_ZL17vec_dot_q2_K_q8_1PKvPK10block_q8_1RKiEEEvS2_S2_PT_iii,"axG",@progbits,_ZL13mul_mat_vec_qIfLi256ELi16E10block_q2_KLi1EXadL_ZL17vec_dot_q2_K_q8_1PKvPK10block_q8_1RKiEEEvS2_S2_PT_iii,comdat
	.globl	_ZL13mul_mat_vec_qIfLi256ELi16E10block_q2_KLi1EXadL_ZL17vec_dot_q2_K_q8_1PKvPK10block_q8_1RKiEEEvS2_S2_PT_iii ; -- Begin function _ZL13mul_mat_vec_qIfLi256ELi16E10block_q2_KLi1EXadL_ZL17vec_dot_q2_K_q8_1PKvPK10block_q8_1RKiEEEvS2_S2_PT_iii
	.p2align	8
	.type	_ZL13mul_mat_vec_qIfLi256ELi16E10block_q2_KLi1EXadL_ZL17vec_dot_q2_K_q8_1PKvPK10block_q8_1RKiEEEvS2_S2_PT_iii,@function
_ZL13mul_mat_vec_qIfLi256ELi16E10block_q2_KLi1EXadL_ZL17vec_dot_q2_K_q8_1PKvPK10block_q8_1RKiEEEvS2_S2_PT_iii: ; @_ZL13mul_mat_vec_qIfLi256ELi16E10block_q2_KLi1EXadL_ZL17vec_dot_q2_K_q8_1PKvPK10block_q8_1RKiEEEvS2_S2_PT_iii
; %bb.0:
	s_load_dword s8, s[0:1], 0x34
	s_load_dwordx4 s[4:7], s[0:1], 0x18
	v_bfe_u32 v1, v0, 10, 10
	s_waitcnt lgkmcnt(0)
	s_lshr_b32 s7, s8, 16
	s_mul_i32 s2, s2, s7
	v_add_u32_e32 v10, s2, v1
	s_cmp_lt_u32 s3, s6
	v_cmp_gt_u32_e32 vcc, s5, v10
	s_cselect_b64 s[6:7], -1, 0
	s_and_b64 s[6:7], s[6:7], vcc
	s_and_saveexec_b64 s[8:9], s[6:7]
	s_cbranch_execz .LBB63_7
; %bb.1:
	s_load_dwordx2 s[6:7], s[0:1], 0x10
	s_ashr_i32 s2, s4, 31
	s_lshr_b32 s2, s2, 24
	s_add_i32 s2, s4, s2
	s_ashr_i32 s2, s2, 8
	v_bfe_u32 v12, v0, 4, 6
	v_and_b32_e32 v11, 0x3ff, v0
	v_cmp_gt_u32_e32 vcc, s2, v12
	v_mov_b32_e32 v14, 0
	s_and_saveexec_b64 s[8:9], vcc
	s_cbranch_execz .LBB63_5
; %bb.2:
	s_load_dwordx4 s[12:15], s[0:1], 0x0
	s_add_i32 s0, s4, 0x1ff
	s_ashr_i32 s1, s0, 31
	v_and_b32_e32 v8, 15, v11
	s_lshr_b32 s1, s1, 23
	v_mov_b32_e32 v1, 0
	v_subrev_co_u32_e32 v2, vcc, 8, v8
	s_add_i32 s0, s0, s1
	v_lshrrev_b32_e32 v0, 1, v11
	v_cndmask_b32_e32 v6, v2, v8, vcc
	v_mov_b32_e32 v7, v1
	s_ashr_i32 s0, s0, 9
	v_and_b32_e32 v4, 4, v0
	v_lshlrev_b64 v[2:3], 2, v[6:7]
	v_sub_u32_e32 v7, v8, v6
	v_cmp_lt_u32_e32 vcc, 3, v6
	s_mul_i32 s4, s3, s0
	v_lshlrev_b32_e32 v0, 2, v8
	s_waitcnt lgkmcnt(0)
	v_mad_u64_u32 v[4:5], s[0:1], v4, 36, s[14:15]
	v_addc_co_u32_e32 v6, vcc, 0, v7, vcc
	v_lshlrev_b32_e32 v8, 3, v12
	v_mul_lo_u32 v13, v10, s2
	v_ashrrev_i32_e32 v7, 31, v6
	v_lshl_add_u32 v15, s4, 4, v8
	s_mov_b64 s[0:1], 0
	s_movk_i32 s4, 0x54
	v_mov_b64_e32 v[8:9], s[12:13]
	s_mov_b32 s10, 0x1010101
	v_mov_b32_e32 v14, v1
.LBB63_3:                               ; =>This Inner Loop Header: Depth=1
	v_mad_i64_i32 v[16:17], s[12:13], v15, 36, v[4:5]
	v_add_u32_e32 v18, v13, v12
	v_lshl_add_u64 v[20:21], v[16:17], 0, v[2:3]
	v_mad_i64_i32 v[18:19], s[12:13], v18, s4, v[8:9]
	global_load_dword v24, v[16:17], off
	global_load_dword v25, v[16:17], off offset:36
	global_load_dword v26, v[16:17], off offset:72
	;; [unrolled: 1-line block ×7, first 2 shown]
	v_lshl_add_u64 v[22:23], v[18:19], 0, v[0:1]
	v_lshl_add_u64 v[16:17], v[18:19], 0, v[6:7]
	global_load_dword v21, v[22:23], off offset:16
	global_load_ubyte v32, v[16:17], off
	global_load_ubyte v33, v[16:17], off offset:2
	global_load_ubyte v34, v[16:17], off offset:4
	;; [unrolled: 1-line block ×3, first 2 shown]
	global_load_dword v36, v[18:19], off offset:80
	v_mov_b32_e32 v17, 0
	v_mov_b32_e32 v19, 0
	;; [unrolled: 1-line block ×8, first 2 shown]
	v_add_u32_e32 v12, 4, v12
	v_cmp_le_u32_e32 vcc, s2, v12
	v_add_u32_e32 v15, 32, v15
	s_or_b64 s[0:1], vcc, s[0:1]
	s_waitcnt vmcnt(13)
	v_cvt_f32_f16_e32 v16, v24
	s_waitcnt vmcnt(5)
	v_lshrrev_b32_e32 v42, 2, v21
	v_cvt_f32_f16_e32 v20, v26
	v_cvt_f32_f16_e32 v22, v31
	v_and_b32_e32 v26, 0x3030303, v21
	s_waitcnt vmcnt(4)
	v_and_b32_e32 v31, 15, v32
	v_lshrrev_b32_e32 v32, 4, v32
	s_waitcnt vmcnt(3)
	v_and_b32_e32 v43, 15, v33
	v_lshrrev_b32_e32 v33, 4, v33
	v_lshrrev_b32_e32 v44, 4, v21
	;; [unrolled: 1-line block ×3, first 2 shown]
	v_dot4c_i32_i8_e32 v17, v26, v27
	v_mul_lo_u32 v26, v32, s10
	v_and_b32_e32 v32, 0x3030303, v42
	v_cvt_f32_f16_e32 v18, v25
	s_waitcnt vmcnt(2)
	v_and_b32_e32 v45, 15, v34
	v_lshrrev_b32_e32 v34, 4, v34
	s_waitcnt vmcnt(0)
	v_cvt_f32_f16_e32 v24, v36
	v_cvt_f32_f16_sdwa v25, v36 dst_sel:DWORD dst_unused:UNUSED_PAD src0_sel:WORD_1
	v_mul_lo_u32 v33, v33, s10
	v_and_b32_e32 v36, 0x3030303, v44
	v_and_b32_e32 v21, 0x3030303, v21
	v_mul_lo_u32 v17, v31, v17
	v_dot4c_i32_i8_e32 v19, v26, v27
	v_dot4c_i32_i8_e32 v23, v32, v28
	v_and_b32_e32 v46, 15, v35
	v_lshrrev_b32_e32 v35, 4, v35
	v_mul_lo_u32 v34, v34, s10
	v_dot4c_i32_i8_e32 v37, v33, v28
	v_dot4c_i32_i8_e32 v38, v36, v29
	;; [unrolled: 1-line block ×3, first 2 shown]
	v_mul_lo_u32 v21, v43, v23
	v_cvt_f32_i32_e32 v27, v19
	v_cvt_f32_i32_e32 v26, v17
	v_mul_lo_u32 v35, v35, s10
	v_dot4c_i32_i8_e32 v39, v34, v29
	v_mul_lo_u32 v23, v45, v38
	v_cvt_f32_i32_e32 v29, v37
	v_cvt_f32_i32_e32 v28, v21
	v_dot4c_i32_i8_e32 v41, v35, v30
	v_mul_lo_u32 v32, v46, v40
	v_cvt_f32_i32_e32 v31, v39
	v_cvt_f32_i32_e32 v30, v23
	;; [unrolled: 1-line block ×4, first 2 shown]
	v_pk_fma_f32 v[16:17], v[16:17], v[26:27], 0 op_sel_hi:[0,1,0]
	v_pk_fma_f32 v[16:17], v[18:19], v[28:29], v[16:17] op_sel_hi:[0,1,1]
	;; [unrolled: 1-line block ×4, first 2 shown]
	v_pk_mul_f32 v[16:17], v[16:17], v[24:25]
	s_nop 0
	v_sub_f32_e32 v16, v16, v17
	v_add_f32_e32 v14, v14, v16
	s_andn2_b64 exec, exec, s[0:1]
	s_cbranch_execnz .LBB63_3
; %bb.4:
	s_or_b64 exec, exec, s[0:1]
.LBB63_5:
	s_or_b64 exec, exec, s[8:9]
	v_mbcnt_lo_u32_b32 v0, -1, 0
	v_mbcnt_hi_u32_b32 v1, -1, v0
	v_and_b32_e32 v0, 64, v1
	v_add_u32_e32 v2, 64, v0
	v_xor_b32_e32 v0, 32, v1
	v_cmp_lt_i32_e32 vcc, v0, v2
	v_xor_b32_e32 v3, 16, v1
	v_xor_b32_e32 v4, 8, v1
	v_cndmask_b32_e32 v0, v1, v0, vcc
	v_lshlrev_b32_e32 v0, 2, v0
	ds_bpermute_b32 v0, v0, v14
	v_cmp_lt_i32_e32 vcc, v3, v2
	s_waitcnt lgkmcnt(0)
	v_add_f32_e32 v0, v14, v0
	v_cndmask_b32_e32 v3, v1, v3, vcc
	v_lshlrev_b32_e32 v3, 2, v3
	ds_bpermute_b32 v3, v3, v0
	v_cmp_lt_i32_e32 vcc, v4, v2
	s_waitcnt lgkmcnt(0)
	v_add_f32_e32 v0, v0, v3
	v_cndmask_b32_e32 v3, v1, v4, vcc
	v_lshlrev_b32_e32 v3, 2, v3
	ds_bpermute_b32 v3, v3, v0
	v_xor_b32_e32 v4, 4, v1
	v_cmp_lt_i32_e32 vcc, v4, v2
	s_waitcnt lgkmcnt(0)
	v_add_f32_e32 v0, v0, v3
	v_cndmask_b32_e32 v3, v1, v4, vcc
	v_lshlrev_b32_e32 v3, 2, v3
	ds_bpermute_b32 v3, v3, v0
	v_xor_b32_e32 v4, 2, v1
	;; [unrolled: 7-line block ×3, first 2 shown]
	v_cmp_lt_i32_e32 vcc, v4, v2
	s_waitcnt lgkmcnt(0)
	v_add_f32_e32 v0, v0, v3
	v_cndmask_b32_e32 v1, v1, v4, vcc
	v_lshlrev_b32_e32 v1, 2, v1
	ds_bpermute_b32 v1, v1, v0
	v_cmp_eq_u32_e32 vcc, 0, v11
	s_and_b64 exec, exec, vcc
	s_cbranch_execz .LBB63_7
; %bb.6:
	s_mul_i32 s0, s5, s3
	s_waitcnt lgkmcnt(0)
	v_add_f32_e32 v2, v0, v1
	v_add_u32_e32 v0, s0, v10
	v_mov_b32_e32 v1, 0
	v_lshl_add_u64 v[0:1], v[0:1], 2, s[6:7]
	global_store_dword v[0:1], v2, off
.LBB63_7:
	s_endpgm
	.section	.rodata,"a",@progbits
	.p2align	6, 0x0
	.amdhsa_kernel _ZL13mul_mat_vec_qIfLi256ELi16E10block_q2_KLi1EXadL_ZL17vec_dot_q2_K_q8_1PKvPK10block_q8_1RKiEEEvS2_S2_PT_iii
		.amdhsa_group_segment_fixed_size 0
		.amdhsa_private_segment_fixed_size 0
		.amdhsa_kernarg_size 296
		.amdhsa_user_sgpr_count 2
		.amdhsa_user_sgpr_dispatch_ptr 0
		.amdhsa_user_sgpr_queue_ptr 0
		.amdhsa_user_sgpr_kernarg_segment_ptr 1
		.amdhsa_user_sgpr_dispatch_id 0
		.amdhsa_user_sgpr_kernarg_preload_length 0
		.amdhsa_user_sgpr_kernarg_preload_offset 0
		.amdhsa_user_sgpr_private_segment_size 0
		.amdhsa_uses_dynamic_stack 0
		.amdhsa_enable_private_segment 0
		.amdhsa_system_sgpr_workgroup_id_x 1
		.amdhsa_system_sgpr_workgroup_id_y 1
		.amdhsa_system_sgpr_workgroup_id_z 0
		.amdhsa_system_sgpr_workgroup_info 0
		.amdhsa_system_vgpr_workitem_id 1
		.amdhsa_next_free_vgpr 47
		.amdhsa_next_free_sgpr 16
		.amdhsa_accum_offset 48
		.amdhsa_reserve_vcc 1
		.amdhsa_float_round_mode_32 0
		.amdhsa_float_round_mode_16_64 0
		.amdhsa_float_denorm_mode_32 3
		.amdhsa_float_denorm_mode_16_64 3
		.amdhsa_dx10_clamp 1
		.amdhsa_ieee_mode 1
		.amdhsa_fp16_overflow 0
		.amdhsa_tg_split 0
		.amdhsa_exception_fp_ieee_invalid_op 0
		.amdhsa_exception_fp_denorm_src 0
		.amdhsa_exception_fp_ieee_div_zero 0
		.amdhsa_exception_fp_ieee_overflow 0
		.amdhsa_exception_fp_ieee_underflow 0
		.amdhsa_exception_fp_ieee_inexact 0
		.amdhsa_exception_int_div_zero 0
	.end_amdhsa_kernel
	.section	.text._ZL13mul_mat_vec_qIfLi256ELi16E10block_q2_KLi1EXadL_ZL17vec_dot_q2_K_q8_1PKvPK10block_q8_1RKiEEEvS2_S2_PT_iii,"axG",@progbits,_ZL13mul_mat_vec_qIfLi256ELi16E10block_q2_KLi1EXadL_ZL17vec_dot_q2_K_q8_1PKvPK10block_q8_1RKiEEEvS2_S2_PT_iii,comdat
.Lfunc_end63:
	.size	_ZL13mul_mat_vec_qIfLi256ELi16E10block_q2_KLi1EXadL_ZL17vec_dot_q2_K_q8_1PKvPK10block_q8_1RKiEEEvS2_S2_PT_iii, .Lfunc_end63-_ZL13mul_mat_vec_qIfLi256ELi16E10block_q2_KLi1EXadL_ZL17vec_dot_q2_K_q8_1PKvPK10block_q8_1RKiEEEvS2_S2_PT_iii
                                        ; -- End function
	.set _ZL13mul_mat_vec_qIfLi256ELi16E10block_q2_KLi1EXadL_ZL17vec_dot_q2_K_q8_1PKvPK10block_q8_1RKiEEEvS2_S2_PT_iii.num_vgpr, 47
	.set _ZL13mul_mat_vec_qIfLi256ELi16E10block_q2_KLi1EXadL_ZL17vec_dot_q2_K_q8_1PKvPK10block_q8_1RKiEEEvS2_S2_PT_iii.num_agpr, 0
	.set _ZL13mul_mat_vec_qIfLi256ELi16E10block_q2_KLi1EXadL_ZL17vec_dot_q2_K_q8_1PKvPK10block_q8_1RKiEEEvS2_S2_PT_iii.numbered_sgpr, 16
	.set _ZL13mul_mat_vec_qIfLi256ELi16E10block_q2_KLi1EXadL_ZL17vec_dot_q2_K_q8_1PKvPK10block_q8_1RKiEEEvS2_S2_PT_iii.num_named_barrier, 0
	.set _ZL13mul_mat_vec_qIfLi256ELi16E10block_q2_KLi1EXadL_ZL17vec_dot_q2_K_q8_1PKvPK10block_q8_1RKiEEEvS2_S2_PT_iii.private_seg_size, 0
	.set _ZL13mul_mat_vec_qIfLi256ELi16E10block_q2_KLi1EXadL_ZL17vec_dot_q2_K_q8_1PKvPK10block_q8_1RKiEEEvS2_S2_PT_iii.uses_vcc, 1
	.set _ZL13mul_mat_vec_qIfLi256ELi16E10block_q2_KLi1EXadL_ZL17vec_dot_q2_K_q8_1PKvPK10block_q8_1RKiEEEvS2_S2_PT_iii.uses_flat_scratch, 0
	.set _ZL13mul_mat_vec_qIfLi256ELi16E10block_q2_KLi1EXadL_ZL17vec_dot_q2_K_q8_1PKvPK10block_q8_1RKiEEEvS2_S2_PT_iii.has_dyn_sized_stack, 0
	.set _ZL13mul_mat_vec_qIfLi256ELi16E10block_q2_KLi1EXadL_ZL17vec_dot_q2_K_q8_1PKvPK10block_q8_1RKiEEEvS2_S2_PT_iii.has_recursion, 0
	.set _ZL13mul_mat_vec_qIfLi256ELi16E10block_q2_KLi1EXadL_ZL17vec_dot_q2_K_q8_1PKvPK10block_q8_1RKiEEEvS2_S2_PT_iii.has_indirect_call, 0
	.section	.AMDGPU.csdata,"",@progbits
; Kernel info:
; codeLenInByte = 1056
; TotalNumSgprs: 22
; NumVgprs: 47
; NumAgprs: 0
; TotalNumVgprs: 47
; ScratchSize: 0
; MemoryBound: 0
; FloatMode: 240
; IeeeMode: 1
; LDSByteSize: 0 bytes/workgroup (compile time only)
; SGPRBlocks: 2
; VGPRBlocks: 5
; NumSGPRsForWavesPerEU: 22
; NumVGPRsForWavesPerEU: 47
; AccumOffset: 48
; Occupancy: 8
; WaveLimiterHint : 0
; COMPUTE_PGM_RSRC2:SCRATCH_EN: 0
; COMPUTE_PGM_RSRC2:USER_SGPR: 2
; COMPUTE_PGM_RSRC2:TRAP_HANDLER: 0
; COMPUTE_PGM_RSRC2:TGID_X_EN: 1
; COMPUTE_PGM_RSRC2:TGID_Y_EN: 1
; COMPUTE_PGM_RSRC2:TGID_Z_EN: 0
; COMPUTE_PGM_RSRC2:TIDIG_COMP_CNT: 1
; COMPUTE_PGM_RSRC3_GFX90A:ACCUM_OFFSET: 11
; COMPUTE_PGM_RSRC3_GFX90A:TG_SPLIT: 0
	.section	.text._ZL13mul_mat_vec_qIfLi256ELi16E10block_q3_KLi1EXadL_ZL17vec_dot_q3_K_q8_1PKvPK10block_q8_1RKiEEEvS2_S2_PT_iii,"axG",@progbits,_ZL13mul_mat_vec_qIfLi256ELi16E10block_q3_KLi1EXadL_ZL17vec_dot_q3_K_q8_1PKvPK10block_q8_1RKiEEEvS2_S2_PT_iii,comdat
	.globl	_ZL13mul_mat_vec_qIfLi256ELi16E10block_q3_KLi1EXadL_ZL17vec_dot_q3_K_q8_1PKvPK10block_q8_1RKiEEEvS2_S2_PT_iii ; -- Begin function _ZL13mul_mat_vec_qIfLi256ELi16E10block_q3_KLi1EXadL_ZL17vec_dot_q3_K_q8_1PKvPK10block_q8_1RKiEEEvS2_S2_PT_iii
	.p2align	8
	.type	_ZL13mul_mat_vec_qIfLi256ELi16E10block_q3_KLi1EXadL_ZL17vec_dot_q3_K_q8_1PKvPK10block_q8_1RKiEEEvS2_S2_PT_iii,@function
_ZL13mul_mat_vec_qIfLi256ELi16E10block_q3_KLi1EXadL_ZL17vec_dot_q3_K_q8_1PKvPK10block_q8_1RKiEEEvS2_S2_PT_iii: ; @_ZL13mul_mat_vec_qIfLi256ELi16E10block_q3_KLi1EXadL_ZL17vec_dot_q3_K_q8_1PKvPK10block_q8_1RKiEEEvS2_S2_PT_iii
; %bb.0:
	s_load_dword s8, s[0:1], 0x34
	s_load_dwordx4 s[4:7], s[0:1], 0x18
	v_bfe_u32 v1, v0, 10, 10
	s_waitcnt lgkmcnt(0)
	s_lshr_b32 s7, s8, 16
	s_mul_i32 s2, s2, s7
	v_add_u32_e32 v24, s2, v1
	s_cmp_lt_u32 s3, s6
	v_cmp_gt_u32_e32 vcc, s5, v24
	s_cselect_b64 s[6:7], -1, 0
	s_and_b64 s[6:7], s[6:7], vcc
	s_and_saveexec_b64 s[8:9], s[6:7]
	s_cbranch_execz .LBB64_7
; %bb.1:
	s_load_dwordx2 s[6:7], s[0:1], 0x10
	s_ashr_i32 s2, s4, 31
	s_lshr_b32 s2, s2, 24
	s_add_i32 s2, s4, s2
	s_ashr_i32 s2, s2, 8
	v_bfe_u32 v26, v0, 4, 6
	v_and_b32_e32 v25, 0x3ff, v0
	v_cmp_gt_u32_e32 vcc, s2, v26
	v_mov_b32_e32 v35, 0
	s_and_saveexec_b64 s[12:13], vcc
	s_cbranch_execz .LBB64_5
; %bb.2:
	v_and_b32_e32 v8, 15, v25
	v_lshrrev_b32_e32 v0, 1, v25
	v_and_b32_e32 v28, 4, v0
	v_subrev_co_u32_e32 v0, vcc, 8, v8
	v_mov_b32_e32 v1, 0
	s_nop 0
	v_cndmask_b32_e32 v6, v0, v8, vcc
	v_mov_b32_e32 v7, v1
	v_lshlrev_b64 v[2:3], 2, v[6:7]
	v_sub_u32_e32 v7, v8, v6
	v_cmp_lt_u32_e32 vcc, 3, v6
	v_mov_b32_e32 v19, 7
	v_lshlrev_b32_e32 v0, 2, v8
	v_addc_co_u32_e32 v18, vcc, 0, v7, vcc
	v_add_u16_e32 v12, 2, v18
	v_lshrrev_b16_sdwa v8, v19, sext(v18) dst_sel:DWORD dst_unused:UNUSED_PAD src0_sel:DWORD src1_sel:BYTE_0
	v_mov_b32_e32 v20, 5
	v_mov_b32_e32 v23, 6
	v_lshrrev_b16_sdwa v13, v19, sext(v12) dst_sel:DWORD dst_unused:UNUSED_PAD src0_sel:DWORD src1_sel:BYTE_0
	v_lshrrev_b16_sdwa v6, v20, v8 dst_sel:DWORD dst_unused:UNUSED_PAD src0_sel:DWORD src1_sel:BYTE_0
	v_lshrrev_b16_sdwa v8, v23, v8 dst_sel:DWORD dst_unused:UNUSED_PAD src0_sel:DWORD src1_sel:BYTE_0
	;; [unrolled: 1-line block ×4, first 2 shown]
	v_add_u16_e32 v6, v18, v6
	v_mov_b32_e32 v21, 3
	v_mov_b32_e32 v22, 2
	v_add_u16_e32 v8, v18, v8
	v_add_u16_e32 v13, v12, v13
	;; [unrolled: 1-line block ×4, first 2 shown]
	s_load_dwordx4 s[8:11], s[0:1], 0x0
	s_add_i32 s0, s4, 0x1ff
	v_lshrrev_b16_sdwa v7, v21, sext(v6) dst_sel:DWORD dst_unused:UNUSED_PAD src0_sel:DWORD src1_sel:BYTE_0
	v_and_b32_e32 v6, 0xf8, v6
	v_ashrrev_i16_sdwa v9, v22, sext(v8) dst_sel:DWORD dst_unused:UNUSED_PAD src0_sel:DWORD src1_sel:BYTE_0
	v_and_b32_e32 v8, 0xfc, v8
	v_mov_b32_e32 v35, 1
	v_ashrrev_i16_sdwa v14, v22, sext(v13) dst_sel:DWORD dst_unused:UNUSED_PAD src0_sel:DWORD src1_sel:BYTE_0
	v_lshrrev_b16_sdwa v17, v19, sext(v16) dst_sel:DWORD dst_unused:UNUSED_PAD src0_sel:DWORD src1_sel:BYTE_0
	v_lshrrev_b16_sdwa v38, v19, sext(v37) dst_sel:DWORD dst_unused:UNUSED_PAD src0_sel:DWORD src1_sel:BYTE_0
	s_ashr_i32 s1, s0, 31
	v_sub_u16_e32 v6, v18, v6
	v_sub_u16_e32 v8, v18, v8
	v_lshlrev_b32_sdwa v32, v35, sext(v14) dst_sel:DWORD dst_unused:UNUSED_PAD src0_sel:DWORD src1_sel:WORD_0
	v_lshrrev_b16_sdwa v14, v20, v17 dst_sel:DWORD dst_unused:UNUSED_PAD src0_sel:DWORD src1_sel:BYTE_0
	v_lshrrev_b16_sdwa v17, v23, v17 dst_sel:DWORD dst_unused:UNUSED_PAD src0_sel:DWORD src1_sel:BYTE_0
	v_lshrrev_b16_sdwa v18, v20, v38 dst_sel:DWORD dst_unused:UNUSED_PAD src0_sel:DWORD src1_sel:BYTE_0
	v_lshrrev_b16_sdwa v20, v23, v38 dst_sel:DWORD dst_unused:UNUSED_PAD src0_sel:DWORD src1_sel:BYTE_0
	s_lshr_b32 s1, s1, 23
	v_add_u16_e32 v10, v12, v10
	v_add_u16_e32 v14, v16, v14
	;; [unrolled: 1-line block ×5, first 2 shown]
	s_add_i32 s0, s0, s1
	v_lshrrev_b16_sdwa v11, v21, sext(v10) dst_sel:DWORD dst_unused:UNUSED_PAD src0_sel:DWORD src1_sel:BYTE_0
	v_and_b32_e32 v10, 0xf8, v10
	v_and_b32_e32 v13, 0xfc, v13
	v_lshrrev_b16_sdwa v15, v21, sext(v14) dst_sel:DWORD dst_unused:UNUSED_PAD src0_sel:DWORD src1_sel:BYTE_0
	v_and_b32_e32 v14, 0xf8, v14
	v_lshrrev_b16_sdwa v34, v22, sext(v17) dst_sel:DWORD dst_unused:UNUSED_PAD src0_sel:DWORD src1_sel:BYTE_0
	;; [unrolled: 2-line block ×4, first 2 shown]
	v_and_b32_e32 v20, 0xfc, v20
	s_ashr_i32 s0, s0, 9
	v_sub_u16_e32 v10, v12, v10
	v_sub_u16_e32 v12, v12, v13
	;; [unrolled: 1-line block ×6, first 2 shown]
	s_mul_i32 s14, s3, s0
	s_waitcnt lgkmcnt(0)
	v_mad_u64_u32 v[4:5], s[0:1], v28, 36, s[10:11]
	v_lshlrev_b32_sdwa v29, v22, v7 dst_sel:DWORD dst_unused:UNUSED_PAD src0_sel:DWORD src1_sel:BYTE_0
	v_bfe_i32 v6, v6, 0, 8
	v_bfe_i32 v8, v8, 0, 8
	v_lshlrev_b32_sdwa v31, v22, v11 dst_sel:DWORD dst_unused:UNUSED_PAD src0_sel:DWORD src1_sel:BYTE_0
	v_bfe_i32 v10, v10, 0, 8
	v_bfe_i32 v12, v12, 0, 8
	;; [unrolled: 3-line block ×4, first 2 shown]
	v_lshlrev_b32_e32 v22, 3, v26
	v_mul_lo_u32 v27, v24, s2
	s_movk_i32 s4, 0xff
	v_ashrrev_i32_e32 v7, 31, v6
	v_lshlrev_b32_sdwa v30, v35, sext(v9) dst_sel:DWORD dst_unused:UNUSED_PAD src0_sel:DWORD src1_sel:WORD_0
	v_ashrrev_i32_e32 v9, 31, v8
	v_ashrrev_i32_e32 v11, 31, v10
	;; [unrolled: 1-line block ×4, first 2 shown]
	v_lshlrev_b32_sdwa v34, v35, v34 dst_sel:DWORD dst_unused:UNUSED_PAD src0_sel:DWORD src1_sel:BYTE_0
	v_ashrrev_i32_e32 v17, 31, v16
	v_ashrrev_i32_e32 v19, 31, v18
	v_lshlrev_b32_sdwa v37, v35, v21 dst_sel:DWORD dst_unused:UNUSED_PAD src0_sel:DWORD src1_sel:BYTE_0
	v_ashrrev_i32_e32 v21, 31, v20
	v_lshl_add_u32 v38, s14, 4, v22
	s_mov_b64 s[0:1], 0
	s_movk_i32 s10, 0x6e
	s_mov_b32 s11, 0x4040404
	v_mov_b32_e32 v35, v1
.LBB64_3:                               ; =>This Inner Loop Header: Depth=1
	v_add_u32_e32 v39, v27, v26
	v_mov_b64_e32 v[22:23], s[8:9]
	v_mad_i64_i32 v[22:23], s[14:15], v39, s10, v[22:23]
	v_lshl_add_u64 v[40:41], v[22:23], 0, v[0:1]
	global_load_dword v44, v[40:41], off offset:32
	v_lshl_add_u64 v[40:41], v[22:23], 0, v[2:3]
	global_load_ushort v39, v[22:23], off offset:108
	global_load_dword v45, v[40:41], off
	v_mad_i64_i32 v[40:41], s[14:15], v38, 36, v[4:5]
	v_lshl_add_u64 v[42:43], v[40:41], 0, v[2:3]
	global_load_dword v46, v[42:43], off offset:4
	global_load_dword v47, v[40:41], off
	global_load_dword v48, v[42:43], off offset:40
	global_load_dword v49, v[40:41], off offset:36
	;; [unrolled: 1-line block ×6, first 2 shown]
	v_lshl_add_u64 v[40:41], v[22:23], 0, v[6:7]
	global_load_ubyte v40, v[40:41], off offset:96
	v_add_u32_e32 v26, 4, v26
	v_cmp_le_u32_e32 vcc, s2, v26
	v_add_u32_e32 v38, 32, v38
	s_or_b64 s[0:1], vcc, s[0:1]
	s_waitcnt vmcnt(9)
	v_ashrrev_i32_e32 v42, v28, v45
	v_not_b32_e32 v43, v42
	v_lshlrev_b32_e32 v54, 2, v43
	v_and_b32_e32 v54, 0x4040404, v54
	v_bitop3_b32 v42, v42, s11, v42 bitop3:0xc
	s_waitcnt vmcnt(0)
	v_bfe_u32 v45, v40, v29, 4
	v_lshl_add_u64 v[40:41], v[22:23], 0, v[8:9]
	global_load_ubyte v40, v[40:41], off offset:104
	v_bfe_u32 v41, v44, 24, 2
	v_sub_u16_sdwa v41, v41, v54 dst_sel:BYTE_1 dst_unused:UNUSED_PAD src0_sel:DWORD src1_sel:BYTE_3
	s_waitcnt vmcnt(0)
	v_lshrrev_b32_e32 v40, v30, v40
	v_lshlrev_b32_e32 v40, 4, v40
	v_and_or_b32 v40, v40, 48, v45
	v_and_b32_e32 v45, 0x3030303, v44
	v_sub_u16_e32 v55, v45, v54
	v_sub_u16_sdwa v56, v45, v54 dst_sel:BYTE_1 dst_unused:UNUSED_PAD src0_sel:BYTE_1 src1_sel:BYTE_1
	v_sub_u16_sdwa v45, v45, v54 dst_sel:DWORD dst_unused:UNUSED_PAD src0_sel:WORD_1 src1_sel:WORD_1
	v_bitop3_b16 v41, v45, v41, s4 bitop3:0xec
	v_bitop3_b16 v55, v55, v56, s4 bitop3:0xec
	v_lshlrev_b32_e32 v41, 16, v41
	v_or_b32_sdwa v41, v55, v41 dst_sel:DWORD dst_unused:UNUSED_PAD src0_sel:WORD_0 src1_sel:DWORD
	v_mov_b32_e32 v45, 0
	v_subrev_u32_e32 v40, 32, v40
	v_dot4c_i32_i8_e32 v45, v41, v46
	s_nop 2
	v_mul_lo_u32 v40, v40, v45
	v_cvt_f32_i32_e32 v40, v40
	v_fma_mix_f32 v45, v47, v40, 0 op_sel_hi:[1,0,0]
	v_lshl_add_u64 v[40:41], v[22:23], 0, v[10:11]
	global_load_ubyte v40, v[40:41], off offset:96
	v_lshlrev_b32_e32 v47, 1, v43
	v_and_b32_e32 v47, 0x4040404, v47
	s_waitcnt vmcnt(0)
	v_bfe_u32 v46, v40, v31, 4
	v_lshl_add_u64 v[40:41], v[22:23], 0, v[12:13]
	global_load_ubyte v40, v[40:41], off offset:104
	v_lshrrev_b32_e32 v41, 2, v44
	s_waitcnt vmcnt(0)
	v_lshrrev_b32_e32 v40, v32, v40
	v_lshlrev_b32_e32 v40, 4, v40
	v_and_or_b32 v40, v40, 48, v46
	v_bfe_u32 v46, v41, 24, 2
	v_and_b32_e32 v41, 0x3030303, v41
	v_sub_u16_e32 v54, v41, v47
	v_sub_u16_sdwa v55, v41, v47 dst_sel:BYTE_1 dst_unused:UNUSED_PAD src0_sel:BYTE_1 src1_sel:BYTE_1
	v_sub_u16_sdwa v41, v41, v47 dst_sel:DWORD dst_unused:UNUSED_PAD src0_sel:WORD_1 src1_sel:WORD_1
	v_sub_u16_sdwa v46, v46, v47 dst_sel:BYTE_1 dst_unused:UNUSED_PAD src0_sel:DWORD src1_sel:BYTE_3
	v_bitop3_b16 v54, v54, v55, s4 bitop3:0xec
	v_bitop3_b16 v41, v41, v46, s4 bitop3:0xec
	v_lshlrev_b32_e32 v41, 16, v41
	v_or_b32_sdwa v41, v54, v41 dst_sel:DWORD dst_unused:UNUSED_PAD src0_sel:WORD_0 src1_sel:DWORD
	v_mov_b32_e32 v46, 0
	v_subrev_u32_e32 v40, 32, v40
	v_dot4c_i32_i8_e32 v46, v41, v48
	s_nop 2
	v_mul_lo_u32 v40, v40, v46
	v_cvt_f32_i32_e32 v40, v40
	v_fma_mix_f32 v45, v49, v40, v45 op_sel_hi:[1,0,0]
	v_lshl_add_u64 v[40:41], v[22:23], 0, v[14:15]
	global_load_ubyte v40, v[40:41], off offset:96
	s_waitcnt vmcnt(0)
	v_bfe_u32 v46, v40, v33, 4
	v_lshl_add_u64 v[40:41], v[22:23], 0, v[16:17]
	global_load_ubyte v40, v[40:41], off offset:104
	v_lshrrev_b32_e32 v41, 4, v44
	s_waitcnt vmcnt(0)
	v_lshrrev_b32_e32 v40, v34, v40
	v_lshlrev_b32_e32 v40, 4, v40
	v_and_or_b32 v40, v40, 48, v46
	v_bfe_u32 v46, v41, 24, 2
	v_and_b32_e32 v41, 0x3030303, v41
	v_sub_u16_e32 v47, v41, v42
	v_sub_u16_sdwa v48, v41, v42 dst_sel:BYTE_1 dst_unused:UNUSED_PAD src0_sel:BYTE_1 src1_sel:BYTE_1
	v_sub_u16_sdwa v41, v41, v42 dst_sel:DWORD dst_unused:UNUSED_PAD src0_sel:WORD_1 src1_sel:WORD_1
	v_sub_u16_sdwa v42, v46, v42 dst_sel:BYTE_1 dst_unused:UNUSED_PAD src0_sel:DWORD src1_sel:BYTE_3
	v_bitop3_b16 v47, v47, v48, s4 bitop3:0xec
	v_bitop3_b16 v41, v41, v42, s4 bitop3:0xec
	v_lshlrev_b32_e32 v41, 16, v41
	v_or_b32_sdwa v41, v47, v41 dst_sel:DWORD dst_unused:UNUSED_PAD src0_sel:WORD_0 src1_sel:DWORD
	v_mov_b32_e32 v42, 0
	v_subrev_u32_e32 v40, 32, v40
	v_dot4c_i32_i8_e32 v42, v41, v50
	s_nop 2
	v_mul_lo_u32 v40, v40, v42
	v_cvt_f32_i32_e32 v40, v40
	v_fma_mix_f32 v42, v51, v40, v45 op_sel_hi:[1,0,0]
	v_lshl_add_u64 v[40:41], v[22:23], 0, v[18:19]
	v_lshl_add_u64 v[22:23], v[22:23], 0, v[20:21]
	global_load_ubyte v40, v[40:41], off offset:96
	s_nop 0
	global_load_ubyte v22, v[22:23], off offset:104
	v_lshrrev_b32_e32 v23, 6, v44
	v_lshrrev_b32_e32 v41, 1, v43
	v_and_b32_e32 v23, 0x3030303, v23
	v_and_b32_e32 v41, 0x4040404, v41
	v_sub_u16_e32 v43, v23, v41
	s_waitcnt vmcnt(1)
	v_bfe_u32 v40, v40, v36, 4
	s_waitcnt vmcnt(0)
	v_lshrrev_b32_e32 v22, v37, v22
	v_lshlrev_b32_e32 v22, 4, v22
	v_and_or_b32 v22, v22, 48, v40
	v_lshrrev_b32_e32 v40, 30, v44
	v_sub_u16_sdwa v44, v23, v41 dst_sel:BYTE_1 dst_unused:UNUSED_PAD src0_sel:BYTE_1 src1_sel:BYTE_1
	v_sub_u16_sdwa v23, v23, v41 dst_sel:DWORD dst_unused:UNUSED_PAD src0_sel:WORD_1 src1_sel:WORD_1
	v_sub_u16_sdwa v40, v40, v41 dst_sel:BYTE_1 dst_unused:UNUSED_PAD src0_sel:DWORD src1_sel:BYTE_3
	v_bitop3_b16 v43, v43, v44, s4 bitop3:0xec
	v_bitop3_b16 v23, v23, v40, s4 bitop3:0xec
	v_lshlrev_b32_e32 v23, 16, v23
	v_or_b32_sdwa v23, v43, v23 dst_sel:DWORD dst_unused:UNUSED_PAD src0_sel:WORD_0 src1_sel:DWORD
	v_mov_b32_e32 v40, 0
	v_subrev_u32_e32 v22, 32, v22
	v_dot4c_i32_i8_e32 v40, v23, v52
	s_nop 2
	v_mul_lo_u32 v22, v22, v40
	v_cvt_f32_i32_e32 v22, v22
	v_fma_mix_f32 v22, v53, v22, v42 op_sel_hi:[1,0,0]
	s_nop 0
	v_fma_mix_f32 v35, v22, v39, v35 op_sel_hi:[0,1,0]
	s_andn2_b64 exec, exec, s[0:1]
	s_cbranch_execnz .LBB64_3
; %bb.4:
	s_or_b64 exec, exec, s[0:1]
.LBB64_5:
	s_or_b64 exec, exec, s[12:13]
	v_mbcnt_lo_u32_b32 v0, -1, 0
	v_mbcnt_hi_u32_b32 v1, -1, v0
	v_and_b32_e32 v0, 64, v1
	v_add_u32_e32 v2, 64, v0
	v_xor_b32_e32 v0, 32, v1
	v_cmp_lt_i32_e32 vcc, v0, v2
	v_xor_b32_e32 v3, 16, v1
	v_xor_b32_e32 v4, 8, v1
	v_cndmask_b32_e32 v0, v1, v0, vcc
	v_lshlrev_b32_e32 v0, 2, v0
	ds_bpermute_b32 v0, v0, v35
	v_cmp_lt_i32_e32 vcc, v3, v2
	s_waitcnt lgkmcnt(0)
	v_add_f32_e32 v0, v35, v0
	v_cndmask_b32_e32 v3, v1, v3, vcc
	v_lshlrev_b32_e32 v3, 2, v3
	ds_bpermute_b32 v3, v3, v0
	v_cmp_lt_i32_e32 vcc, v4, v2
	s_waitcnt lgkmcnt(0)
	v_add_f32_e32 v0, v0, v3
	v_cndmask_b32_e32 v3, v1, v4, vcc
	v_lshlrev_b32_e32 v3, 2, v3
	ds_bpermute_b32 v3, v3, v0
	v_xor_b32_e32 v4, 4, v1
	v_cmp_lt_i32_e32 vcc, v4, v2
	s_waitcnt lgkmcnt(0)
	v_add_f32_e32 v0, v0, v3
	v_cndmask_b32_e32 v3, v1, v4, vcc
	v_lshlrev_b32_e32 v3, 2, v3
	ds_bpermute_b32 v3, v3, v0
	v_xor_b32_e32 v4, 2, v1
	;; [unrolled: 7-line block ×3, first 2 shown]
	v_cmp_lt_i32_e32 vcc, v4, v2
	s_waitcnt lgkmcnt(0)
	v_add_f32_e32 v0, v0, v3
	v_cndmask_b32_e32 v1, v1, v4, vcc
	v_lshlrev_b32_e32 v1, 2, v1
	ds_bpermute_b32 v1, v1, v0
	v_cmp_eq_u32_e32 vcc, 0, v25
	s_and_b64 exec, exec, vcc
	s_cbranch_execz .LBB64_7
; %bb.6:
	s_mul_i32 s0, s5, s3
	s_waitcnt lgkmcnt(0)
	v_add_f32_e32 v2, v0, v1
	v_add_u32_e32 v0, s0, v24
	v_mov_b32_e32 v1, 0
	v_lshl_add_u64 v[0:1], v[0:1], 2, s[6:7]
	global_store_dword v[0:1], v2, off
.LBB64_7:
	s_endpgm
	.section	.rodata,"a",@progbits
	.p2align	6, 0x0
	.amdhsa_kernel _ZL13mul_mat_vec_qIfLi256ELi16E10block_q3_KLi1EXadL_ZL17vec_dot_q3_K_q8_1PKvPK10block_q8_1RKiEEEvS2_S2_PT_iii
		.amdhsa_group_segment_fixed_size 0
		.amdhsa_private_segment_fixed_size 0
		.amdhsa_kernarg_size 296
		.amdhsa_user_sgpr_count 2
		.amdhsa_user_sgpr_dispatch_ptr 0
		.amdhsa_user_sgpr_queue_ptr 0
		.amdhsa_user_sgpr_kernarg_segment_ptr 1
		.amdhsa_user_sgpr_dispatch_id 0
		.amdhsa_user_sgpr_kernarg_preload_length 0
		.amdhsa_user_sgpr_kernarg_preload_offset 0
		.amdhsa_user_sgpr_private_segment_size 0
		.amdhsa_uses_dynamic_stack 0
		.amdhsa_enable_private_segment 0
		.amdhsa_system_sgpr_workgroup_id_x 1
		.amdhsa_system_sgpr_workgroup_id_y 1
		.amdhsa_system_sgpr_workgroup_id_z 0
		.amdhsa_system_sgpr_workgroup_info 0
		.amdhsa_system_vgpr_workitem_id 1
		.amdhsa_next_free_vgpr 57
		.amdhsa_next_free_sgpr 16
		.amdhsa_accum_offset 60
		.amdhsa_reserve_vcc 1
		.amdhsa_float_round_mode_32 0
		.amdhsa_float_round_mode_16_64 0
		.amdhsa_float_denorm_mode_32 3
		.amdhsa_float_denorm_mode_16_64 3
		.amdhsa_dx10_clamp 1
		.amdhsa_ieee_mode 1
		.amdhsa_fp16_overflow 0
		.amdhsa_tg_split 0
		.amdhsa_exception_fp_ieee_invalid_op 0
		.amdhsa_exception_fp_denorm_src 0
		.amdhsa_exception_fp_ieee_div_zero 0
		.amdhsa_exception_fp_ieee_overflow 0
		.amdhsa_exception_fp_ieee_underflow 0
		.amdhsa_exception_fp_ieee_inexact 0
		.amdhsa_exception_int_div_zero 0
	.end_amdhsa_kernel
	.section	.text._ZL13mul_mat_vec_qIfLi256ELi16E10block_q3_KLi1EXadL_ZL17vec_dot_q3_K_q8_1PKvPK10block_q8_1RKiEEEvS2_S2_PT_iii,"axG",@progbits,_ZL13mul_mat_vec_qIfLi256ELi16E10block_q3_KLi1EXadL_ZL17vec_dot_q3_K_q8_1PKvPK10block_q8_1RKiEEEvS2_S2_PT_iii,comdat
.Lfunc_end64:
	.size	_ZL13mul_mat_vec_qIfLi256ELi16E10block_q3_KLi1EXadL_ZL17vec_dot_q3_K_q8_1PKvPK10block_q8_1RKiEEEvS2_S2_PT_iii, .Lfunc_end64-_ZL13mul_mat_vec_qIfLi256ELi16E10block_q3_KLi1EXadL_ZL17vec_dot_q3_K_q8_1PKvPK10block_q8_1RKiEEEvS2_S2_PT_iii
                                        ; -- End function
	.set _ZL13mul_mat_vec_qIfLi256ELi16E10block_q3_KLi1EXadL_ZL17vec_dot_q3_K_q8_1PKvPK10block_q8_1RKiEEEvS2_S2_PT_iii.num_vgpr, 57
	.set _ZL13mul_mat_vec_qIfLi256ELi16E10block_q3_KLi1EXadL_ZL17vec_dot_q3_K_q8_1PKvPK10block_q8_1RKiEEEvS2_S2_PT_iii.num_agpr, 0
	.set _ZL13mul_mat_vec_qIfLi256ELi16E10block_q3_KLi1EXadL_ZL17vec_dot_q3_K_q8_1PKvPK10block_q8_1RKiEEEvS2_S2_PT_iii.numbered_sgpr, 16
	.set _ZL13mul_mat_vec_qIfLi256ELi16E10block_q3_KLi1EXadL_ZL17vec_dot_q3_K_q8_1PKvPK10block_q8_1RKiEEEvS2_S2_PT_iii.num_named_barrier, 0
	.set _ZL13mul_mat_vec_qIfLi256ELi16E10block_q3_KLi1EXadL_ZL17vec_dot_q3_K_q8_1PKvPK10block_q8_1RKiEEEvS2_S2_PT_iii.private_seg_size, 0
	.set _ZL13mul_mat_vec_qIfLi256ELi16E10block_q3_KLi1EXadL_ZL17vec_dot_q3_K_q8_1PKvPK10block_q8_1RKiEEEvS2_S2_PT_iii.uses_vcc, 1
	.set _ZL13mul_mat_vec_qIfLi256ELi16E10block_q3_KLi1EXadL_ZL17vec_dot_q3_K_q8_1PKvPK10block_q8_1RKiEEEvS2_S2_PT_iii.uses_flat_scratch, 0
	.set _ZL13mul_mat_vec_qIfLi256ELi16E10block_q3_KLi1EXadL_ZL17vec_dot_q3_K_q8_1PKvPK10block_q8_1RKiEEEvS2_S2_PT_iii.has_dyn_sized_stack, 0
	.set _ZL13mul_mat_vec_qIfLi256ELi16E10block_q3_KLi1EXadL_ZL17vec_dot_q3_K_q8_1PKvPK10block_q8_1RKiEEEvS2_S2_PT_iii.has_recursion, 0
	.set _ZL13mul_mat_vec_qIfLi256ELi16E10block_q3_KLi1EXadL_ZL17vec_dot_q3_K_q8_1PKvPK10block_q8_1RKiEEEvS2_S2_PT_iii.has_indirect_call, 0
	.section	.AMDGPU.csdata,"",@progbits
; Kernel info:
; codeLenInByte = 1948
; TotalNumSgprs: 22
; NumVgprs: 57
; NumAgprs: 0
; TotalNumVgprs: 57
; ScratchSize: 0
; MemoryBound: 0
; FloatMode: 240
; IeeeMode: 1
; LDSByteSize: 0 bytes/workgroup (compile time only)
; SGPRBlocks: 2
; VGPRBlocks: 7
; NumSGPRsForWavesPerEU: 22
; NumVGPRsForWavesPerEU: 57
; AccumOffset: 60
; Occupancy: 8
; WaveLimiterHint : 0
; COMPUTE_PGM_RSRC2:SCRATCH_EN: 0
; COMPUTE_PGM_RSRC2:USER_SGPR: 2
; COMPUTE_PGM_RSRC2:TRAP_HANDLER: 0
; COMPUTE_PGM_RSRC2:TGID_X_EN: 1
; COMPUTE_PGM_RSRC2:TGID_Y_EN: 1
; COMPUTE_PGM_RSRC2:TGID_Z_EN: 0
; COMPUTE_PGM_RSRC2:TIDIG_COMP_CNT: 1
; COMPUTE_PGM_RSRC3_GFX90A:ACCUM_OFFSET: 14
; COMPUTE_PGM_RSRC3_GFX90A:TG_SPLIT: 0
	.section	.text._ZL13mul_mat_vec_qIfLi256ELi32E10block_q4_KLi2EXadL_ZL17vec_dot_q4_K_q8_1PKvPK10block_q8_1RKiEEEvS2_S2_PT_iii,"axG",@progbits,_ZL13mul_mat_vec_qIfLi256ELi32E10block_q4_KLi2EXadL_ZL17vec_dot_q4_K_q8_1PKvPK10block_q8_1RKiEEEvS2_S2_PT_iii,comdat
	.globl	_ZL13mul_mat_vec_qIfLi256ELi32E10block_q4_KLi2EXadL_ZL17vec_dot_q4_K_q8_1PKvPK10block_q8_1RKiEEEvS2_S2_PT_iii ; -- Begin function _ZL13mul_mat_vec_qIfLi256ELi32E10block_q4_KLi2EXadL_ZL17vec_dot_q4_K_q8_1PKvPK10block_q8_1RKiEEEvS2_S2_PT_iii
	.p2align	8
	.type	_ZL13mul_mat_vec_qIfLi256ELi32E10block_q4_KLi2EXadL_ZL17vec_dot_q4_K_q8_1PKvPK10block_q8_1RKiEEEvS2_S2_PT_iii,@function
_ZL13mul_mat_vec_qIfLi256ELi32E10block_q4_KLi2EXadL_ZL17vec_dot_q4_K_q8_1PKvPK10block_q8_1RKiEEEvS2_S2_PT_iii: ; @_ZL13mul_mat_vec_qIfLi256ELi32E10block_q4_KLi2EXadL_ZL17vec_dot_q4_K_q8_1PKvPK10block_q8_1RKiEEEvS2_S2_PT_iii
; %bb.0:
	s_load_dword s8, s[0:1], 0x34
	s_load_dwordx4 s[4:7], s[0:1], 0x18
	v_bfe_u32 v1, v0, 10, 10
	s_waitcnt lgkmcnt(0)
	s_lshr_b32 s7, s8, 16
	s_mul_i32 s2, s2, s7
	v_add_u32_e32 v16, s2, v1
	s_cmp_lt_u32 s3, s6
	v_cmp_gt_u32_e32 vcc, s5, v16
	s_cselect_b64 s[6:7], -1, 0
	s_and_b64 s[6:7], s[6:7], vcc
	s_and_saveexec_b64 s[8:9], s[6:7]
	s_cbranch_execz .LBB65_11
; %bb.1:
	s_load_dwordx2 s[6:7], s[0:1], 0x10
	s_ashr_i32 s2, s4, 31
	s_lshr_b32 s2, s2, 24
	s_add_i32 s2, s4, s2
	s_ashr_i32 s2, s2, 8
	v_bfe_u32 v18, v0, 4, 6
	v_and_b32_e32 v17, 0x3ff, v0
	v_cmp_gt_u32_e32 vcc, s2, v18
	v_mov_b32_e32 v20, 0
	s_and_saveexec_b64 s[8:9], vcc
	s_cbranch_execz .LBB65_9
; %bb.2:
	s_load_dwordx4 s[12:15], s[0:1], 0x0
	s_add_i32 s0, s4, 0x1ff
	s_ashr_i32 s1, s0, 31
	s_lshr_b32 s1, s1, 23
	s_add_i32 s0, s0, s1
	v_lshlrev_b32_e32 v0, 1, v17
	s_ashr_i32 s0, s0, 9
	v_and_b32_e32 v4, 30, v0
	v_bfe_u32 v8, v0, 3, 2
	s_mul_i32 s4, s3, s0
	v_mov_b32_e32 v1, 0
	v_and_b32_e32 v10, 3, v17
	v_cmp_lt_u32_e32 vcc, 15, v4
	v_lshlrev_b32_e32 v4, 1, v8
	v_lshlrev_b32_e32 v6, 3, v18
	v_mul_lo_u32 v19, v16, s2
	v_lshlrev_b32_e32 v0, 5, v8
	v_lshlrev_b32_e32 v2, 2, v10
	v_mov_b32_e32 v3, v1
	s_waitcnt lgkmcnt(0)
	v_mad_u64_u32 v[4:5], s[0:1], v4, 36, s[14:15]
	v_lshl_add_u32 v21, s4, 4, v6
	s_mov_b64 s[10:11], 0
	s_movk_i32 s4, 0x90
	v_mov_b64_e32 v[6:7], s[12:13]
	v_lshlrev_b32_e32 v8, 1, v8
	v_mov_b32_e32 v9, v1
	s_mov_b32 s12, 0x5040100
	s_mov_b32 s13, 0x30303030
	v_lshlrev_b32_e32 v10, 2, v10
	v_mov_b32_e32 v11, v1
	s_movk_i32 s14, 0xff
	v_mov_b32_e32 v22, 0xff00ff
	v_mov_b32_e32 v20, v1
	s_branch .LBB65_4
.LBB65_3:                               ;   in Loop: Header=BB65_4 Depth=1
	s_or_b64 exec, exec, s[0:1]
	v_mad_i64_i32 v[14:15], s[0:1], v21, 36, v[4:5]
	v_lshl_add_u64 v[26:27], v[14:15], 0, v[10:11]
	global_load_dword v30, v[12:13], off
	global_load_dword v28, v[14:15], off
	global_load_dword v29, v[26:27], off offset:20
	global_load_dword v31, v[26:27], off offset:40
	;; [unrolled: 1-line block ×5, first 2 shown]
	s_waitcnt vmcnt(8)
	v_and_b32_e32 v15, 0xf0f0f0f, v24
	v_mov_b32_e32 v27, 0
	v_mov_b32_e32 v35, 0
	v_lshrrev_b32_e32 v14, 4, v24
	s_waitcnt vmcnt(7)
	v_and_b32_e32 v26, 0xf0f0f0f, v23
	v_and_b32_e32 v13, 0xff00ff, v25
	v_lshrrev_b32_e32 v23, 4, v23
	v_mov_b32_e32 v36, 0
	v_mov_b32_e32 v37, 0
	v_and_b32_e32 v38, 0xf0f0f0f, v14
	v_pk_lshrrev_b16 v12, 8, v25 op_sel_hi:[0,1]
	v_bitop3_b32 v25, v25, s14, v22 bitop3:0x80
	v_and_b32_e32 v23, 0xf0f0f0f, v23
	v_lshrrev_b32_e32 v40, 16, v13
	v_lshrrev_b32_e32 v39, 16, v12
	v_and_b32_e32 v12, 0xff, v12
	v_add_u32_e32 v18, 4, v18
	v_cmp_le_u32_e64 s[0:1], s2, v18
	s_or_b64 s[10:11], s[0:1], s[10:11]
	v_add_u32_e32 v21, 32, v21
	s_waitcnt vmcnt(6)
	v_cvt_f32_f16_sdwa v13, v30 dst_sel:DWORD dst_unused:UNUSED_PAD src0_sel:WORD_1
	s_waitcnt vmcnt(5)
	v_cvt_f32_f16_e32 v14, v28
	s_waitcnt vmcnt(3)
	v_dot4c_i32_i8_e32 v36, v38, v31
	v_dot4c_i32_i8_e32 v37, 0x1010101, v31
	s_waitcnt vmcnt(2)
	v_dot4c_i32_i8_e32 v36, v23, v32
	s_waitcnt vmcnt(0)
	v_dot4c_i32_i8_e32 v27, v15, v34
	v_dot4c_i32_i8_e32 v35, 0x1010101, v34
	;; [unrolled: 1-line block ×5, first 2 shown]
	v_mul_lo_u32 v12, v36, v12
	v_mul_lo_u32 v15, v27, v25
	;; [unrolled: 1-line block ×4, first 2 shown]
	v_cvt_f32_i32_e32 v27, v23
	v_cvt_f32_i32_e32 v26, v15
	v_cvt_f32_f16_e32 v24, v33
	v_cvt_f32_i32_e32 v29, v25
	v_cvt_f32_i32_e32 v28, v12
	v_cvt_f32_f16_e32 v12, v30
	v_pk_fma_f32 v[14:15], v[14:15], v[26:27], 0 op_sel_hi:[0,1,0]
	v_pk_fma_f32 v[14:15], v[24:25], v[28:29], v[14:15] op_sel_hi:[0,1,1]
	v_pk_mul_f32 v[12:13], v[14:15], v[12:13]
	s_nop 0
	v_sub_f32_e32 v12, v12, v13
	v_add_f32_e32 v20, v20, v12
	s_andn2_b64 exec, exec, s[10:11]
	s_cbranch_execz .LBB65_8
.LBB65_4:                               ; =>This Inner Loop Header: Depth=1
	v_add_u32_e32 v12, v19, v18
	v_mad_i64_i32 v[12:13], s[0:1], v12, s4, v[6:7]
	v_lshl_add_u64 v[14:15], v[12:13], 0, v[0:1]
	v_lshl_add_u64 v[14:15], v[14:15], 0, v[2:3]
	global_load_dword v24, v[14:15], off offset:16
	global_load_dword v23, v[14:15], off offset:32
	v_lshl_add_u64 v[14:15], v[12:13], 0, v[8:9]
                                        ; implicit-def: $vgpr25
	s_and_saveexec_b64 s[0:1], vcc
	s_xor_b64 s[0:1], exec, s[0:1]
	s_cbranch_execz .LBB65_6
; %bb.5:                                ;   in Loop: Header=BB65_4 Depth=1
	global_load_ushort v25, v[14:15], off
	global_load_ushort v26, v[14:15], off offset:8
	global_load_ushort v27, v[14:15], off offset:4
	s_waitcnt vmcnt(1)
	v_pk_lshrrev_b16 v14, 4, v26 op_sel:[1,0] op_sel_hi:[0,0]
	s_waitcnt vmcnt(0)
	v_perm_b32 v15, v27, v25, s12
	v_and_b32_e32 v14, 0xf0f0f0f, v14
	v_pk_lshrrev_b16 v15, 2, v15 op_sel_hi:[0,1]
	v_and_or_b32 v25, v15, s13, v14
                                        ; implicit-def: $vgpr14_vgpr15
.LBB65_6:                               ;   in Loop: Header=BB65_4 Depth=1
	s_andn2_saveexec_b64 s[0:1], s[0:1]
	s_cbranch_execz .LBB65_3
; %bb.7:                                ;   in Loop: Header=BB65_4 Depth=1
	global_load_ushort v25, v[14:15], off offset:4
	global_load_ushort v26, v[14:15], off offset:8
	s_waitcnt vmcnt(0)
	v_perm_b32 v14, v26, v25, s12
	v_and_b32_e32 v25, 0x3f3f3f3f, v14
	s_branch .LBB65_3
.LBB65_8:
	s_or_b64 exec, exec, s[10:11]
.LBB65_9:
	s_or_b64 exec, exec, s[8:9]
	v_mbcnt_lo_u32_b32 v0, -1, 0
	v_mbcnt_hi_u32_b32 v1, -1, v0
	v_and_b32_e32 v0, 64, v1
	v_add_u32_e32 v2, 64, v0
	v_xor_b32_e32 v0, 32, v1
	v_cmp_lt_i32_e32 vcc, v0, v2
	v_xor_b32_e32 v3, 16, v1
	v_xor_b32_e32 v4, 8, v1
	v_cndmask_b32_e32 v0, v1, v0, vcc
	v_lshlrev_b32_e32 v0, 2, v0
	ds_bpermute_b32 v0, v0, v20
	v_cmp_lt_i32_e32 vcc, v3, v2
	s_waitcnt lgkmcnt(0)
	v_add_f32_e32 v0, v20, v0
	v_cndmask_b32_e32 v3, v1, v3, vcc
	v_lshlrev_b32_e32 v3, 2, v3
	ds_bpermute_b32 v3, v3, v0
	v_cmp_lt_i32_e32 vcc, v4, v2
	s_waitcnt lgkmcnt(0)
	v_add_f32_e32 v0, v0, v3
	v_cndmask_b32_e32 v3, v1, v4, vcc
	v_lshlrev_b32_e32 v3, 2, v3
	ds_bpermute_b32 v3, v3, v0
	v_xor_b32_e32 v4, 4, v1
	v_cmp_lt_i32_e32 vcc, v4, v2
	s_waitcnt lgkmcnt(0)
	v_add_f32_e32 v0, v0, v3
	v_cndmask_b32_e32 v3, v1, v4, vcc
	v_lshlrev_b32_e32 v3, 2, v3
	ds_bpermute_b32 v3, v3, v0
	v_xor_b32_e32 v4, 2, v1
	;; [unrolled: 7-line block ×3, first 2 shown]
	v_cmp_lt_i32_e32 vcc, v4, v2
	s_waitcnt lgkmcnt(0)
	v_add_f32_e32 v0, v0, v3
	v_cndmask_b32_e32 v1, v1, v4, vcc
	v_lshlrev_b32_e32 v1, 2, v1
	ds_bpermute_b32 v1, v1, v0
	v_cmp_eq_u32_e32 vcc, 0, v17
	s_and_b64 exec, exec, vcc
	s_cbranch_execz .LBB65_11
; %bb.10:
	s_mul_i32 s0, s5, s3
	s_waitcnt lgkmcnt(0)
	v_add_f32_e32 v2, v0, v1
	v_add_u32_e32 v0, s0, v16
	v_mov_b32_e32 v1, 0
	v_lshl_add_u64 v[0:1], v[0:1], 2, s[6:7]
	global_store_dword v[0:1], v2, off
.LBB65_11:
	s_endpgm
	.section	.rodata,"a",@progbits
	.p2align	6, 0x0
	.amdhsa_kernel _ZL13mul_mat_vec_qIfLi256ELi32E10block_q4_KLi2EXadL_ZL17vec_dot_q4_K_q8_1PKvPK10block_q8_1RKiEEEvS2_S2_PT_iii
		.amdhsa_group_segment_fixed_size 0
		.amdhsa_private_segment_fixed_size 0
		.amdhsa_kernarg_size 296
		.amdhsa_user_sgpr_count 2
		.amdhsa_user_sgpr_dispatch_ptr 0
		.amdhsa_user_sgpr_queue_ptr 0
		.amdhsa_user_sgpr_kernarg_segment_ptr 1
		.amdhsa_user_sgpr_dispatch_id 0
		.amdhsa_user_sgpr_kernarg_preload_length 0
		.amdhsa_user_sgpr_kernarg_preload_offset 0
		.amdhsa_user_sgpr_private_segment_size 0
		.amdhsa_uses_dynamic_stack 0
		.amdhsa_enable_private_segment 0
		.amdhsa_system_sgpr_workgroup_id_x 1
		.amdhsa_system_sgpr_workgroup_id_y 1
		.amdhsa_system_sgpr_workgroup_id_z 0
		.amdhsa_system_sgpr_workgroup_info 0
		.amdhsa_system_vgpr_workitem_id 1
		.amdhsa_next_free_vgpr 41
		.amdhsa_next_free_sgpr 16
		.amdhsa_accum_offset 44
		.amdhsa_reserve_vcc 1
		.amdhsa_float_round_mode_32 0
		.amdhsa_float_round_mode_16_64 0
		.amdhsa_float_denorm_mode_32 3
		.amdhsa_float_denorm_mode_16_64 3
		.amdhsa_dx10_clamp 1
		.amdhsa_ieee_mode 1
		.amdhsa_fp16_overflow 0
		.amdhsa_tg_split 0
		.amdhsa_exception_fp_ieee_invalid_op 0
		.amdhsa_exception_fp_denorm_src 0
		.amdhsa_exception_fp_ieee_div_zero 0
		.amdhsa_exception_fp_ieee_overflow 0
		.amdhsa_exception_fp_ieee_underflow 0
		.amdhsa_exception_fp_ieee_inexact 0
		.amdhsa_exception_int_div_zero 0
	.end_amdhsa_kernel
	.section	.text._ZL13mul_mat_vec_qIfLi256ELi32E10block_q4_KLi2EXadL_ZL17vec_dot_q4_K_q8_1PKvPK10block_q8_1RKiEEEvS2_S2_PT_iii,"axG",@progbits,_ZL13mul_mat_vec_qIfLi256ELi32E10block_q4_KLi2EXadL_ZL17vec_dot_q4_K_q8_1PKvPK10block_q8_1RKiEEEvS2_S2_PT_iii,comdat
.Lfunc_end65:
	.size	_ZL13mul_mat_vec_qIfLi256ELi32E10block_q4_KLi2EXadL_ZL17vec_dot_q4_K_q8_1PKvPK10block_q8_1RKiEEEvS2_S2_PT_iii, .Lfunc_end65-_ZL13mul_mat_vec_qIfLi256ELi32E10block_q4_KLi2EXadL_ZL17vec_dot_q4_K_q8_1PKvPK10block_q8_1RKiEEEvS2_S2_PT_iii
                                        ; -- End function
	.set _ZL13mul_mat_vec_qIfLi256ELi32E10block_q4_KLi2EXadL_ZL17vec_dot_q4_K_q8_1PKvPK10block_q8_1RKiEEEvS2_S2_PT_iii.num_vgpr, 41
	.set _ZL13mul_mat_vec_qIfLi256ELi32E10block_q4_KLi2EXadL_ZL17vec_dot_q4_K_q8_1PKvPK10block_q8_1RKiEEEvS2_S2_PT_iii.num_agpr, 0
	.set _ZL13mul_mat_vec_qIfLi256ELi32E10block_q4_KLi2EXadL_ZL17vec_dot_q4_K_q8_1PKvPK10block_q8_1RKiEEEvS2_S2_PT_iii.numbered_sgpr, 16
	.set _ZL13mul_mat_vec_qIfLi256ELi32E10block_q4_KLi2EXadL_ZL17vec_dot_q4_K_q8_1PKvPK10block_q8_1RKiEEEvS2_S2_PT_iii.num_named_barrier, 0
	.set _ZL13mul_mat_vec_qIfLi256ELi32E10block_q4_KLi2EXadL_ZL17vec_dot_q4_K_q8_1PKvPK10block_q8_1RKiEEEvS2_S2_PT_iii.private_seg_size, 0
	.set _ZL13mul_mat_vec_qIfLi256ELi32E10block_q4_KLi2EXadL_ZL17vec_dot_q4_K_q8_1PKvPK10block_q8_1RKiEEEvS2_S2_PT_iii.uses_vcc, 1
	.set _ZL13mul_mat_vec_qIfLi256ELi32E10block_q4_KLi2EXadL_ZL17vec_dot_q4_K_q8_1PKvPK10block_q8_1RKiEEEvS2_S2_PT_iii.uses_flat_scratch, 0
	.set _ZL13mul_mat_vec_qIfLi256ELi32E10block_q4_KLi2EXadL_ZL17vec_dot_q4_K_q8_1PKvPK10block_q8_1RKiEEEvS2_S2_PT_iii.has_dyn_sized_stack, 0
	.set _ZL13mul_mat_vec_qIfLi256ELi32E10block_q4_KLi2EXadL_ZL17vec_dot_q4_K_q8_1PKvPK10block_q8_1RKiEEEvS2_S2_PT_iii.has_recursion, 0
	.set _ZL13mul_mat_vec_qIfLi256ELi32E10block_q4_KLi2EXadL_ZL17vec_dot_q4_K_q8_1PKvPK10block_q8_1RKiEEEvS2_S2_PT_iii.has_indirect_call, 0
	.section	.AMDGPU.csdata,"",@progbits
; Kernel info:
; codeLenInByte = 1128
; TotalNumSgprs: 22
; NumVgprs: 41
; NumAgprs: 0
; TotalNumVgprs: 41
; ScratchSize: 0
; MemoryBound: 0
; FloatMode: 240
; IeeeMode: 1
; LDSByteSize: 0 bytes/workgroup (compile time only)
; SGPRBlocks: 2
; VGPRBlocks: 5
; NumSGPRsForWavesPerEU: 22
; NumVGPRsForWavesPerEU: 41
; AccumOffset: 44
; Occupancy: 8
; WaveLimiterHint : 0
; COMPUTE_PGM_RSRC2:SCRATCH_EN: 0
; COMPUTE_PGM_RSRC2:USER_SGPR: 2
; COMPUTE_PGM_RSRC2:TRAP_HANDLER: 0
; COMPUTE_PGM_RSRC2:TGID_X_EN: 1
; COMPUTE_PGM_RSRC2:TGID_Y_EN: 1
; COMPUTE_PGM_RSRC2:TGID_Z_EN: 0
; COMPUTE_PGM_RSRC2:TIDIG_COMP_CNT: 1
; COMPUTE_PGM_RSRC3_GFX90A:ACCUM_OFFSET: 10
; COMPUTE_PGM_RSRC3_GFX90A:TG_SPLIT: 0
	.section	.text._ZL13mul_mat_vec_qIfLi256ELi32E10block_q5_KLi2EXadL_ZL17vec_dot_q5_K_q8_1PKvPK10block_q8_1RKiEEEvS2_S2_PT_iii,"axG",@progbits,_ZL13mul_mat_vec_qIfLi256ELi32E10block_q5_KLi2EXadL_ZL17vec_dot_q5_K_q8_1PKvPK10block_q8_1RKiEEEvS2_S2_PT_iii,comdat
	.globl	_ZL13mul_mat_vec_qIfLi256ELi32E10block_q5_KLi2EXadL_ZL17vec_dot_q5_K_q8_1PKvPK10block_q8_1RKiEEEvS2_S2_PT_iii ; -- Begin function _ZL13mul_mat_vec_qIfLi256ELi32E10block_q5_KLi2EXadL_ZL17vec_dot_q5_K_q8_1PKvPK10block_q8_1RKiEEEvS2_S2_PT_iii
	.p2align	8
	.type	_ZL13mul_mat_vec_qIfLi256ELi32E10block_q5_KLi2EXadL_ZL17vec_dot_q5_K_q8_1PKvPK10block_q8_1RKiEEEvS2_S2_PT_iii,@function
_ZL13mul_mat_vec_qIfLi256ELi32E10block_q5_KLi2EXadL_ZL17vec_dot_q5_K_q8_1PKvPK10block_q8_1RKiEEEvS2_S2_PT_iii: ; @_ZL13mul_mat_vec_qIfLi256ELi32E10block_q5_KLi2EXadL_ZL17vec_dot_q5_K_q8_1PKvPK10block_q8_1RKiEEEvS2_S2_PT_iii
; %bb.0:
	s_load_dword s8, s[0:1], 0x34
	s_load_dwordx4 s[4:7], s[0:1], 0x18
	v_bfe_u32 v1, v0, 10, 10
	s_waitcnt lgkmcnt(0)
	s_lshr_b32 s7, s8, 16
	s_mul_i32 s2, s2, s7
	v_add_u32_e32 v16, s2, v1
	s_cmp_lt_u32 s3, s6
	v_cmp_gt_u32_e32 vcc, s5, v16
	s_cselect_b64 s[6:7], -1, 0
	s_and_b64 s[6:7], s[6:7], vcc
	s_and_saveexec_b64 s[8:9], s[6:7]
	s_cbranch_execz .LBB66_11
; %bb.1:
	s_load_dwordx2 s[6:7], s[0:1], 0x10
	s_ashr_i32 s2, s4, 31
	s_lshr_b32 s2, s2, 24
	s_add_i32 s2, s4, s2
	s_ashr_i32 s2, s2, 8
	v_bfe_u32 v18, v0, 4, 6
	v_and_b32_e32 v17, 0x3ff, v0
	v_cmp_gt_u32_e32 vcc, s2, v18
	v_mov_b32_e32 v20, 0
	s_and_saveexec_b64 s[8:9], vcc
	s_cbranch_execz .LBB66_9
; %bb.2:
	s_load_dwordx4 s[12:15], s[0:1], 0x0
	s_add_i32 s0, s4, 0x1ff
	s_ashr_i32 s1, s0, 31
	s_lshr_b32 s1, s1, 23
	s_add_i32 s0, s0, s1
	v_lshlrev_b32_e32 v0, 1, v17
	s_ashr_i32 s0, s0, 9
	v_bfe_u32 v8, v0, 3, 2
	s_mul_i32 s4, s3, s0
	v_and_b32_e32 v4, 30, v0
	v_mov_b32_e32 v1, 0
	v_and_b32_e32 v10, 3, v17
	v_lshlrev_b32_e32 v21, 1, v8
	v_lshlrev_b32_e32 v6, 3, v18
	v_mul_lo_u32 v19, v16, s2
	v_lshlrev_b32_e32 v0, 5, v8
	v_lshlrev_b32_e32 v2, 2, v10
	v_mov_b32_e32 v3, v1
	v_cmp_lt_u32_e32 vcc, 15, v4
	s_waitcnt lgkmcnt(0)
	v_mad_u64_u32 v[4:5], s[0:1], v21, 36, s[14:15]
	v_lshl_add_u32 v22, s4, 4, v6
	s_mov_b64 s[10:11], 0
	s_movk_i32 s4, 0xb0
	v_mov_b64_e32 v[6:7], s[12:13]
	v_lshlrev_b32_e32 v8, 1, v8
	v_mov_b32_e32 v9, v1
	s_mov_b32 s12, 0x5040100
	s_mov_b32 s13, 0x30303030
	v_lshlrev_b32_e32 v10, 2, v10
	v_mov_b32_e32 v11, v1
	s_mov_b32 s14, 0x10101010
	s_movk_i32 s15, 0xff
	v_mov_b32_e32 v23, 0xff00ff
	v_mov_b32_e32 v20, v1
	s_branch .LBB66_4
.LBB66_3:                               ;   in Loop: Header=BB66_4 Depth=1
	s_or_b64 exec, exec, s[0:1]
	v_mad_i64_i32 v[14:15], s[0:1], v22, 36, v[4:5]
	v_lshl_add_u64 v[30:31], v[14:15], 0, v[10:11]
	global_load_dword v32, v[12:13], off
	global_load_dword v29, v[14:15], off
	global_load_dword v33, v[30:31], off offset:20
	global_load_dword v34, v[30:31], off offset:40
	;; [unrolled: 1-line block ×5, first 2 shown]
	s_waitcnt vmcnt(7)
	v_ashrrev_i32_e32 v13, v21, v28
	v_ashrrev_i32_e32 v14, v21, v27
	v_and_b32_e32 v27, 0xf0f0f0f, v24
	v_lshrrev_b32_e32 v24, 4, v24
	v_lshlrev_b32_e32 v41, 4, v13
	v_and_b32_e32 v15, 0xf0f0f0f, v25
	v_mov_b32_e32 v28, 0
	v_mov_b32_e32 v30, 0
	v_lshrrev_b32_e32 v25, 4, v25
	v_lshlrev_b32_e32 v40, 4, v14
	v_and_b32_e32 v24, 0xf0f0f0f, v24
	v_lshlrev_b32_e32 v13, 3, v13
	v_and_or_b32 v27, v41, s14, v27
	v_and_b32_e32 v31, 0xff00ff, v26
	v_mov_b32_e32 v38, 0
	v_mov_b32_e32 v39, 0
	v_and_b32_e32 v25, 0xf0f0f0f, v25
	v_lshlrev_b32_e32 v14, 3, v14
	v_and_or_b32 v15, v40, s14, v15
	v_and_or_b32 v40, v13, s14, v24
	v_pk_lshrrev_b16 v12, 8, v26 op_sel_hi:[0,1]
	v_bitop3_b32 v26, v26, s15, v23 bitop3:0x80
	v_lshrrev_b32_e32 v31, 16, v31
	v_and_or_b32 v25, v14, s14, v25
	v_lshrrev_b32_e32 v42, 16, v12
	v_and_b32_e32 v12, 0xff, v12
	v_add_u32_e32 v18, 4, v18
	v_cmp_le_u32_e64 s[0:1], s2, v18
	s_or_b64 s[10:11], s[0:1], s[10:11]
	v_add_u32_e32 v22, 32, v22
	s_waitcnt vmcnt(6)
	v_cvt_f32_f16_sdwa v13, v32 dst_sel:DWORD dst_unused:UNUSED_PAD src0_sel:WORD_1
	s_waitcnt vmcnt(5)
	v_cvt_f32_f16_e32 v14, v29
	s_waitcnt vmcnt(4)
	v_dot4c_i32_i8_e32 v28, v27, v33
	v_dot4c_i32_i8_e32 v30, 0x1010101, v33
	s_waitcnt vmcnt(2)
	v_dot4c_i32_i8_e32 v38, v40, v35
	v_dot4c_i32_i8_e32 v39, 0x1010101, v35
	;; [unrolled: 3-line block ×3, first 2 shown]
	v_dot4c_i32_i8_e32 v38, v25, v34
	v_dot4c_i32_i8_e32 v39, 0x1010101, v34
	v_mul_lo_u32 v15, v28, v26
	v_mul_lo_u32 v25, v30, v31
	;; [unrolled: 1-line block ×4, first 2 shown]
	v_cvt_f32_i32_e32 v27, v25
	v_cvt_f32_i32_e32 v26, v15
	v_cvt_f32_f16_e32 v24, v36
	v_cvt_f32_i32_e32 v29, v28
	v_cvt_f32_i32_e32 v28, v12
	v_cvt_f32_f16_e32 v12, v32
	v_pk_fma_f32 v[14:15], v[14:15], v[26:27], 0 op_sel_hi:[0,1,0]
	v_pk_fma_f32 v[14:15], v[24:25], v[28:29], v[14:15] op_sel_hi:[0,1,1]
	v_pk_mul_f32 v[12:13], v[14:15], v[12:13]
	s_nop 0
	v_sub_f32_e32 v12, v12, v13
	v_add_f32_e32 v20, v20, v12
	s_andn2_b64 exec, exec, s[10:11]
	s_cbranch_execz .LBB66_8
.LBB66_4:                               ; =>This Inner Loop Header: Depth=1
	v_add_u32_e32 v12, v19, v18
	v_mad_i64_i32 v[12:13], s[0:1], v12, s4, v[6:7]
	v_lshl_add_u64 v[14:15], v[12:13], 0, v[0:1]
	v_lshl_add_u64 v[14:15], v[14:15], 0, v[2:3]
	;; [unrolled: 1-line block ×3, first 2 shown]
	global_load_dword v25, v[14:15], off offset:48
	global_load_dword v24, v[14:15], off offset:64
	;; [unrolled: 1-line block ×4, first 2 shown]
	v_lshl_add_u64 v[14:15], v[12:13], 0, v[8:9]
                                        ; implicit-def: $vgpr26
	s_and_saveexec_b64 s[0:1], vcc
	s_xor_b64 s[0:1], exec, s[0:1]
	s_cbranch_execz .LBB66_6
; %bb.5:                                ;   in Loop: Header=BB66_4 Depth=1
	global_load_ushort v26, v[14:15], off
	global_load_ushort v29, v[14:15], off offset:8
	global_load_ushort v30, v[14:15], off offset:4
	s_waitcnt vmcnt(1)
	v_pk_lshrrev_b16 v14, 4, v29 op_sel:[1,0] op_sel_hi:[0,0]
	s_waitcnt vmcnt(0)
	v_perm_b32 v15, v30, v26, s12
	v_and_b32_e32 v14, 0xf0f0f0f, v14
	v_pk_lshrrev_b16 v15, 2, v15 op_sel_hi:[0,1]
	v_and_or_b32 v26, v15, s13, v14
                                        ; implicit-def: $vgpr14_vgpr15
.LBB66_6:                               ;   in Loop: Header=BB66_4 Depth=1
	s_andn2_saveexec_b64 s[0:1], s[0:1]
	s_cbranch_execz .LBB66_3
; %bb.7:                                ;   in Loop: Header=BB66_4 Depth=1
	global_load_ushort v26, v[14:15], off offset:4
	global_load_ushort v29, v[14:15], off offset:8
	s_waitcnt vmcnt(0)
	v_perm_b32 v14, v29, v26, s12
	v_and_b32_e32 v26, 0x3f3f3f3f, v14
	s_branch .LBB66_3
.LBB66_8:
	s_or_b64 exec, exec, s[10:11]
.LBB66_9:
	s_or_b64 exec, exec, s[8:9]
	v_mbcnt_lo_u32_b32 v0, -1, 0
	v_mbcnt_hi_u32_b32 v1, -1, v0
	v_and_b32_e32 v0, 64, v1
	v_add_u32_e32 v2, 64, v0
	v_xor_b32_e32 v0, 32, v1
	v_cmp_lt_i32_e32 vcc, v0, v2
	v_xor_b32_e32 v3, 16, v1
	v_xor_b32_e32 v4, 8, v1
	v_cndmask_b32_e32 v0, v1, v0, vcc
	v_lshlrev_b32_e32 v0, 2, v0
	ds_bpermute_b32 v0, v0, v20
	v_cmp_lt_i32_e32 vcc, v3, v2
	s_waitcnt lgkmcnt(0)
	v_add_f32_e32 v0, v20, v0
	v_cndmask_b32_e32 v3, v1, v3, vcc
	v_lshlrev_b32_e32 v3, 2, v3
	ds_bpermute_b32 v3, v3, v0
	v_cmp_lt_i32_e32 vcc, v4, v2
	s_waitcnt lgkmcnt(0)
	v_add_f32_e32 v0, v0, v3
	v_cndmask_b32_e32 v3, v1, v4, vcc
	v_lshlrev_b32_e32 v3, 2, v3
	ds_bpermute_b32 v3, v3, v0
	v_xor_b32_e32 v4, 4, v1
	v_cmp_lt_i32_e32 vcc, v4, v2
	s_waitcnt lgkmcnt(0)
	v_add_f32_e32 v0, v0, v3
	v_cndmask_b32_e32 v3, v1, v4, vcc
	v_lshlrev_b32_e32 v3, 2, v3
	ds_bpermute_b32 v3, v3, v0
	v_xor_b32_e32 v4, 2, v1
	v_cmp_lt_i32_e32 vcc, v4, v2
	s_waitcnt lgkmcnt(0)
	v_add_f32_e32 v0, v0, v3
	v_cndmask_b32_e32 v3, v1, v4, vcc
	v_lshlrev_b32_e32 v3, 2, v3
	ds_bpermute_b32 v3, v3, v0
	v_xor_b32_e32 v4, 1, v1
	v_cmp_lt_i32_e32 vcc, v4, v2
	s_waitcnt lgkmcnt(0)
	v_add_f32_e32 v0, v0, v3
	v_cndmask_b32_e32 v1, v1, v4, vcc
	v_lshlrev_b32_e32 v1, 2, v1
	ds_bpermute_b32 v1, v1, v0
	v_cmp_eq_u32_e32 vcc, 0, v17
	s_and_b64 exec, exec, vcc
	s_cbranch_execz .LBB66_11
; %bb.10:
	s_mul_i32 s0, s5, s3
	s_waitcnt lgkmcnt(0)
	v_add_f32_e32 v2, v0, v1
	v_add_u32_e32 v0, s0, v16
	v_mov_b32_e32 v1, 0
	v_lshl_add_u64 v[0:1], v[0:1], 2, s[6:7]
	global_store_dword v[0:1], v2, off
.LBB66_11:
	s_endpgm
	.section	.rodata,"a",@progbits
	.p2align	6, 0x0
	.amdhsa_kernel _ZL13mul_mat_vec_qIfLi256ELi32E10block_q5_KLi2EXadL_ZL17vec_dot_q5_K_q8_1PKvPK10block_q8_1RKiEEEvS2_S2_PT_iii
		.amdhsa_group_segment_fixed_size 0
		.amdhsa_private_segment_fixed_size 0
		.amdhsa_kernarg_size 296
		.amdhsa_user_sgpr_count 2
		.amdhsa_user_sgpr_dispatch_ptr 0
		.amdhsa_user_sgpr_queue_ptr 0
		.amdhsa_user_sgpr_kernarg_segment_ptr 1
		.amdhsa_user_sgpr_dispatch_id 0
		.amdhsa_user_sgpr_kernarg_preload_length 0
		.amdhsa_user_sgpr_kernarg_preload_offset 0
		.amdhsa_user_sgpr_private_segment_size 0
		.amdhsa_uses_dynamic_stack 0
		.amdhsa_enable_private_segment 0
		.amdhsa_system_sgpr_workgroup_id_x 1
		.amdhsa_system_sgpr_workgroup_id_y 1
		.amdhsa_system_sgpr_workgroup_id_z 0
		.amdhsa_system_sgpr_workgroup_info 0
		.amdhsa_system_vgpr_workitem_id 1
		.amdhsa_next_free_vgpr 43
		.amdhsa_next_free_sgpr 16
		.amdhsa_accum_offset 44
		.amdhsa_reserve_vcc 1
		.amdhsa_float_round_mode_32 0
		.amdhsa_float_round_mode_16_64 0
		.amdhsa_float_denorm_mode_32 3
		.amdhsa_float_denorm_mode_16_64 3
		.amdhsa_dx10_clamp 1
		.amdhsa_ieee_mode 1
		.amdhsa_fp16_overflow 0
		.amdhsa_tg_split 0
		.amdhsa_exception_fp_ieee_invalid_op 0
		.amdhsa_exception_fp_denorm_src 0
		.amdhsa_exception_fp_ieee_div_zero 0
		.amdhsa_exception_fp_ieee_overflow 0
		.amdhsa_exception_fp_ieee_underflow 0
		.amdhsa_exception_fp_ieee_inexact 0
		.amdhsa_exception_int_div_zero 0
	.end_amdhsa_kernel
	.section	.text._ZL13mul_mat_vec_qIfLi256ELi32E10block_q5_KLi2EXadL_ZL17vec_dot_q5_K_q8_1PKvPK10block_q8_1RKiEEEvS2_S2_PT_iii,"axG",@progbits,_ZL13mul_mat_vec_qIfLi256ELi32E10block_q5_KLi2EXadL_ZL17vec_dot_q5_K_q8_1PKvPK10block_q8_1RKiEEEvS2_S2_PT_iii,comdat
.Lfunc_end66:
	.size	_ZL13mul_mat_vec_qIfLi256ELi32E10block_q5_KLi2EXadL_ZL17vec_dot_q5_K_q8_1PKvPK10block_q8_1RKiEEEvS2_S2_PT_iii, .Lfunc_end66-_ZL13mul_mat_vec_qIfLi256ELi32E10block_q5_KLi2EXadL_ZL17vec_dot_q5_K_q8_1PKvPK10block_q8_1RKiEEEvS2_S2_PT_iii
                                        ; -- End function
	.set _ZL13mul_mat_vec_qIfLi256ELi32E10block_q5_KLi2EXadL_ZL17vec_dot_q5_K_q8_1PKvPK10block_q8_1RKiEEEvS2_S2_PT_iii.num_vgpr, 43
	.set _ZL13mul_mat_vec_qIfLi256ELi32E10block_q5_KLi2EXadL_ZL17vec_dot_q5_K_q8_1PKvPK10block_q8_1RKiEEEvS2_S2_PT_iii.num_agpr, 0
	.set _ZL13mul_mat_vec_qIfLi256ELi32E10block_q5_KLi2EXadL_ZL17vec_dot_q5_K_q8_1PKvPK10block_q8_1RKiEEEvS2_S2_PT_iii.numbered_sgpr, 16
	.set _ZL13mul_mat_vec_qIfLi256ELi32E10block_q5_KLi2EXadL_ZL17vec_dot_q5_K_q8_1PKvPK10block_q8_1RKiEEEvS2_S2_PT_iii.num_named_barrier, 0
	.set _ZL13mul_mat_vec_qIfLi256ELi32E10block_q5_KLi2EXadL_ZL17vec_dot_q5_K_q8_1PKvPK10block_q8_1RKiEEEvS2_S2_PT_iii.private_seg_size, 0
	.set _ZL13mul_mat_vec_qIfLi256ELi32E10block_q5_KLi2EXadL_ZL17vec_dot_q5_K_q8_1PKvPK10block_q8_1RKiEEEvS2_S2_PT_iii.uses_vcc, 1
	.set _ZL13mul_mat_vec_qIfLi256ELi32E10block_q5_KLi2EXadL_ZL17vec_dot_q5_K_q8_1PKvPK10block_q8_1RKiEEEvS2_S2_PT_iii.uses_flat_scratch, 0
	.set _ZL13mul_mat_vec_qIfLi256ELi32E10block_q5_KLi2EXadL_ZL17vec_dot_q5_K_q8_1PKvPK10block_q8_1RKiEEEvS2_S2_PT_iii.has_dyn_sized_stack, 0
	.set _ZL13mul_mat_vec_qIfLi256ELi32E10block_q5_KLi2EXadL_ZL17vec_dot_q5_K_q8_1PKvPK10block_q8_1RKiEEEvS2_S2_PT_iii.has_recursion, 0
	.set _ZL13mul_mat_vec_qIfLi256ELi32E10block_q5_KLi2EXadL_ZL17vec_dot_q5_K_q8_1PKvPK10block_q8_1RKiEEEvS2_S2_PT_iii.has_indirect_call, 0
	.section	.AMDGPU.csdata,"",@progbits
; Kernel info:
; codeLenInByte = 1212
; TotalNumSgprs: 22
; NumVgprs: 43
; NumAgprs: 0
; TotalNumVgprs: 43
; ScratchSize: 0
; MemoryBound: 0
; FloatMode: 240
; IeeeMode: 1
; LDSByteSize: 0 bytes/workgroup (compile time only)
; SGPRBlocks: 2
; VGPRBlocks: 5
; NumSGPRsForWavesPerEU: 22
; NumVGPRsForWavesPerEU: 43
; AccumOffset: 44
; Occupancy: 8
; WaveLimiterHint : 0
; COMPUTE_PGM_RSRC2:SCRATCH_EN: 0
; COMPUTE_PGM_RSRC2:USER_SGPR: 2
; COMPUTE_PGM_RSRC2:TRAP_HANDLER: 0
; COMPUTE_PGM_RSRC2:TGID_X_EN: 1
; COMPUTE_PGM_RSRC2:TGID_Y_EN: 1
; COMPUTE_PGM_RSRC2:TGID_Z_EN: 0
; COMPUTE_PGM_RSRC2:TIDIG_COMP_CNT: 1
; COMPUTE_PGM_RSRC3_GFX90A:ACCUM_OFFSET: 10
; COMPUTE_PGM_RSRC3_GFX90A:TG_SPLIT: 0
	.section	.text._ZL13mul_mat_vec_qIfLi256ELi32E10block_q6_KLi1EXadL_ZL17vec_dot_q6_K_q8_1PKvPK10block_q8_1RKiEEEvS2_S2_PT_iii,"axG",@progbits,_ZL13mul_mat_vec_qIfLi256ELi32E10block_q6_KLi1EXadL_ZL17vec_dot_q6_K_q8_1PKvPK10block_q8_1RKiEEEvS2_S2_PT_iii,comdat
	.globl	_ZL13mul_mat_vec_qIfLi256ELi32E10block_q6_KLi1EXadL_ZL17vec_dot_q6_K_q8_1PKvPK10block_q8_1RKiEEEvS2_S2_PT_iii ; -- Begin function _ZL13mul_mat_vec_qIfLi256ELi32E10block_q6_KLi1EXadL_ZL17vec_dot_q6_K_q8_1PKvPK10block_q8_1RKiEEEvS2_S2_PT_iii
	.p2align	8
	.type	_ZL13mul_mat_vec_qIfLi256ELi32E10block_q6_KLi1EXadL_ZL17vec_dot_q6_K_q8_1PKvPK10block_q8_1RKiEEEvS2_S2_PT_iii,@function
_ZL13mul_mat_vec_qIfLi256ELi32E10block_q6_KLi1EXadL_ZL17vec_dot_q6_K_q8_1PKvPK10block_q8_1RKiEEEvS2_S2_PT_iii: ; @_ZL13mul_mat_vec_qIfLi256ELi32E10block_q6_KLi1EXadL_ZL17vec_dot_q6_K_q8_1PKvPK10block_q8_1RKiEEEvS2_S2_PT_iii
; %bb.0:
	s_load_dword s8, s[0:1], 0x34
	s_load_dwordx4 s[4:7], s[0:1], 0x18
	v_bfe_u32 v1, v0, 10, 10
	s_waitcnt lgkmcnt(0)
	s_lshr_b32 s7, s8, 16
	s_mul_i32 s2, s2, s7
	v_add_u32_e32 v12, s2, v1
	s_cmp_lt_u32 s3, s6
	v_cmp_gt_u32_e32 vcc, s5, v12
	s_cselect_b64 s[6:7], -1, 0
	s_and_b64 s[6:7], s[6:7], vcc
	s_and_saveexec_b64 s[8:9], s[6:7]
	s_cbranch_execz .LBB67_7
; %bb.1:
	s_load_dwordx2 s[6:7], s[0:1], 0x10
	s_ashr_i32 s2, s4, 31
	s_lshr_b32 s2, s2, 24
	s_add_i32 s2, s4, s2
	s_ashr_i32 s2, s2, 8
	v_bfe_u32 v14, v0, 5, 5
	v_and_b32_e32 v13, 0x3ff, v0
	v_cmp_gt_u32_e32 vcc, s2, v14
	v_mov_b32_e32 v16, 0
	s_and_saveexec_b64 s[8:9], vcc
	s_cbranch_execz .LBB67_5
; %bb.2:
	s_load_dwordx4 s[12:15], s[0:1], 0x0
	s_add_i32 s0, s4, 0x1ff
	v_and_b32_e32 v2, 31, v13
	s_ashr_i32 s1, s0, 31
	v_add_u32_e32 v0, 0xf0, v2
	v_cmp_gt_u32_e32 vcc, 16, v2
	s_lshr_b32 s1, s1, 23
	s_add_i32 s0, s0, s1
	v_cndmask_b32_e32 v8, v0, v2, vcc
	v_and_b32_e32 v9, 0xf8, v8
	v_cmp_lt_u32_e32 vcc, 15, v2
	s_ashr_i32 s0, s0, 9
	s_mul_i32 s4, s3, s0
	v_cndmask_b32_e64 v10, 0, 8, vcc
	v_cndmask_b32_e64 v6, 0, 4, vcc
	v_cmp_ne_u32_e32 vcc, 0, v9
	v_and_b32_e32 v4, 7, v13
	s_waitcnt lgkmcnt(0)
	v_mad_u64_u32 v[6:7], s[0:1], v6, 36, s[14:15]
	v_cndmask_b32_e64 v9, 0, 1, vcc
	v_bfe_u32 v8, v8, 2, 6
	v_lshlrev_b32_e32 v0, 2, v2
	v_mov_b32_e32 v1, 0
	v_or_b32_e32 v2, v10, v4
	v_mad_u64_u32 v[6:7], s[0:1], v9, 36, v[6:7]
	v_add_u32_e32 v8, v8, v10
	v_lshlrev_b32_e32 v10, 3, v14
	v_mul_lo_u32 v15, v12, s2
	v_lshlrev_b32_e32 v2, 2, v2
	v_mov_b32_e32 v3, v1
	v_lshlrev_b32_e32 v4, 2, v4
	v_mov_b32_e32 v5, v1
	v_cndmask_b32_e64 v17, 0, 2, vcc
	v_mov_b32_e32 v9, v1
	v_lshl_add_u32 v18, s4, 4, v10
	s_mov_b64 s[0:1], 0
	s_movk_i32 s4, 0xd2
	v_mov_b64_e32 v[10:11], s[12:13]
	s_mov_b32 s10, 0x30303030
	s_movk_i32 s11, 0xe000
	s_movk_i32 s12, 0x3f00
	v_mov_b32_e32 v16, v1
.LBB67_3:                               ; =>This Inner Loop Header: Depth=1
	v_add_u32_e32 v19, v15, v14
	v_mad_i64_i32 v[20:21], s[14:15], v19, s4, v[10:11]
	v_lshl_add_u64 v[24:25], v[20:21], 0, v[2:3]
	v_lshl_add_u64 v[22:23], v[20:21], 0, v[0:1]
	global_load_dword v19, v[24:25], off offset:128
	global_load_dword v26, v[22:23], off
	v_mad_i64_i32 v[22:23], s[14:15], v18, 36, v[6:7]
	v_lshl_add_u64 v[24:25], v[22:23], 0, v[4:5]
	global_load_dword v27, v[24:25], off offset:4
	global_load_dword v28, v[24:25], off offset:76
	v_lshl_add_u64 v[24:25], v[20:21], 0, v[8:9]
	global_load_sbyte v29, v[24:25], off offset:192
	global_load_sbyte v30, v[24:25], off offset:196
	global_load_dword v31, v[22:23], off
	global_load_dword v32, v[22:23], off offset:72
	global_load_ushort v33, v[20:21], off offset:208
	v_mov_b32_e32 v20, 0
	v_mov_b32_e32 v21, 0
	v_add_u32_e32 v14, 2, v14
	v_cmp_le_u32_e32 vcc, s2, v14
	v_add_u32_e32 v18, 16, v18
	s_or_b64 s[0:1], vcc, s[0:1]
	s_waitcnt vmcnt(8)
	v_ashrrev_i32_e32 v19, v17, v19
	s_waitcnt vmcnt(7)
	v_and_b32_e32 v22, 0xf0f0f0f, v26
	v_lshrrev_b32_e32 v23, 4, v26
	v_lshlrev_b32_e32 v24, 4, v19
	v_and_b32_e32 v23, 0xf0f0f0f, v23
	v_and_or_b32 v22, v24, s10, v22
	v_and_or_b32 v19, v19, s10, v23
	v_lshrrev_b32_e32 v23, 16, v22
	v_lshlrev_b16_e32 v24, 8, v22
	v_lshrrev_b32_e32 v25, 16, v19
	v_lshlrev_b16_e32 v26, 8, v19
	v_add_u16_e32 v24, 0xe000, v24
	v_lshlrev_b16_e32 v34, 8, v23
	v_add_u16_e32 v26, 0xe000, v26
	v_lshlrev_b16_e32 v35, 8, v25
	v_lshrrev_b16_e32 v24, 8, v24
	v_add_u16_e32 v34, 0xe000, v34
	v_lshrrev_b16_e32 v26, 8, v26
	v_add_u16_e32 v35, 0xe000, v35
	v_bitop3_b16 v22, v22, v24, s12 bitop3:0xec
	v_lshrrev_b16_e32 v24, 8, v34
	v_bitop3_b16 v19, v19, v26, s12 bitop3:0xec
	v_lshrrev_b16_e32 v26, 8, v35
	v_bitop3_b16 v23, v23, v24, s12 bitop3:0xec
	v_add_u16_e32 v22, 0xe000, v22
	v_bitop3_b16 v24, v25, v26, s12 bitop3:0xec
	v_add_u16_sdwa v23, v23, s11 dst_sel:WORD_1 dst_unused:UNUSED_PAD src0_sel:DWORD src1_sel:DWORD
	v_add_u16_e32 v19, 0xe000, v19
	v_add_u16_sdwa v24, v24, s11 dst_sel:WORD_1 dst_unused:UNUSED_PAD src0_sel:DWORD src1_sel:DWORD
	v_or_b32_e32 v22, v22, v23
	v_or_b32_e32 v19, v19, v24
	s_waitcnt vmcnt(6)
	v_dot4c_i32_i8_e32 v20, v22, v27
	s_waitcnt vmcnt(5)
	v_dot4c_i32_i8_e32 v21, v19, v28
	s_waitcnt vmcnt(4)
	v_mul_lo_u32 v19, v20, v29
	s_waitcnt vmcnt(3)
	v_mul_lo_u32 v20, v21, v30
	v_cvt_f32_i32_e32 v19, v19
	v_cvt_f32_i32_e32 v20, v20
	s_waitcnt vmcnt(2)
	v_fma_mix_f32 v19, v31, v19, 0 op_sel_hi:[1,0,0]
	s_waitcnt vmcnt(1)
	v_fma_mix_f32 v19, v32, v20, v19 op_sel_hi:[1,0,0]
	;; [unrolled: 2-line block ×3, first 2 shown]
	s_andn2_b64 exec, exec, s[0:1]
	s_cbranch_execnz .LBB67_3
; %bb.4:
	s_or_b64 exec, exec, s[0:1]
.LBB67_5:
	s_or_b64 exec, exec, s[8:9]
	v_mbcnt_lo_u32_b32 v0, -1, 0
	v_mbcnt_hi_u32_b32 v1, -1, v0
	v_and_b32_e32 v0, 64, v1
	v_add_u32_e32 v2, 64, v0
	v_xor_b32_e32 v0, 32, v1
	v_cmp_lt_i32_e32 vcc, v0, v2
	v_xor_b32_e32 v3, 16, v1
	v_xor_b32_e32 v4, 8, v1
	v_cndmask_b32_e32 v0, v1, v0, vcc
	v_lshlrev_b32_e32 v0, 2, v0
	ds_bpermute_b32 v0, v0, v16
	v_cmp_lt_i32_e32 vcc, v3, v2
	s_waitcnt lgkmcnt(0)
	v_add_f32_e32 v0, v16, v0
	v_cndmask_b32_e32 v3, v1, v3, vcc
	v_lshlrev_b32_e32 v3, 2, v3
	ds_bpermute_b32 v3, v3, v0
	v_cmp_lt_i32_e32 vcc, v4, v2
	s_waitcnt lgkmcnt(0)
	v_add_f32_e32 v0, v0, v3
	v_cndmask_b32_e32 v3, v1, v4, vcc
	v_lshlrev_b32_e32 v3, 2, v3
	ds_bpermute_b32 v3, v3, v0
	v_xor_b32_e32 v4, 4, v1
	v_cmp_lt_i32_e32 vcc, v4, v2
	s_waitcnt lgkmcnt(0)
	v_add_f32_e32 v0, v0, v3
	v_cndmask_b32_e32 v3, v1, v4, vcc
	v_lshlrev_b32_e32 v3, 2, v3
	ds_bpermute_b32 v3, v3, v0
	v_xor_b32_e32 v4, 2, v1
	;; [unrolled: 7-line block ×3, first 2 shown]
	v_cmp_lt_i32_e32 vcc, v4, v2
	s_waitcnt lgkmcnt(0)
	v_add_f32_e32 v0, v0, v3
	v_cndmask_b32_e32 v1, v1, v4, vcc
	v_lshlrev_b32_e32 v1, 2, v1
	ds_bpermute_b32 v1, v1, v0
	v_cmp_eq_u32_e32 vcc, 0, v13
	s_and_b64 exec, exec, vcc
	s_cbranch_execz .LBB67_7
; %bb.6:
	s_mul_i32 s0, s5, s3
	s_waitcnt lgkmcnt(0)
	v_add_f32_e32 v2, v0, v1
	v_add_u32_e32 v0, s0, v12
	v_mov_b32_e32 v1, 0
	v_lshl_add_u64 v[0:1], v[0:1], 2, s[6:7]
	global_store_dword v[0:1], v2, off
.LBB67_7:
	s_endpgm
	.section	.rodata,"a",@progbits
	.p2align	6, 0x0
	.amdhsa_kernel _ZL13mul_mat_vec_qIfLi256ELi32E10block_q6_KLi1EXadL_ZL17vec_dot_q6_K_q8_1PKvPK10block_q8_1RKiEEEvS2_S2_PT_iii
		.amdhsa_group_segment_fixed_size 0
		.amdhsa_private_segment_fixed_size 0
		.amdhsa_kernarg_size 296
		.amdhsa_user_sgpr_count 2
		.amdhsa_user_sgpr_dispatch_ptr 0
		.amdhsa_user_sgpr_queue_ptr 0
		.amdhsa_user_sgpr_kernarg_segment_ptr 1
		.amdhsa_user_sgpr_dispatch_id 0
		.amdhsa_user_sgpr_kernarg_preload_length 0
		.amdhsa_user_sgpr_kernarg_preload_offset 0
		.amdhsa_user_sgpr_private_segment_size 0
		.amdhsa_uses_dynamic_stack 0
		.amdhsa_enable_private_segment 0
		.amdhsa_system_sgpr_workgroup_id_x 1
		.amdhsa_system_sgpr_workgroup_id_y 1
		.amdhsa_system_sgpr_workgroup_id_z 0
		.amdhsa_system_sgpr_workgroup_info 0
		.amdhsa_system_vgpr_workitem_id 1
		.amdhsa_next_free_vgpr 36
		.amdhsa_next_free_sgpr 16
		.amdhsa_accum_offset 36
		.amdhsa_reserve_vcc 1
		.amdhsa_float_round_mode_32 0
		.amdhsa_float_round_mode_16_64 0
		.amdhsa_float_denorm_mode_32 3
		.amdhsa_float_denorm_mode_16_64 3
		.amdhsa_dx10_clamp 1
		.amdhsa_ieee_mode 1
		.amdhsa_fp16_overflow 0
		.amdhsa_tg_split 0
		.amdhsa_exception_fp_ieee_invalid_op 0
		.amdhsa_exception_fp_denorm_src 0
		.amdhsa_exception_fp_ieee_div_zero 0
		.amdhsa_exception_fp_ieee_overflow 0
		.amdhsa_exception_fp_ieee_underflow 0
		.amdhsa_exception_fp_ieee_inexact 0
		.amdhsa_exception_int_div_zero 0
	.end_amdhsa_kernel
	.section	.text._ZL13mul_mat_vec_qIfLi256ELi32E10block_q6_KLi1EXadL_ZL17vec_dot_q6_K_q8_1PKvPK10block_q8_1RKiEEEvS2_S2_PT_iii,"axG",@progbits,_ZL13mul_mat_vec_qIfLi256ELi32E10block_q6_KLi1EXadL_ZL17vec_dot_q6_K_q8_1PKvPK10block_q8_1RKiEEEvS2_S2_PT_iii,comdat
.Lfunc_end67:
	.size	_ZL13mul_mat_vec_qIfLi256ELi32E10block_q6_KLi1EXadL_ZL17vec_dot_q6_K_q8_1PKvPK10block_q8_1RKiEEEvS2_S2_PT_iii, .Lfunc_end67-_ZL13mul_mat_vec_qIfLi256ELi32E10block_q6_KLi1EXadL_ZL17vec_dot_q6_K_q8_1PKvPK10block_q8_1RKiEEEvS2_S2_PT_iii
                                        ; -- End function
	.set _ZL13mul_mat_vec_qIfLi256ELi32E10block_q6_KLi1EXadL_ZL17vec_dot_q6_K_q8_1PKvPK10block_q8_1RKiEEEvS2_S2_PT_iii.num_vgpr, 36
	.set _ZL13mul_mat_vec_qIfLi256ELi32E10block_q6_KLi1EXadL_ZL17vec_dot_q6_K_q8_1PKvPK10block_q8_1RKiEEEvS2_S2_PT_iii.num_agpr, 0
	.set _ZL13mul_mat_vec_qIfLi256ELi32E10block_q6_KLi1EXadL_ZL17vec_dot_q6_K_q8_1PKvPK10block_q8_1RKiEEEvS2_S2_PT_iii.numbered_sgpr, 16
	.set _ZL13mul_mat_vec_qIfLi256ELi32E10block_q6_KLi1EXadL_ZL17vec_dot_q6_K_q8_1PKvPK10block_q8_1RKiEEEvS2_S2_PT_iii.num_named_barrier, 0
	.set _ZL13mul_mat_vec_qIfLi256ELi32E10block_q6_KLi1EXadL_ZL17vec_dot_q6_K_q8_1PKvPK10block_q8_1RKiEEEvS2_S2_PT_iii.private_seg_size, 0
	.set _ZL13mul_mat_vec_qIfLi256ELi32E10block_q6_KLi1EXadL_ZL17vec_dot_q6_K_q8_1PKvPK10block_q8_1RKiEEEvS2_S2_PT_iii.uses_vcc, 1
	.set _ZL13mul_mat_vec_qIfLi256ELi32E10block_q6_KLi1EXadL_ZL17vec_dot_q6_K_q8_1PKvPK10block_q8_1RKiEEEvS2_S2_PT_iii.uses_flat_scratch, 0
	.set _ZL13mul_mat_vec_qIfLi256ELi32E10block_q6_KLi1EXadL_ZL17vec_dot_q6_K_q8_1PKvPK10block_q8_1RKiEEEvS2_S2_PT_iii.has_dyn_sized_stack, 0
	.set _ZL13mul_mat_vec_qIfLi256ELi32E10block_q6_KLi1EXadL_ZL17vec_dot_q6_K_q8_1PKvPK10block_q8_1RKiEEEvS2_S2_PT_iii.has_recursion, 0
	.set _ZL13mul_mat_vec_qIfLi256ELi32E10block_q6_KLi1EXadL_ZL17vec_dot_q6_K_q8_1PKvPK10block_q8_1RKiEEEvS2_S2_PT_iii.has_indirect_call, 0
	.section	.AMDGPU.csdata,"",@progbits
; Kernel info:
; codeLenInByte = 1048
; TotalNumSgprs: 22
; NumVgprs: 36
; NumAgprs: 0
; TotalNumVgprs: 36
; ScratchSize: 0
; MemoryBound: 0
; FloatMode: 240
; IeeeMode: 1
; LDSByteSize: 0 bytes/workgroup (compile time only)
; SGPRBlocks: 2
; VGPRBlocks: 4
; NumSGPRsForWavesPerEU: 22
; NumVGPRsForWavesPerEU: 36
; AccumOffset: 36
; Occupancy: 8
; WaveLimiterHint : 0
; COMPUTE_PGM_RSRC2:SCRATCH_EN: 0
; COMPUTE_PGM_RSRC2:USER_SGPR: 2
; COMPUTE_PGM_RSRC2:TRAP_HANDLER: 0
; COMPUTE_PGM_RSRC2:TGID_X_EN: 1
; COMPUTE_PGM_RSRC2:TGID_Y_EN: 1
; COMPUTE_PGM_RSRC2:TGID_Z_EN: 0
; COMPUTE_PGM_RSRC2:TIDIG_COMP_CNT: 1
; COMPUTE_PGM_RSRC3_GFX90A:ACCUM_OFFSET: 8
; COMPUTE_PGM_RSRC3_GFX90A:TG_SPLIT: 0
	.section	.text._ZL13mul_mat_vec_qIfLi256ELi8E13block_iq2_xxsLi1EXadL_ZL20vec_dot_iq2_xxs_q8_1PKvPK10block_q8_1RKiEEEvS2_S2_PT_iii,"axG",@progbits,_ZL13mul_mat_vec_qIfLi256ELi8E13block_iq2_xxsLi1EXadL_ZL20vec_dot_iq2_xxs_q8_1PKvPK10block_q8_1RKiEEEvS2_S2_PT_iii,comdat
	.globl	_ZL13mul_mat_vec_qIfLi256ELi8E13block_iq2_xxsLi1EXadL_ZL20vec_dot_iq2_xxs_q8_1PKvPK10block_q8_1RKiEEEvS2_S2_PT_iii ; -- Begin function _ZL13mul_mat_vec_qIfLi256ELi8E13block_iq2_xxsLi1EXadL_ZL20vec_dot_iq2_xxs_q8_1PKvPK10block_q8_1RKiEEEvS2_S2_PT_iii
	.p2align	8
	.type	_ZL13mul_mat_vec_qIfLi256ELi8E13block_iq2_xxsLi1EXadL_ZL20vec_dot_iq2_xxs_q8_1PKvPK10block_q8_1RKiEEEvS2_S2_PT_iii,@function
_ZL13mul_mat_vec_qIfLi256ELi8E13block_iq2_xxsLi1EXadL_ZL20vec_dot_iq2_xxs_q8_1PKvPK10block_q8_1RKiEEEvS2_S2_PT_iii: ; @_ZL13mul_mat_vec_qIfLi256ELi8E13block_iq2_xxsLi1EXadL_ZL20vec_dot_iq2_xxs_q8_1PKvPK10block_q8_1RKiEEEvS2_S2_PT_iii
; %bb.0:
	s_load_dword s8, s[0:1], 0x34
	s_load_dwordx4 s[4:7], s[0:1], 0x18
	v_bfe_u32 v1, v0, 10, 10
	s_waitcnt lgkmcnt(0)
	s_lshr_b32 s7, s8, 16
	s_mul_i32 s2, s2, s7
	v_add_u32_e32 v10, s2, v1
	s_cmp_lt_u32 s3, s6
	v_cmp_gt_u32_e32 vcc, s5, v10
	s_cselect_b64 s[6:7], -1, 0
	s_and_b64 s[6:7], s[6:7], vcc
	s_and_saveexec_b64 s[8:9], s[6:7]
	s_cbranch_execz .LBB68_7
; %bb.1:
	s_load_dwordx2 s[6:7], s[0:1], 0x10
	s_ashr_i32 s2, s4, 31
	s_lshr_b32 s2, s2, 24
	s_add_i32 s2, s4, s2
	s_ashr_i32 s2, s2, 8
	v_bfe_u32 v12, v0, 3, 7
	v_and_b32_e32 v11, 0x3ff, v0
	v_cmp_gt_u32_e32 vcc, s2, v12
	v_mov_b32_e32 v13, 0
	s_and_saveexec_b64 s[8:9], vcc
	s_cbranch_execz .LBB68_5
; %bb.2:
	s_load_dwordx4 s[12:15], s[0:1], 0x0
	s_add_i32 s0, s4, 0x1ff
	s_ashr_i32 s1, s0, 31
	s_lshr_b32 s1, s1, 23
	s_add_i32 s0, s0, s1
	s_ashr_i32 s0, s0, 9
	v_and_b32_e32 v2, 7, v11
	s_mul_i32 s4, s3, s0
	v_lshlrev_b32_e32 v0, 2, v2
	v_mov_b32_e32 v1, 0
	s_waitcnt lgkmcnt(0)
	v_mad_u64_u32 v[2:3], s[0:1], v2, 36, s[14:15]
	v_lshlrev_b32_e32 v4, 3, v12
	v_mul_lo_u32 v14, v10, s2
	v_lshl_add_u32 v15, s4, 4, v4
	s_mov_b64 s[0:1], 0
	s_movk_i32 s4, 0x42
	v_mov_b64_e32 v[4:5], s[12:13]
	v_lshlrev_b32_e32 v0, 1, v0
	v_mov_b32_e32 v16, 3
	v_mov_b32_e32 v13, v1
.LBB68_3:                               ; =>This Inner Loop Header: Depth=1
	v_add_u32_e32 v6, v14, v12
	v_mad_i64_i32 v[8:9], s[10:11], v6, s4, v[4:5]
	v_lshl_add_u64 v[18:19], v[8:9], 0, v[0:1]
	global_load_dword v17, v[18:19], off offset:6
	global_load_dword v24, v[18:19], off offset:2
	v_mad_i64_i32 v[6:7], s[10:11], v15, 36, v[2:3]
	s_getpc_b64 s[10:11]
	s_add_u32 s10, s10, _ZL11iq2xxs_grid@rel32@lo+4
	s_addc_u32 s11, s11, _ZL11iq2xxs_grid@rel32@hi+12
	s_getpc_b64 s[12:13]
	s_add_u32 s12, s12, _ZL12ksigns_iq2xs@rel32@lo+4
	s_addc_u32 s13, s13, _ZL12ksigns_iq2xs@rel32@hi+12
	v_add_u32_e32 v12, 8, v12
	v_add_u32_e32 v15, 64, v15
	s_waitcnt vmcnt(1)
	v_and_b32_e32 v26, 0x7f, v17
	s_waitcnt vmcnt(0)
	v_lshlrev_b32_sdwa v25, v16, v24 dst_sel:DWORD dst_unused:UNUSED_PAD src0_sel:DWORD src1_sel:BYTE_0
	global_load_sbyte v27, v26, s[12:13]
	global_load_dwordx4 v[18:21], v[6:7], off offset:4
	global_load_dwordx2 v[22:23], v25, s[10:11]
	s_waitcnt vmcnt(2)
	v_and_b32_e32 v28, 1, v27
	v_cmp_eq_u16_e32 vcc, 0, v28
	s_waitcnt vmcnt(0)
	v_mul_i32_i24_sdwa v25, v22, sext(v18) dst_sel:DWORD dst_unused:UNUSED_PAD src0_sel:BYTE_0 src1_sel:BYTE_0
	v_sub_u32_e32 v28, 0, v25
	v_cndmask_b32_e32 v25, v28, v25, vcc
	v_mul_i32_i24_sdwa v28, v22, sext(v18) dst_sel:DWORD dst_unused:UNUSED_PAD src0_sel:BYTE_1 src1_sel:BYTE_1
	v_and_b32_e32 v29, 2, v27
	v_cmp_eq_u16_e32 vcc, 0, v29
	v_sub_u32_e32 v29, 0, v28
	s_nop 0
	v_cndmask_b32_e32 v28, v29, v28, vcc
	v_add_u32_e32 v25, v28, v25
	v_mul_i32_i24_sdwa v28, v22, sext(v18) dst_sel:DWORD dst_unused:UNUSED_PAD src0_sel:BYTE_2 src1_sel:BYTE_2
	v_and_b32_e32 v29, 4, v27
	v_cmp_eq_u16_e32 vcc, 0, v29
	v_sub_u32_e32 v29, 0, v28
	v_mul_i32_i24_sdwa v18, v22, sext(v18) dst_sel:DWORD dst_unused:UNUSED_PAD src0_sel:BYTE_3 src1_sel:BYTE_3
	v_and_b32_e32 v22, 8, v27
	v_cndmask_b32_e32 v28, v29, v28, vcc
	v_cmp_eq_u16_e32 vcc, 0, v22
	v_sub_u32_e32 v22, 0, v18
	s_nop 0
	v_cndmask_b32_e32 v18, v22, v18, vcc
	v_add3_u32 v18, v25, v28, v18
	v_mul_i32_i24_sdwa v22, v23, sext(v19) dst_sel:DWORD dst_unused:UNUSED_PAD src0_sel:BYTE_0 src1_sel:BYTE_0
	v_and_b32_e32 v25, 16, v27
	v_cmp_eq_u16_e32 vcc, 0, v25
	v_sub_u32_e32 v25, 0, v22
	v_and_b32_e32 v28, 32, v27
	v_cndmask_b32_e32 v22, v25, v22, vcc
	v_mul_i32_i24_sdwa v25, v23, sext(v19) dst_sel:DWORD dst_unused:UNUSED_PAD src0_sel:BYTE_1 src1_sel:BYTE_1
	v_cmp_eq_u16_e32 vcc, 0, v28
	v_sub_u32_e32 v28, 0, v25
	s_nop 0
	v_cndmask_b32_e32 v25, v28, v25, vcc
	v_add3_u32 v18, v18, v22, v25
	v_mul_i32_i24_sdwa v22, v23, sext(v19) dst_sel:DWORD dst_unused:UNUSED_PAD src0_sel:BYTE_2 src1_sel:BYTE_2
	v_cmp_gt_u32_e32 vcc, 64, v26
	v_sub_u32_e32 v25, 0, v22
	v_mul_i32_i24_sdwa v19, v23, sext(v19) dst_sel:DWORD dst_unused:UNUSED_PAD src0_sel:BYTE_3 src1_sel:BYTE_3
	v_cndmask_b32_e32 v22, v25, v22, vcc
	v_sub_u32_e32 v23, 0, v19
	v_cmp_gt_i16_e32 vcc, 0, v27
	v_bfe_u32 v25, v17, 7, 7
	s_nop 0
	v_cndmask_b32_e32 v19, v19, v23, vcc
	v_add3_u32 v22, v18, v22, v19
	v_lshlrev_b32_sdwa v23, v16, v24 dst_sel:DWORD dst_unused:UNUSED_PAD src0_sel:DWORD src1_sel:BYTE_1
	global_load_sbyte v26, v25, s[12:13]
	global_load_dwordx2 v[18:19], v23, s[10:11]
	s_waitcnt vmcnt(1)
	v_and_b32_e32 v27, 1, v26
	s_waitcnt vmcnt(0)
	v_mul_i32_i24_sdwa v23, v18, sext(v20) dst_sel:DWORD dst_unused:UNUSED_PAD src0_sel:BYTE_0 src1_sel:BYTE_0
	v_cmp_eq_u16_e32 vcc, 0, v27
	v_sub_u32_e32 v27, 0, v23
	v_and_b32_e32 v28, 2, v26
	v_cndmask_b32_e32 v23, v27, v23, vcc
	v_mul_i32_i24_sdwa v27, v18, sext(v20) dst_sel:DWORD dst_unused:UNUSED_PAD src0_sel:BYTE_1 src1_sel:BYTE_1
	v_cmp_eq_u16_e32 vcc, 0, v28
	v_sub_u32_e32 v28, 0, v27
	s_nop 0
	v_cndmask_b32_e32 v27, v28, v27, vcc
	v_add3_u32 v22, v22, v23, v27
	v_mul_i32_i24_sdwa v23, v18, sext(v20) dst_sel:DWORD dst_unused:UNUSED_PAD src0_sel:BYTE_2 src1_sel:BYTE_2
	v_and_b32_e32 v27, 4, v26
	v_cmp_eq_u16_e32 vcc, 0, v27
	v_sub_u32_e32 v27, 0, v23
	v_mul_i32_i24_sdwa v18, v18, sext(v20) dst_sel:DWORD dst_unused:UNUSED_PAD src0_sel:BYTE_3 src1_sel:BYTE_3
	v_and_b32_e32 v20, 8, v26
	v_cndmask_b32_e32 v23, v27, v23, vcc
	v_cmp_eq_u16_e32 vcc, 0, v20
	v_sub_u32_e32 v20, 0, v18
	v_bfe_u32 v27, v17, 14, 7
	v_cndmask_b32_e32 v18, v20, v18, vcc
	v_add3_u32 v18, v22, v23, v18
	v_mul_i32_i24_sdwa v20, v19, sext(v21) dst_sel:DWORD dst_unused:UNUSED_PAD src0_sel:BYTE_0 src1_sel:BYTE_0
	v_and_b32_e32 v22, 16, v26
	v_cmp_eq_u16_e32 vcc, 0, v22
	v_sub_u32_e32 v22, 0, v20
	v_and_b32_e32 v23, 32, v26
	v_cndmask_b32_e32 v20, v22, v20, vcc
	v_mul_i32_i24_sdwa v22, v19, sext(v21) dst_sel:DWORD dst_unused:UNUSED_PAD src0_sel:BYTE_1 src1_sel:BYTE_1
	v_cmp_eq_u16_e32 vcc, 0, v23
	v_sub_u32_e32 v23, 0, v22
	s_nop 0
	v_cndmask_b32_e32 v22, v23, v22, vcc
	v_add3_u32 v18, v18, v20, v22
	v_mul_i32_i24_sdwa v20, v19, sext(v21) dst_sel:DWORD dst_unused:UNUSED_PAD src0_sel:BYTE_2 src1_sel:BYTE_2
	v_cmp_gt_u32_e32 vcc, 64, v25
	v_sub_u32_e32 v22, 0, v20
	v_mul_i32_i24_sdwa v19, v19, sext(v21) dst_sel:DWORD dst_unused:UNUSED_PAD src0_sel:BYTE_3 src1_sel:BYTE_3
	v_cndmask_b32_e32 v20, v22, v20, vcc
	v_sub_u32_e32 v21, 0, v19
	v_cmp_gt_i16_e32 vcc, 0, v26
	v_lshlrev_b32_sdwa v26, v16, v24 dst_sel:DWORD dst_unused:UNUSED_PAD src0_sel:DWORD src1_sel:BYTE_2
	s_nop 0
	v_cndmask_b32_e32 v19, v19, v21, vcc
	v_add3_u32 v25, v18, v20, v19
	global_load_sbyte v28, v27, s[12:13]
	global_load_dwordx4 v[18:21], v[6:7], off offset:20
	global_load_dwordx2 v[22:23], v26, s[10:11]
	s_waitcnt vmcnt(2)
	v_and_b32_e32 v29, 1, v28
	v_cmp_eq_u16_e32 vcc, 0, v29
	s_waitcnt vmcnt(0)
	v_mul_i32_i24_sdwa v26, v22, sext(v18) dst_sel:DWORD dst_unused:UNUSED_PAD src0_sel:BYTE_0 src1_sel:BYTE_0
	v_sub_u32_e32 v29, 0, v26
	v_cndmask_b32_e32 v26, v29, v26, vcc
	v_mul_i32_i24_sdwa v29, v22, sext(v18) dst_sel:DWORD dst_unused:UNUSED_PAD src0_sel:BYTE_1 src1_sel:BYTE_1
	v_and_b32_e32 v30, 2, v28
	v_cmp_eq_u16_e32 vcc, 0, v30
	v_sub_u32_e32 v30, 0, v29
	s_nop 0
	v_cndmask_b32_e32 v29, v30, v29, vcc
	v_add3_u32 v25, v25, v26, v29
	v_mul_i32_i24_sdwa v26, v22, sext(v18) dst_sel:DWORD dst_unused:UNUSED_PAD src0_sel:BYTE_2 src1_sel:BYTE_2
	v_and_b32_e32 v29, 4, v28
	v_cmp_eq_u16_e32 vcc, 0, v29
	v_sub_u32_e32 v29, 0, v26
	v_mul_i32_i24_sdwa v18, v22, sext(v18) dst_sel:DWORD dst_unused:UNUSED_PAD src0_sel:BYTE_3 src1_sel:BYTE_3
	v_and_b32_e32 v22, 8, v28
	v_cndmask_b32_e32 v26, v29, v26, vcc
	v_cmp_eq_u16_e32 vcc, 0, v22
	v_sub_u32_e32 v22, 0, v18
	s_nop 0
	v_cndmask_b32_e32 v18, v22, v18, vcc
	v_add3_u32 v18, v25, v26, v18
	v_mul_i32_i24_sdwa v22, v23, sext(v19) dst_sel:DWORD dst_unused:UNUSED_PAD src0_sel:BYTE_0 src1_sel:BYTE_0
	v_and_b32_e32 v25, 16, v28
	v_cmp_eq_u16_e32 vcc, 0, v25
	v_sub_u32_e32 v25, 0, v22
	v_and_b32_e32 v26, 32, v28
	v_cndmask_b32_e32 v22, v25, v22, vcc
	v_mul_i32_i24_sdwa v25, v23, sext(v19) dst_sel:DWORD dst_unused:UNUSED_PAD src0_sel:BYTE_1 src1_sel:BYTE_1
	v_cmp_eq_u16_e32 vcc, 0, v26
	v_sub_u32_e32 v26, 0, v25
	s_nop 0
	v_cndmask_b32_e32 v25, v26, v25, vcc
	v_add3_u32 v18, v18, v22, v25
	v_mul_i32_i24_sdwa v22, v23, sext(v19) dst_sel:DWORD dst_unused:UNUSED_PAD src0_sel:BYTE_2 src1_sel:BYTE_2
	v_cmp_gt_u32_e32 vcc, 64, v27
	v_sub_u32_e32 v25, 0, v22
	v_mul_i32_i24_sdwa v19, v23, sext(v19) dst_sel:DWORD dst_unused:UNUSED_PAD src0_sel:BYTE_3 src1_sel:BYTE_3
	v_cndmask_b32_e32 v22, v25, v22, vcc
	v_sub_u32_e32 v23, 0, v19
	v_cmp_gt_i16_e32 vcc, 0, v28
	s_nop 1
	v_cndmask_b32_e32 v19, v19, v23, vcc
	v_lshlrev_b32_sdwa v23, v16, v24 dst_sel:DWORD dst_unused:UNUSED_PAD src0_sel:DWORD src1_sel:BYTE_3
	v_bfe_u32 v24, v17, 21, 7
	v_add3_u32 v22, v18, v22, v19
	global_load_sbyte v25, v24, s[12:13]
	global_load_dwordx2 v[18:19], v23, s[10:11]
	v_lshrrev_b32_e32 v17, 28, v17
	global_load_ushort v8, v[8:9], off
	v_cvt_f32_ubyte0_e32 v9, v17
	global_load_ushort v6, v[6:7], off
	v_add_f32_e32 v9, 0.5, v9
	s_waitcnt vmcnt(3)
	v_and_b32_e32 v26, 1, v25
	s_waitcnt vmcnt(2)
	v_mul_i32_i24_sdwa v23, v18, sext(v20) dst_sel:DWORD dst_unused:UNUSED_PAD src0_sel:BYTE_0 src1_sel:BYTE_0
	v_cmp_eq_u16_e32 vcc, 0, v26
	v_sub_u32_e32 v26, 0, v23
	v_and_b32_e32 v27, 2, v25
	v_cndmask_b32_e32 v23, v26, v23, vcc
	v_mul_i32_i24_sdwa v26, v18, sext(v20) dst_sel:DWORD dst_unused:UNUSED_PAD src0_sel:BYTE_1 src1_sel:BYTE_1
	v_cmp_eq_u16_e32 vcc, 0, v27
	v_sub_u32_e32 v27, 0, v26
	s_waitcnt vmcnt(1)
	v_cvt_f32_f16_e32 v8, v8
	v_cndmask_b32_e32 v26, v27, v26, vcc
	v_add3_u32 v22, v22, v23, v26
	v_mul_i32_i24_sdwa v23, v18, sext(v20) dst_sel:DWORD dst_unused:UNUSED_PAD src0_sel:BYTE_2 src1_sel:BYTE_2
	v_and_b32_e32 v26, 4, v25
	v_cmp_eq_u16_e32 vcc, 0, v26
	v_sub_u32_e32 v26, 0, v23
	v_mul_i32_i24_sdwa v18, v18, sext(v20) dst_sel:DWORD dst_unused:UNUSED_PAD src0_sel:BYTE_3 src1_sel:BYTE_3
	v_and_b32_e32 v20, 8, v25
	v_cndmask_b32_e32 v23, v26, v23, vcc
	v_cmp_eq_u16_e32 vcc, 0, v20
	v_sub_u32_e32 v20, 0, v18
	s_waitcnt vmcnt(0)
	v_cvt_f32_f16_e32 v6, v6
	v_cndmask_b32_e32 v18, v20, v18, vcc
	v_add3_u32 v18, v22, v23, v18
	v_mul_i32_i24_sdwa v20, v19, sext(v21) dst_sel:DWORD dst_unused:UNUSED_PAD src0_sel:BYTE_0 src1_sel:BYTE_0
	v_and_b32_e32 v22, 16, v25
	v_cmp_eq_u16_e32 vcc, 0, v22
	v_sub_u32_e32 v22, 0, v20
	v_and_b32_e32 v23, 32, v25
	v_cndmask_b32_e32 v20, v22, v20, vcc
	v_mul_i32_i24_sdwa v22, v19, sext(v21) dst_sel:DWORD dst_unused:UNUSED_PAD src0_sel:BYTE_1 src1_sel:BYTE_1
	v_cmp_eq_u16_e32 vcc, 0, v23
	v_sub_u32_e32 v23, 0, v22
	v_mul_f32_e32 v8, v9, v8
	v_cndmask_b32_e32 v22, v23, v22, vcc
	v_add3_u32 v18, v18, v20, v22
	v_mul_i32_i24_sdwa v20, v19, sext(v21) dst_sel:DWORD dst_unused:UNUSED_PAD src0_sel:BYTE_2 src1_sel:BYTE_2
	v_cmp_gt_u32_e32 vcc, 64, v24
	v_sub_u32_e32 v22, 0, v20
	v_mul_i32_i24_sdwa v19, v19, sext(v21) dst_sel:DWORD dst_unused:UNUSED_PAD src0_sel:BYTE_3 src1_sel:BYTE_3
	v_cndmask_b32_e32 v20, v22, v20, vcc
	v_sub_u32_e32 v21, 0, v19
	v_cmp_gt_i16_e32 vcc, 0, v25
	v_mul_f32_e32 v6, v8, v6
	v_mul_f32_e32 v6, 0x3e800000, v6
	v_cndmask_b32_e32 v19, v19, v21, vcc
	v_add3_u32 v18, v18, v20, v19
	v_cvt_f32_i32_e32 v7, v18
	v_cmp_le_u32_e32 vcc, s2, v12
	s_or_b64 s[0:1], vcc, s[0:1]
	v_fmac_f32_e32 v13, v6, v7
	s_andn2_b64 exec, exec, s[0:1]
	s_cbranch_execnz .LBB68_3
; %bb.4:
	s_or_b64 exec, exec, s[0:1]
.LBB68_5:
	s_or_b64 exec, exec, s[8:9]
	v_mbcnt_lo_u32_b32 v0, -1, 0
	v_mbcnt_hi_u32_b32 v1, -1, v0
	v_and_b32_e32 v0, 64, v1
	v_add_u32_e32 v2, 64, v0
	v_xor_b32_e32 v0, 32, v1
	v_cmp_lt_i32_e32 vcc, v0, v2
	v_xor_b32_e32 v3, 16, v1
	v_xor_b32_e32 v4, 8, v1
	v_cndmask_b32_e32 v0, v1, v0, vcc
	v_lshlrev_b32_e32 v0, 2, v0
	ds_bpermute_b32 v0, v0, v13
	v_cmp_lt_i32_e32 vcc, v3, v2
	s_waitcnt lgkmcnt(0)
	v_add_f32_e32 v0, v13, v0
	v_cndmask_b32_e32 v3, v1, v3, vcc
	v_lshlrev_b32_e32 v3, 2, v3
	ds_bpermute_b32 v3, v3, v0
	v_cmp_lt_i32_e32 vcc, v4, v2
	s_waitcnt lgkmcnt(0)
	v_add_f32_e32 v0, v0, v3
	v_cndmask_b32_e32 v3, v1, v4, vcc
	v_lshlrev_b32_e32 v3, 2, v3
	ds_bpermute_b32 v3, v3, v0
	v_xor_b32_e32 v4, 4, v1
	v_cmp_lt_i32_e32 vcc, v4, v2
	s_waitcnt lgkmcnt(0)
	v_add_f32_e32 v0, v0, v3
	v_cndmask_b32_e32 v3, v1, v4, vcc
	v_lshlrev_b32_e32 v3, 2, v3
	ds_bpermute_b32 v3, v3, v0
	v_xor_b32_e32 v4, 2, v1
	;; [unrolled: 7-line block ×3, first 2 shown]
	v_cmp_lt_i32_e32 vcc, v4, v2
	s_waitcnt lgkmcnt(0)
	v_add_f32_e32 v0, v0, v3
	v_cndmask_b32_e32 v1, v1, v4, vcc
	v_lshlrev_b32_e32 v1, 2, v1
	ds_bpermute_b32 v1, v1, v0
	v_cmp_eq_u32_e32 vcc, 0, v11
	s_and_b64 exec, exec, vcc
	s_cbranch_execz .LBB68_7
; %bb.6:
	s_mul_i32 s0, s5, s3
	s_waitcnt lgkmcnt(0)
	v_add_f32_e32 v2, v0, v1
	v_add_u32_e32 v0, s0, v10
	v_mov_b32_e32 v1, 0
	v_lshl_add_u64 v[0:1], v[0:1], 2, s[6:7]
	global_store_dword v[0:1], v2, off
.LBB68_7:
	s_endpgm
	.section	.rodata,"a",@progbits
	.p2align	6, 0x0
	.amdhsa_kernel _ZL13mul_mat_vec_qIfLi256ELi8E13block_iq2_xxsLi1EXadL_ZL20vec_dot_iq2_xxs_q8_1PKvPK10block_q8_1RKiEEEvS2_S2_PT_iii
		.amdhsa_group_segment_fixed_size 0
		.amdhsa_private_segment_fixed_size 0
		.amdhsa_kernarg_size 296
		.amdhsa_user_sgpr_count 2
		.amdhsa_user_sgpr_dispatch_ptr 0
		.amdhsa_user_sgpr_queue_ptr 0
		.amdhsa_user_sgpr_kernarg_segment_ptr 1
		.amdhsa_user_sgpr_dispatch_id 0
		.amdhsa_user_sgpr_kernarg_preload_length 0
		.amdhsa_user_sgpr_kernarg_preload_offset 0
		.amdhsa_user_sgpr_private_segment_size 0
		.amdhsa_uses_dynamic_stack 0
		.amdhsa_enable_private_segment 0
		.amdhsa_system_sgpr_workgroup_id_x 1
		.amdhsa_system_sgpr_workgroup_id_y 1
		.amdhsa_system_sgpr_workgroup_id_z 0
		.amdhsa_system_sgpr_workgroup_info 0
		.amdhsa_system_vgpr_workitem_id 1
		.amdhsa_next_free_vgpr 31
		.amdhsa_next_free_sgpr 16
		.amdhsa_accum_offset 32
		.amdhsa_reserve_vcc 1
		.amdhsa_float_round_mode_32 0
		.amdhsa_float_round_mode_16_64 0
		.amdhsa_float_denorm_mode_32 3
		.amdhsa_float_denorm_mode_16_64 3
		.amdhsa_dx10_clamp 1
		.amdhsa_ieee_mode 1
		.amdhsa_fp16_overflow 0
		.amdhsa_tg_split 0
		.amdhsa_exception_fp_ieee_invalid_op 0
		.amdhsa_exception_fp_denorm_src 0
		.amdhsa_exception_fp_ieee_div_zero 0
		.amdhsa_exception_fp_ieee_overflow 0
		.amdhsa_exception_fp_ieee_underflow 0
		.amdhsa_exception_fp_ieee_inexact 0
		.amdhsa_exception_int_div_zero 0
	.end_amdhsa_kernel
	.section	.text._ZL13mul_mat_vec_qIfLi256ELi8E13block_iq2_xxsLi1EXadL_ZL20vec_dot_iq2_xxs_q8_1PKvPK10block_q8_1RKiEEEvS2_S2_PT_iii,"axG",@progbits,_ZL13mul_mat_vec_qIfLi256ELi8E13block_iq2_xxsLi1EXadL_ZL20vec_dot_iq2_xxs_q8_1PKvPK10block_q8_1RKiEEEvS2_S2_PT_iii,comdat
.Lfunc_end68:
	.size	_ZL13mul_mat_vec_qIfLi256ELi8E13block_iq2_xxsLi1EXadL_ZL20vec_dot_iq2_xxs_q8_1PKvPK10block_q8_1RKiEEEvS2_S2_PT_iii, .Lfunc_end68-_ZL13mul_mat_vec_qIfLi256ELi8E13block_iq2_xxsLi1EXadL_ZL20vec_dot_iq2_xxs_q8_1PKvPK10block_q8_1RKiEEEvS2_S2_PT_iii
                                        ; -- End function
	.set _ZL13mul_mat_vec_qIfLi256ELi8E13block_iq2_xxsLi1EXadL_ZL20vec_dot_iq2_xxs_q8_1PKvPK10block_q8_1RKiEEEvS2_S2_PT_iii.num_vgpr, 31
	.set _ZL13mul_mat_vec_qIfLi256ELi8E13block_iq2_xxsLi1EXadL_ZL20vec_dot_iq2_xxs_q8_1PKvPK10block_q8_1RKiEEEvS2_S2_PT_iii.num_agpr, 0
	.set _ZL13mul_mat_vec_qIfLi256ELi8E13block_iq2_xxsLi1EXadL_ZL20vec_dot_iq2_xxs_q8_1PKvPK10block_q8_1RKiEEEvS2_S2_PT_iii.numbered_sgpr, 16
	.set _ZL13mul_mat_vec_qIfLi256ELi8E13block_iq2_xxsLi1EXadL_ZL20vec_dot_iq2_xxs_q8_1PKvPK10block_q8_1RKiEEEvS2_S2_PT_iii.num_named_barrier, 0
	.set _ZL13mul_mat_vec_qIfLi256ELi8E13block_iq2_xxsLi1EXadL_ZL20vec_dot_iq2_xxs_q8_1PKvPK10block_q8_1RKiEEEvS2_S2_PT_iii.private_seg_size, 0
	.set _ZL13mul_mat_vec_qIfLi256ELi8E13block_iq2_xxsLi1EXadL_ZL20vec_dot_iq2_xxs_q8_1PKvPK10block_q8_1RKiEEEvS2_S2_PT_iii.uses_vcc, 1
	.set _ZL13mul_mat_vec_qIfLi256ELi8E13block_iq2_xxsLi1EXadL_ZL20vec_dot_iq2_xxs_q8_1PKvPK10block_q8_1RKiEEEvS2_S2_PT_iii.uses_flat_scratch, 0
	.set _ZL13mul_mat_vec_qIfLi256ELi8E13block_iq2_xxsLi1EXadL_ZL20vec_dot_iq2_xxs_q8_1PKvPK10block_q8_1RKiEEEvS2_S2_PT_iii.has_dyn_sized_stack, 0
	.set _ZL13mul_mat_vec_qIfLi256ELi8E13block_iq2_xxsLi1EXadL_ZL20vec_dot_iq2_xxs_q8_1PKvPK10block_q8_1RKiEEEvS2_S2_PT_iii.has_recursion, 0
	.set _ZL13mul_mat_vec_qIfLi256ELi8E13block_iq2_xxsLi1EXadL_ZL20vec_dot_iq2_xxs_q8_1PKvPK10block_q8_1RKiEEEvS2_S2_PT_iii.has_indirect_call, 0
	.section	.AMDGPU.csdata,"",@progbits
; Kernel info:
; codeLenInByte = 1756
; TotalNumSgprs: 22
; NumVgprs: 31
; NumAgprs: 0
; TotalNumVgprs: 31
; ScratchSize: 0
; MemoryBound: 0
; FloatMode: 240
; IeeeMode: 1
; LDSByteSize: 0 bytes/workgroup (compile time only)
; SGPRBlocks: 2
; VGPRBlocks: 3
; NumSGPRsForWavesPerEU: 22
; NumVGPRsForWavesPerEU: 31
; AccumOffset: 32
; Occupancy: 8
; WaveLimiterHint : 0
; COMPUTE_PGM_RSRC2:SCRATCH_EN: 0
; COMPUTE_PGM_RSRC2:USER_SGPR: 2
; COMPUTE_PGM_RSRC2:TRAP_HANDLER: 0
; COMPUTE_PGM_RSRC2:TGID_X_EN: 1
; COMPUTE_PGM_RSRC2:TGID_Y_EN: 1
; COMPUTE_PGM_RSRC2:TGID_Z_EN: 0
; COMPUTE_PGM_RSRC2:TIDIG_COMP_CNT: 1
; COMPUTE_PGM_RSRC3_GFX90A:ACCUM_OFFSET: 7
; COMPUTE_PGM_RSRC3_GFX90A:TG_SPLIT: 0
	.section	.text._ZL13mul_mat_vec_qIfLi256ELi8E12block_iq2_xsLi1EXadL_ZL19vec_dot_iq2_xs_q8_1PKvPK10block_q8_1RKiEEEvS2_S2_PT_iii,"axG",@progbits,_ZL13mul_mat_vec_qIfLi256ELi8E12block_iq2_xsLi1EXadL_ZL19vec_dot_iq2_xs_q8_1PKvPK10block_q8_1RKiEEEvS2_S2_PT_iii,comdat
	.globl	_ZL13mul_mat_vec_qIfLi256ELi8E12block_iq2_xsLi1EXadL_ZL19vec_dot_iq2_xs_q8_1PKvPK10block_q8_1RKiEEEvS2_S2_PT_iii ; -- Begin function _ZL13mul_mat_vec_qIfLi256ELi8E12block_iq2_xsLi1EXadL_ZL19vec_dot_iq2_xs_q8_1PKvPK10block_q8_1RKiEEEvS2_S2_PT_iii
	.p2align	8
	.type	_ZL13mul_mat_vec_qIfLi256ELi8E12block_iq2_xsLi1EXadL_ZL19vec_dot_iq2_xs_q8_1PKvPK10block_q8_1RKiEEEvS2_S2_PT_iii,@function
_ZL13mul_mat_vec_qIfLi256ELi8E12block_iq2_xsLi1EXadL_ZL19vec_dot_iq2_xs_q8_1PKvPK10block_q8_1RKiEEEvS2_S2_PT_iii: ; @_ZL13mul_mat_vec_qIfLi256ELi8E12block_iq2_xsLi1EXadL_ZL19vec_dot_iq2_xs_q8_1PKvPK10block_q8_1RKiEEEvS2_S2_PT_iii
; %bb.0:
	s_load_dword s8, s[0:1], 0x34
	s_load_dwordx4 s[4:7], s[0:1], 0x18
	v_bfe_u32 v1, v0, 10, 10
	s_waitcnt lgkmcnt(0)
	s_lshr_b32 s7, s8, 16
	s_mul_i32 s2, s2, s7
	v_add_u32_e32 v14, s2, v1
	s_cmp_lt_u32 s3, s6
	v_cmp_gt_u32_e32 vcc, s5, v14
	s_cselect_b64 s[6:7], -1, 0
	s_and_b64 s[6:7], s[6:7], vcc
	s_and_saveexec_b64 s[8:9], s[6:7]
	s_cbranch_execz .LBB69_7
; %bb.1:
	s_load_dwordx2 s[6:7], s[0:1], 0x10
	s_ashr_i32 s2, s4, 31
	s_lshr_b32 s2, s2, 24
	s_add_i32 s2, s4, s2
	s_ashr_i32 s2, s2, 8
	v_bfe_u32 v16, v0, 3, 7
	v_and_b32_e32 v15, 0x3ff, v0
	v_cmp_gt_u32_e32 vcc, s2, v16
	v_mov_b32_e32 v17, 0
	s_and_saveexec_b64 s[8:9], vcc
	s_cbranch_execz .LBB69_5
; %bb.2:
	s_load_dwordx4 s[12:15], s[0:1], 0x0
	s_add_i32 s0, s4, 0x1ff
	s_ashr_i32 s1, s0, 31
	s_lshr_b32 s1, s1, 23
	s_add_i32 s0, s0, s1
	s_ashr_i32 s0, s0, 9
	v_and_b32_e32 v0, 7, v15
	s_mul_i32 s4, s3, s0
	v_lshlrev_b32_e32 v6, 2, v0
	v_mov_b32_e32 v1, 0
	s_waitcnt lgkmcnt(0)
	v_mad_u64_u32 v[2:3], s[0:1], v0, 36, s[14:15]
	v_lshlrev_b32_e32 v4, 3, v16
	v_mul_lo_u32 v18, v14, s2
	v_lshl_add_u32 v19, s4, 4, v4
	s_mov_b64 s[0:1], 0
	s_movk_i32 s4, 0x4a
	v_mov_b64_e32 v[4:5], s[12:13]
	v_lshlrev_b32_e32 v6, 1, v6
	v_mov_b32_e32 v7, v1
	v_mov_b32_e32 v17, v1
.LBB69_3:                               ; =>This Inner Loop Header: Depth=1
	v_add_u32_e32 v8, v18, v16
	v_mad_i64_i32 v[10:11], s[10:11], v8, s4, v[4:5]
	v_lshl_add_u64 v[24:25], v[10:11], 0, v[0:1]
	v_lshl_add_u64 v[22:23], v[10:11], 0, v[6:7]
	global_load_ubyte v20, v[24:25], off offset:66
	global_load_dwordx2 v[12:13], v[22:23], off offset:2
	v_mad_i64_i32 v[8:9], s[10:11], v19, 36, v[2:3]
	s_getpc_b64 s[10:11]
	s_add_u32 s10, s10, _ZL10iq2xs_grid@rel32@lo+4
	s_addc_u32 s11, s11, _ZL10iq2xs_grid@rel32@hi+12
	s_getpc_b64 s[12:13]
	s_add_u32 s12, s12, _ZL12ksigns_iq2xs@rel32@lo+4
	s_addc_u32 s13, s13, _ZL12ksigns_iq2xs@rel32@hi+12
	v_add_u32_e32 v16, 8, v16
	v_add_u32_e32 v19, 64, v19
	s_waitcnt vmcnt(0)
	v_and_b32_e32 v21, 0x1ff, v12
	v_bfe_u32 v28, v12, 9, 7
	v_lshlrev_b32_e32 v21, 3, v21
	global_load_sbyte v29, v28, s[12:13]
	global_load_dwordx4 v[22:25], v[8:9], off offset:4
	global_load_dwordx2 v[26:27], v21, s[10:11]
	v_bfe_u32 v36, v13, 9, 7
	s_waitcnt vmcnt(2)
	v_and_b32_e32 v28, 1, v29
	v_cmp_eq_u16_e32 vcc, 0, v28
	s_waitcnt vmcnt(0)
	v_mul_i32_i24_sdwa v21, v26, sext(v22) dst_sel:DWORD dst_unused:UNUSED_PAD src0_sel:BYTE_0 src1_sel:BYTE_0
	v_sub_u32_e32 v28, 0, v21
	v_cndmask_b32_e32 v21, v28, v21, vcc
	v_mul_i32_i24_sdwa v28, v26, sext(v22) dst_sel:DWORD dst_unused:UNUSED_PAD src0_sel:BYTE_1 src1_sel:BYTE_1
	v_and_b32_e32 v30, 2, v29
	v_cmp_eq_u16_e32 vcc, 0, v30
	v_sub_u32_e32 v30, 0, v28
	s_nop 0
	v_cndmask_b32_e32 v28, v30, v28, vcc
	v_add_u32_e32 v21, v28, v21
	v_mul_i32_i24_sdwa v28, v26, sext(v22) dst_sel:DWORD dst_unused:UNUSED_PAD src0_sel:BYTE_2 src1_sel:BYTE_2
	v_and_b32_e32 v30, 4, v29
	v_cmp_eq_u16_e32 vcc, 0, v30
	v_sub_u32_e32 v30, 0, v28
	v_mul_i32_i24_sdwa v22, v26, sext(v22) dst_sel:DWORD dst_unused:UNUSED_PAD src0_sel:BYTE_3 src1_sel:BYTE_3
	v_and_b32_e32 v26, 8, v29
	v_cndmask_b32_e32 v28, v30, v28, vcc
	v_cmp_eq_u16_e32 vcc, 0, v26
	v_sub_u32_e32 v26, 0, v22
	s_nop 0
	v_cndmask_b32_e32 v22, v26, v22, vcc
	v_add3_u32 v21, v21, v28, v22
	v_mul_i32_i24_sdwa v22, v27, sext(v23) dst_sel:DWORD dst_unused:UNUSED_PAD src0_sel:BYTE_0 src1_sel:BYTE_0
	v_and_b32_e32 v26, 16, v29
	v_cmp_eq_u16_e32 vcc, 0, v26
	v_sub_u32_e32 v26, 0, v22
	v_and_b32_e32 v28, 32, v29
	v_cndmask_b32_e32 v22, v26, v22, vcc
	v_mul_i32_i24_sdwa v26, v27, sext(v23) dst_sel:DWORD dst_unused:UNUSED_PAD src0_sel:BYTE_1 src1_sel:BYTE_1
	v_cmp_eq_u16_e32 vcc, 0, v28
	v_sub_u32_e32 v28, 0, v26
	s_nop 0
	v_cndmask_b32_e32 v26, v28, v26, vcc
	v_add3_u32 v21, v21, v22, v26
	v_mul_i32_i24_sdwa v22, v27, sext(v23) dst_sel:DWORD dst_unused:UNUSED_PAD src0_sel:BYTE_2 src1_sel:BYTE_2
	v_sub_u32_e32 v26, 0, v22
	v_cmp_gt_i16_e32 vcc, 0, v12
	v_mul_i32_i24_sdwa v23, v27, sext(v23) dst_sel:DWORD dst_unused:UNUSED_PAD src0_sel:BYTE_3 src1_sel:BYTE_3
	v_lshrrev_b32_e32 v27, 25, v12
	v_cndmask_b32_e32 v22, v22, v26, vcc
	v_sub_u32_e32 v26, 0, v23
	v_cmp_gt_i16_e32 vcc, 0, v29
	s_nop 1
	v_cndmask_b32_e32 v23, v23, v26, vcc
	v_add3_u32 v21, v21, v22, v23
	v_lshrrev_b32_e32 v22, 13, v12
	v_and_b32_e32 v26, 0xff8, v22
	global_load_sbyte v28, v27, s[12:13]
	global_load_dwordx2 v[22:23], v26, s[10:11]
	s_waitcnt vmcnt(1)
	v_and_b32_e32 v27, 1, v28
	s_waitcnt vmcnt(0)
	v_mul_i32_i24_sdwa v26, v22, sext(v24) dst_sel:DWORD dst_unused:UNUSED_PAD src0_sel:BYTE_0 src1_sel:BYTE_0
	v_cmp_eq_u16_e32 vcc, 0, v27
	v_sub_u32_e32 v27, 0, v26
	s_nop 0
	v_cndmask_b32_e32 v29, v27, v26, vcc
	v_mul_i32_i24_sdwa v26, v22, sext(v24) dst_sel:DWORD dst_unused:UNUSED_PAD src0_sel:BYTE_1 src1_sel:BYTE_1
	v_and_b32_e32 v27, 2, v28
	v_cmp_eq_u16_e32 vcc, 0, v27
	v_sub_u32_e32 v27, 0, v26
	s_nop 0
	v_cndmask_b32_e32 v30, v27, v26, vcc
	v_mul_i32_i24_sdwa v26, v22, sext(v24) dst_sel:DWORD dst_unused:UNUSED_PAD src0_sel:BYTE_2 src1_sel:BYTE_2
	v_and_b32_e32 v27, 4, v28
	v_cmp_eq_u16_e32 vcc, 0, v27
	v_sub_u32_e32 v27, 0, v26
	v_mul_i32_i24_sdwa v22, v22, sext(v24) dst_sel:DWORD dst_unused:UNUSED_PAD src0_sel:BYTE_3 src1_sel:BYTE_3
	v_and_b32_e32 v24, 8, v28
	v_cndmask_b32_e32 v31, v27, v26, vcc
	v_cmp_eq_u16_e32 vcc, 0, v24
	v_sub_u32_e32 v24, 0, v22
	v_add3_u32 v21, v21, v29, v30
	v_cndmask_b32_e32 v32, v24, v22, vcc
	v_mul_i32_i24_sdwa v22, v23, sext(v25) dst_sel:DWORD dst_unused:UNUSED_PAD src0_sel:BYTE_0 src1_sel:BYTE_0
	v_and_b32_e32 v24, 16, v28
	v_cmp_eq_u16_e32 vcc, 0, v24
	v_sub_u32_e32 v24, 0, v22
	v_add3_u32 v21, v21, v31, v32
	v_cndmask_b32_e32 v33, v24, v22, vcc
	v_mul_i32_i24_sdwa v22, v23, sext(v25) dst_sel:DWORD dst_unused:UNUSED_PAD src0_sel:BYTE_1 src1_sel:BYTE_1
	v_and_b32_e32 v24, 32, v28
	v_cmp_eq_u16_e32 vcc, 0, v24
	v_sub_u32_e32 v24, 0, v22
	s_nop 0
	v_cndmask_b32_e32 v34, v24, v22, vcc
	v_mul_i32_i24_sdwa v22, v23, sext(v25) dst_sel:DWORD dst_unused:UNUSED_PAD src0_sel:BYTE_2 src1_sel:BYTE_2
	v_sub_u32_e32 v24, 0, v22
	v_cmp_lt_i16_sdwa vcc, v12, v1 src0_sel:WORD_1 src1_sel:DWORD
	v_add3_u32 v21, v21, v33, v34
	s_nop 0
	v_cndmask_b32_e32 v12, v22, v24, vcc
	v_mul_i32_i24_sdwa v22, v23, sext(v25) dst_sel:DWORD dst_unused:UNUSED_PAD src0_sel:BYTE_3 src1_sel:BYTE_3
	v_sub_u32_e32 v23, 0, v22
	v_cmp_gt_i16_e32 vcc, 0, v28
	s_nop 1
	v_cndmask_b32_e32 v28, v22, v23, vcc
	v_and_b32_e32 v22, 0x1ff, v13
	v_lshlrev_b32_e32 v35, 3, v22
	global_load_sbyte v37, v36, s[12:13]
	global_load_dwordx4 v[22:25], v[8:9], off offset:20
	global_load_dwordx2 v[26:27], v35, s[10:11]
	v_add3_u32 v12, v21, v12, v28
	v_lshrrev_b16_e32 v21, 4, v20
	v_and_b32_e32 v20, 15, v20
	s_waitcnt vmcnt(2)
	v_and_b32_e32 v36, 1, v37
	v_cmp_eq_u16_e32 vcc, 0, v36
	s_waitcnt vmcnt(0)
	v_mul_i32_i24_sdwa v35, v26, sext(v22) dst_sel:DWORD dst_unused:UNUSED_PAD src0_sel:BYTE_0 src1_sel:BYTE_0
	v_sub_u32_e32 v36, 0, v35
	v_cndmask_b32_e32 v35, v36, v35, vcc
	v_mul_i32_i24_sdwa v36, v26, sext(v22) dst_sel:DWORD dst_unused:UNUSED_PAD src0_sel:BYTE_1 src1_sel:BYTE_1
	v_and_b32_e32 v38, 2, v37
	v_cmp_eq_u16_e32 vcc, 0, v38
	v_sub_u32_e32 v38, 0, v36
	s_nop 0
	v_cndmask_b32_e32 v36, v38, v36, vcc
	v_add_u32_e32 v35, v36, v35
	v_mul_i32_i24_sdwa v36, v26, sext(v22) dst_sel:DWORD dst_unused:UNUSED_PAD src0_sel:BYTE_2 src1_sel:BYTE_2
	v_and_b32_e32 v38, 4, v37
	v_cmp_eq_u16_e32 vcc, 0, v38
	v_sub_u32_e32 v38, 0, v36
	v_mul_i32_i24_sdwa v22, v26, sext(v22) dst_sel:DWORD dst_unused:UNUSED_PAD src0_sel:BYTE_3 src1_sel:BYTE_3
	v_and_b32_e32 v26, 8, v37
	v_cndmask_b32_e32 v36, v38, v36, vcc
	v_cmp_eq_u16_e32 vcc, 0, v26
	v_sub_u32_e32 v26, 0, v22
	s_nop 0
	v_cndmask_b32_e32 v22, v26, v22, vcc
	v_add3_u32 v22, v35, v36, v22
	v_mul_i32_i24_sdwa v26, v27, sext(v23) dst_sel:DWORD dst_unused:UNUSED_PAD src0_sel:BYTE_0 src1_sel:BYTE_0
	v_and_b32_e32 v35, 16, v37
	v_cmp_eq_u16_e32 vcc, 0, v35
	v_sub_u32_e32 v35, 0, v26
	v_and_b32_e32 v36, 32, v37
	v_cndmask_b32_e32 v26, v35, v26, vcc
	v_mul_i32_i24_sdwa v35, v27, sext(v23) dst_sel:DWORD dst_unused:UNUSED_PAD src0_sel:BYTE_1 src1_sel:BYTE_1
	v_cmp_eq_u16_e32 vcc, 0, v36
	v_sub_u32_e32 v36, 0, v35
	s_nop 0
	v_cndmask_b32_e32 v35, v36, v35, vcc
	v_add3_u32 v22, v22, v26, v35
	v_mul_i32_i24_sdwa v26, v27, sext(v23) dst_sel:DWORD dst_unused:UNUSED_PAD src0_sel:BYTE_2 src1_sel:BYTE_2
	v_sub_u32_e32 v35, 0, v26
	v_cmp_gt_i16_e32 vcc, 0, v13
	v_mul_i32_i24_sdwa v23, v27, sext(v23) dst_sel:DWORD dst_unused:UNUSED_PAD src0_sel:BYTE_3 src1_sel:BYTE_3
	v_sub_u32_e32 v27, 0, v23
	v_cndmask_b32_e32 v26, v26, v35, vcc
	v_cmp_gt_i16_e32 vcc, 0, v37
	v_lshrrev_b32_e32 v35, 25, v13
	s_nop 0
	v_cndmask_b32_e32 v23, v23, v27, vcc
	v_add3_u32 v26, v22, v26, v23
	v_lshrrev_b32_e32 v22, 13, v13
	v_and_b32_e32 v27, 0xff8, v22
	global_load_sbyte v36, v35, s[12:13]
	global_load_dwordx2 v[22:23], v27, s[10:11]
	s_waitcnt vmcnt(1)
	v_and_b32_e32 v35, 1, v36
	global_load_ushort v10, v[10:11], off
	s_waitcnt vmcnt(1)
	v_mul_i32_i24_sdwa v27, v22, sext(v24) dst_sel:DWORD dst_unused:UNUSED_PAD src0_sel:BYTE_0 src1_sel:BYTE_0
	global_load_ushort v8, v[8:9], off
	v_cmp_eq_u16_e32 vcc, 0, v35
	v_sub_u32_e32 v35, 0, v27
	v_and_b32_e32 v37, 2, v36
	v_cndmask_b32_e32 v27, v35, v27, vcc
	v_mul_i32_i24_sdwa v35, v22, sext(v24) dst_sel:DWORD dst_unused:UNUSED_PAD src0_sel:BYTE_1 src1_sel:BYTE_1
	v_cmp_eq_u16_e32 vcc, 0, v37
	v_sub_u32_e32 v37, 0, v35
	v_cvt_f32_ubyte0_e32 v11, v21
	v_cndmask_b32_e32 v35, v37, v35, vcc
	v_add3_u32 v26, v26, v27, v35
	v_mul_i32_i24_sdwa v27, v22, sext(v24) dst_sel:DWORD dst_unused:UNUSED_PAD src0_sel:BYTE_2 src1_sel:BYTE_2
	v_and_b32_e32 v35, 4, v36
	v_cmp_eq_u16_e32 vcc, 0, v35
	v_sub_u32_e32 v35, 0, v27
	v_mul_i32_i24_sdwa v22, v22, sext(v24) dst_sel:DWORD dst_unused:UNUSED_PAD src0_sel:BYTE_3 src1_sel:BYTE_3
	v_and_b32_e32 v24, 8, v36
	v_cndmask_b32_e32 v27, v35, v27, vcc
	v_cmp_eq_u16_e32 vcc, 0, v24
	v_sub_u32_e32 v24, 0, v22
	v_cvt_f32_ubyte0_e32 v9, v20
	v_cndmask_b32_e32 v22, v24, v22, vcc
	v_add3_u32 v22, v26, v27, v22
	v_mul_i32_i24_sdwa v24, v23, sext(v25) dst_sel:DWORD dst_unused:UNUSED_PAD src0_sel:BYTE_0 src1_sel:BYTE_0
	v_and_b32_e32 v26, 16, v36
	v_cmp_eq_u16_e32 vcc, 0, v26
	v_sub_u32_e32 v26, 0, v24
	v_and_b32_e32 v27, 32, v36
	v_cndmask_b32_e32 v24, v26, v24, vcc
	v_mul_i32_i24_sdwa v26, v23, sext(v25) dst_sel:DWORD dst_unused:UNUSED_PAD src0_sel:BYTE_1 src1_sel:BYTE_1
	v_cmp_eq_u16_e32 vcc, 0, v27
	v_sub_u32_e32 v27, 0, v26
	v_add_f32_e32 v11, 0.5, v11
	v_cndmask_b32_e32 v26, v27, v26, vcc
	v_add3_u32 v22, v22, v24, v26
	v_mul_i32_i24_sdwa v24, v23, sext(v25) dst_sel:DWORD dst_unused:UNUSED_PAD src0_sel:BYTE_2 src1_sel:BYTE_2
	v_sub_u32_e32 v26, 0, v24
	v_cmp_lt_i16_sdwa vcc, v13, v1 src0_sel:WORD_1 src1_sel:DWORD
	v_mul_i32_i24_sdwa v23, v23, sext(v25) dst_sel:DWORD dst_unused:UNUSED_PAD src0_sel:BYTE_3 src1_sel:BYTE_3
	v_add_f32_e32 v9, 0.5, v9
	v_cndmask_b32_e32 v13, v24, v26, vcc
	v_sub_u32_e32 v24, 0, v23
	v_cmp_gt_i16_e32 vcc, 0, v36
	s_waitcnt vmcnt(1)
	v_cvt_f32_f16_e32 v10, v10
	v_cndmask_b32_e32 v23, v23, v24, vcc
	s_waitcnt vmcnt(0)
	v_cvt_f32_f16_e32 v8, v8
	v_add3_u32 v13, v22, v13, v23
	v_cmp_le_u32_e32 vcc, s2, v16
	s_or_b64 s[0:1], vcc, s[0:1]
	v_mul_f32_e32 v8, v10, v8
	v_cvt_f32_i32_e32 v10, v12
	v_cvt_f32_i32_e32 v12, v13
	v_mul_f32_e32 v8, 0x3e800000, v8
	v_mul_f32_e32 v11, v11, v12
	v_fmac_f32_e32 v11, v9, v10
	v_fmac_f32_e32 v17, v8, v11
	s_andn2_b64 exec, exec, s[0:1]
	s_cbranch_execnz .LBB69_3
; %bb.4:
	s_or_b64 exec, exec, s[0:1]
.LBB69_5:
	s_or_b64 exec, exec, s[8:9]
	v_mbcnt_lo_u32_b32 v0, -1, 0
	v_mbcnt_hi_u32_b32 v1, -1, v0
	v_and_b32_e32 v0, 64, v1
	v_add_u32_e32 v2, 64, v0
	v_xor_b32_e32 v0, 32, v1
	v_cmp_lt_i32_e32 vcc, v0, v2
	v_xor_b32_e32 v3, 16, v1
	v_xor_b32_e32 v4, 8, v1
	v_cndmask_b32_e32 v0, v1, v0, vcc
	v_lshlrev_b32_e32 v0, 2, v0
	ds_bpermute_b32 v0, v0, v17
	v_cmp_lt_i32_e32 vcc, v3, v2
	s_waitcnt lgkmcnt(0)
	v_add_f32_e32 v0, v17, v0
	v_cndmask_b32_e32 v3, v1, v3, vcc
	v_lshlrev_b32_e32 v3, 2, v3
	ds_bpermute_b32 v3, v3, v0
	v_cmp_lt_i32_e32 vcc, v4, v2
	s_waitcnt lgkmcnt(0)
	v_add_f32_e32 v0, v0, v3
	v_cndmask_b32_e32 v3, v1, v4, vcc
	v_lshlrev_b32_e32 v3, 2, v3
	ds_bpermute_b32 v3, v3, v0
	v_xor_b32_e32 v4, 4, v1
	v_cmp_lt_i32_e32 vcc, v4, v2
	s_waitcnt lgkmcnt(0)
	v_add_f32_e32 v0, v0, v3
	v_cndmask_b32_e32 v3, v1, v4, vcc
	v_lshlrev_b32_e32 v3, 2, v3
	ds_bpermute_b32 v3, v3, v0
	v_xor_b32_e32 v4, 2, v1
	;; [unrolled: 7-line block ×3, first 2 shown]
	v_cmp_lt_i32_e32 vcc, v4, v2
	s_waitcnt lgkmcnt(0)
	v_add_f32_e32 v0, v0, v3
	v_cndmask_b32_e32 v1, v1, v4, vcc
	v_lshlrev_b32_e32 v1, 2, v1
	ds_bpermute_b32 v1, v1, v0
	v_cmp_eq_u32_e32 vcc, 0, v15
	s_and_b64 exec, exec, vcc
	s_cbranch_execz .LBB69_7
; %bb.6:
	s_mul_i32 s0, s5, s3
	s_waitcnt lgkmcnt(0)
	v_add_f32_e32 v2, v0, v1
	v_add_u32_e32 v0, s0, v14
	v_mov_b32_e32 v1, 0
	v_lshl_add_u64 v[0:1], v[0:1], 2, s[6:7]
	global_store_dword v[0:1], v2, off
.LBB69_7:
	s_endpgm
	.section	.rodata,"a",@progbits
	.p2align	6, 0x0
	.amdhsa_kernel _ZL13mul_mat_vec_qIfLi256ELi8E12block_iq2_xsLi1EXadL_ZL19vec_dot_iq2_xs_q8_1PKvPK10block_q8_1RKiEEEvS2_S2_PT_iii
		.amdhsa_group_segment_fixed_size 0
		.amdhsa_private_segment_fixed_size 0
		.amdhsa_kernarg_size 296
		.amdhsa_user_sgpr_count 2
		.amdhsa_user_sgpr_dispatch_ptr 0
		.amdhsa_user_sgpr_queue_ptr 0
		.amdhsa_user_sgpr_kernarg_segment_ptr 1
		.amdhsa_user_sgpr_dispatch_id 0
		.amdhsa_user_sgpr_kernarg_preload_length 0
		.amdhsa_user_sgpr_kernarg_preload_offset 0
		.amdhsa_user_sgpr_private_segment_size 0
		.amdhsa_uses_dynamic_stack 0
		.amdhsa_enable_private_segment 0
		.amdhsa_system_sgpr_workgroup_id_x 1
		.amdhsa_system_sgpr_workgroup_id_y 1
		.amdhsa_system_sgpr_workgroup_id_z 0
		.amdhsa_system_sgpr_workgroup_info 0
		.amdhsa_system_vgpr_workitem_id 1
		.amdhsa_next_free_vgpr 39
		.amdhsa_next_free_sgpr 16
		.amdhsa_accum_offset 40
		.amdhsa_reserve_vcc 1
		.amdhsa_float_round_mode_32 0
		.amdhsa_float_round_mode_16_64 0
		.amdhsa_float_denorm_mode_32 3
		.amdhsa_float_denorm_mode_16_64 3
		.amdhsa_dx10_clamp 1
		.amdhsa_ieee_mode 1
		.amdhsa_fp16_overflow 0
		.amdhsa_tg_split 0
		.amdhsa_exception_fp_ieee_invalid_op 0
		.amdhsa_exception_fp_denorm_src 0
		.amdhsa_exception_fp_ieee_div_zero 0
		.amdhsa_exception_fp_ieee_overflow 0
		.amdhsa_exception_fp_ieee_underflow 0
		.amdhsa_exception_fp_ieee_inexact 0
		.amdhsa_exception_int_div_zero 0
	.end_amdhsa_kernel
	.section	.text._ZL13mul_mat_vec_qIfLi256ELi8E12block_iq2_xsLi1EXadL_ZL19vec_dot_iq2_xs_q8_1PKvPK10block_q8_1RKiEEEvS2_S2_PT_iii,"axG",@progbits,_ZL13mul_mat_vec_qIfLi256ELi8E12block_iq2_xsLi1EXadL_ZL19vec_dot_iq2_xs_q8_1PKvPK10block_q8_1RKiEEEvS2_S2_PT_iii,comdat
.Lfunc_end69:
	.size	_ZL13mul_mat_vec_qIfLi256ELi8E12block_iq2_xsLi1EXadL_ZL19vec_dot_iq2_xs_q8_1PKvPK10block_q8_1RKiEEEvS2_S2_PT_iii, .Lfunc_end69-_ZL13mul_mat_vec_qIfLi256ELi8E12block_iq2_xsLi1EXadL_ZL19vec_dot_iq2_xs_q8_1PKvPK10block_q8_1RKiEEEvS2_S2_PT_iii
                                        ; -- End function
	.set _ZL13mul_mat_vec_qIfLi256ELi8E12block_iq2_xsLi1EXadL_ZL19vec_dot_iq2_xs_q8_1PKvPK10block_q8_1RKiEEEvS2_S2_PT_iii.num_vgpr, 39
	.set _ZL13mul_mat_vec_qIfLi256ELi8E12block_iq2_xsLi1EXadL_ZL19vec_dot_iq2_xs_q8_1PKvPK10block_q8_1RKiEEEvS2_S2_PT_iii.num_agpr, 0
	.set _ZL13mul_mat_vec_qIfLi256ELi8E12block_iq2_xsLi1EXadL_ZL19vec_dot_iq2_xs_q8_1PKvPK10block_q8_1RKiEEEvS2_S2_PT_iii.numbered_sgpr, 16
	.set _ZL13mul_mat_vec_qIfLi256ELi8E12block_iq2_xsLi1EXadL_ZL19vec_dot_iq2_xs_q8_1PKvPK10block_q8_1RKiEEEvS2_S2_PT_iii.num_named_barrier, 0
	.set _ZL13mul_mat_vec_qIfLi256ELi8E12block_iq2_xsLi1EXadL_ZL19vec_dot_iq2_xs_q8_1PKvPK10block_q8_1RKiEEEvS2_S2_PT_iii.private_seg_size, 0
	.set _ZL13mul_mat_vec_qIfLi256ELi8E12block_iq2_xsLi1EXadL_ZL19vec_dot_iq2_xs_q8_1PKvPK10block_q8_1RKiEEEvS2_S2_PT_iii.uses_vcc, 1
	.set _ZL13mul_mat_vec_qIfLi256ELi8E12block_iq2_xsLi1EXadL_ZL19vec_dot_iq2_xs_q8_1PKvPK10block_q8_1RKiEEEvS2_S2_PT_iii.uses_flat_scratch, 0
	.set _ZL13mul_mat_vec_qIfLi256ELi8E12block_iq2_xsLi1EXadL_ZL19vec_dot_iq2_xs_q8_1PKvPK10block_q8_1RKiEEEvS2_S2_PT_iii.has_dyn_sized_stack, 0
	.set _ZL13mul_mat_vec_qIfLi256ELi8E12block_iq2_xsLi1EXadL_ZL19vec_dot_iq2_xs_q8_1PKvPK10block_q8_1RKiEEEvS2_S2_PT_iii.has_recursion, 0
	.set _ZL13mul_mat_vec_qIfLi256ELi8E12block_iq2_xsLi1EXadL_ZL19vec_dot_iq2_xs_q8_1PKvPK10block_q8_1RKiEEEvS2_S2_PT_iii.has_indirect_call, 0
	.section	.AMDGPU.csdata,"",@progbits
; Kernel info:
; codeLenInByte = 1800
; TotalNumSgprs: 22
; NumVgprs: 39
; NumAgprs: 0
; TotalNumVgprs: 39
; ScratchSize: 0
; MemoryBound: 0
; FloatMode: 240
; IeeeMode: 1
; LDSByteSize: 0 bytes/workgroup (compile time only)
; SGPRBlocks: 2
; VGPRBlocks: 4
; NumSGPRsForWavesPerEU: 22
; NumVGPRsForWavesPerEU: 39
; AccumOffset: 40
; Occupancy: 8
; WaveLimiterHint : 0
; COMPUTE_PGM_RSRC2:SCRATCH_EN: 0
; COMPUTE_PGM_RSRC2:USER_SGPR: 2
; COMPUTE_PGM_RSRC2:TRAP_HANDLER: 0
; COMPUTE_PGM_RSRC2:TGID_X_EN: 1
; COMPUTE_PGM_RSRC2:TGID_Y_EN: 1
; COMPUTE_PGM_RSRC2:TGID_Z_EN: 0
; COMPUTE_PGM_RSRC2:TIDIG_COMP_CNT: 1
; COMPUTE_PGM_RSRC3_GFX90A:ACCUM_OFFSET: 9
; COMPUTE_PGM_RSRC3_GFX90A:TG_SPLIT: 0
	.section	.text._ZL13mul_mat_vec_qIfLi256ELi8E13block_iq3_xxsLi1EXadL_ZL20vec_dot_iq3_xxs_q8_1PKvPK10block_q8_1RKiEEEvS2_S2_PT_iii,"axG",@progbits,_ZL13mul_mat_vec_qIfLi256ELi8E13block_iq3_xxsLi1EXadL_ZL20vec_dot_iq3_xxs_q8_1PKvPK10block_q8_1RKiEEEvS2_S2_PT_iii,comdat
	.globl	_ZL13mul_mat_vec_qIfLi256ELi8E13block_iq3_xxsLi1EXadL_ZL20vec_dot_iq3_xxs_q8_1PKvPK10block_q8_1RKiEEEvS2_S2_PT_iii ; -- Begin function _ZL13mul_mat_vec_qIfLi256ELi8E13block_iq3_xxsLi1EXadL_ZL20vec_dot_iq3_xxs_q8_1PKvPK10block_q8_1RKiEEEvS2_S2_PT_iii
	.p2align	8
	.type	_ZL13mul_mat_vec_qIfLi256ELi8E13block_iq3_xxsLi1EXadL_ZL20vec_dot_iq3_xxs_q8_1PKvPK10block_q8_1RKiEEEvS2_S2_PT_iii,@function
_ZL13mul_mat_vec_qIfLi256ELi8E13block_iq3_xxsLi1EXadL_ZL20vec_dot_iq3_xxs_q8_1PKvPK10block_q8_1RKiEEEvS2_S2_PT_iii: ; @_ZL13mul_mat_vec_qIfLi256ELi8E13block_iq3_xxsLi1EXadL_ZL20vec_dot_iq3_xxs_q8_1PKvPK10block_q8_1RKiEEEvS2_S2_PT_iii
; %bb.0:
	s_load_dword s8, s[0:1], 0x34
	s_load_dwordx4 s[4:7], s[0:1], 0x18
	v_bfe_u32 v1, v0, 10, 10
	s_waitcnt lgkmcnt(0)
	s_lshr_b32 s7, s8, 16
	s_mul_i32 s2, s2, s7
	v_add_u32_e32 v18, s2, v1
	s_cmp_lt_u32 s3, s6
	v_cmp_gt_u32_e32 vcc, s5, v18
	s_cselect_b64 s[6:7], -1, 0
	s_and_b64 s[6:7], s[6:7], vcc
	s_and_saveexec_b64 s[8:9], s[6:7]
	s_cbranch_execz .LBB70_7
; %bb.1:
	s_load_dwordx2 s[6:7], s[0:1], 0x10
	s_ashr_i32 s2, s4, 31
	s_lshr_b32 s2, s2, 24
	s_add_i32 s2, s4, s2
	s_ashr_i32 s2, s2, 8
	v_bfe_u32 v20, v0, 3, 7
	v_and_b32_e32 v19, 0x3ff, v0
	v_cmp_gt_u32_e32 vcc, s2, v20
	v_mov_b32_e32 v21, 0
	s_and_saveexec_b64 s[8:9], vcc
	s_cbranch_execz .LBB70_5
; %bb.2:
	s_load_dwordx4 s[12:15], s[0:1], 0x0
	s_add_i32 s0, s4, 0x1ff
	s_ashr_i32 s1, s0, 31
	s_lshr_b32 s1, s1, 23
	s_add_i32 s0, s0, s1
	s_ashr_i32 s0, s0, 9
	v_and_b32_e32 v1, 7, v19
	s_mul_i32 s4, s3, s0
	v_lshlrev_b32_e32 v8, 3, v1
	v_mov_b32_e32 v9, 0
	v_lshlrev_b32_e32 v0, 1, v1
	s_waitcnt lgkmcnt(0)
	v_mad_u64_u32 v[10:11], s[0:1], v1, 36, s[14:15]
	v_lshlrev_b32_e32 v1, 3, v20
	v_mul_lo_u32 v22, v18, s2
	v_lshl_add_u32 v23, s4, 4, v1
	s_mov_b64 s[0:1], 0
	s_movk_i32 s4, 0x62
	v_mov_b64_e32 v[12:13], s[12:13]
	v_lshlrev_b32_e32 v14, 1, v0
	v_mov_b32_e32 v15, v9
	s_mov_b32 s14, 0xc060c00
	v_mov_b32_e32 v24, 2
	v_mov_b32_e32 v21, v9
	s_getpc_b64 s[12:13]
	s_add_u32 s12, s12, _ZL11iq3xxs_grid@rel32@lo+4
	s_addc_u32 s13, s13, _ZL11iq3xxs_grid@rel32@hi+12
.LBB70_3:                               ; =>This Inner Loop Header: Depth=1
	v_add_u32_e32 v0, v22, v20
	v_mad_i64_i32 v[16:17], s[10:11], v23, 36, v[10:11]
	v_mad_i64_i32 v[26:27], s[16:17], v0, s4, v[12:13]
	global_load_dword v32, v[16:17], off offset:32
	global_load_dwordx4 v[4:7], v[16:17], off
	global_load_dwordx4 v[0:3], v[16:17], off offset:16
	v_lshl_add_u64 v[16:17], v[26:27], 0, v[8:9]
	v_lshl_add_u64 v[28:29], v[26:27], 0, v[14:15]
	global_load_dwordx2 v[30:31], v[16:17], off offset:2
	global_load_dword v33, v[28:29], off offset:66
	global_load_ushort v34, v[26:27], off
	s_getpc_b64 s[10:11]
	s_add_u32 s10, s10, _ZL8ksigns64@rel32@lo+4
	s_addc_u32 s11, s11, _ZL8ksigns64@rel32@hi+12
	v_mov_b32_e32 v25, 0
	v_add_u32_e32 v20, 8, v20
	v_cmp_le_u32_e32 vcc, s2, v20
	v_add_u32_e32 v23, 64, v23
	s_or_b64 s[0:1], vcc, s[0:1]
	s_waitcnt vmcnt(4)
	v_cvt_f32_f16_e32 v4, v4
	s_waitcnt vmcnt(2)
	v_lshlrev_b32_sdwa v16, v24, v30 dst_sel:DWORD dst_unused:UNUSED_PAD src0_sel:DWORD src1_sel:BYTE_0
	v_lshlrev_b32_sdwa v17, v24, v30 dst_sel:DWORD dst_unused:UNUSED_PAD src0_sel:DWORD src1_sel:BYTE_1
	s_waitcnt vmcnt(1)
	v_and_b32_e32 v26, 0x7f, v33
	global_load_dword v40, v16, s[12:13]
	global_load_dword v41, v17, s[12:13]
	v_lshlrev_b32_sdwa v27, v24, v30 dst_sel:DWORD dst_unused:UNUSED_PAD src0_sel:DWORD src1_sel:BYTE_2
	v_lshlrev_b32_sdwa v28, v24, v30 dst_sel:DWORD dst_unused:UNUSED_PAD src0_sel:DWORD src1_sel:BYTE_3
	v_lshrrev_b32_e32 v29, 4, v33
	v_lshlrev_b32_sdwa v30, v24, v31 dst_sel:DWORD dst_unused:UNUSED_PAD src0_sel:DWORD src1_sel:BYTE_0
	v_lshlrev_b32_sdwa v35, v24, v31 dst_sel:DWORD dst_unused:UNUSED_PAD src0_sel:DWORD src1_sel:BYTE_1
	v_lshrrev_b32_e32 v36, 11, v33
	v_lshlrev_b32_sdwa v37, v24, v31 dst_sel:DWORD dst_unused:UNUSED_PAD src0_sel:DWORD src1_sel:BYTE_2
	v_lshlrev_b32_sdwa v31, v24, v31 dst_sel:DWORD dst_unused:UNUSED_PAD src0_sel:DWORD src1_sel:BYTE_3
	v_lshrrev_b32_e32 v38, 18, v33
	v_lshlrev_b32_e32 v39, 3, v26
	v_and_b32_e32 v42, 0x3f8, v29
	global_load_dword v43, v27, s[12:13]
	global_load_dword v44, v28, s[12:13]
	v_and_b32_e32 v36, 0x3f8, v36
	global_load_dword v45, v30, s[12:13]
	global_load_dword v46, v35, s[12:13]
	;; [unrolled: 3-line block ×3, first 2 shown]
	global_load_dwordx2 v[16:17], v39, s[10:11]
	global_load_dwordx2 v[26:27], v42, s[10:11]
	global_load_dwordx2 v[28:29], v36, s[10:11]
	s_nop 0
	global_load_dwordx2 v[30:31], v35, s[10:11]
	s_waitcnt vmcnt(12)
	v_cvt_f32_f16_e32 v34, v34
	v_lshrrev_b32_e32 v33, 28, v33
	v_cvt_f32_ubyte0_e32 v33, v33
	v_add_f32_e32 v33, 0.5, v33
	s_waitcnt vmcnt(3)
	v_xor_b32_e32 v35, v16, v40
	v_and_b32_e32 v36, 0xff000000, v16
	v_and_b32_e32 v37, 0xff0000, v16
	;; [unrolled: 1-line block ×3, first 2 shown]
	v_xor_b32_e32 v40, v17, v41
	v_and_b32_e32 v41, 0xff000000, v17
	v_and_b32_e32 v42, 0xff0000, v17
	;; [unrolled: 1-line block ×3, first 2 shown]
	v_sub_u32_e32 v36, v35, v36
	v_sub_u32_e32 v37, v35, v37
	v_sub_u32_e32 v39, v35, v39
	v_sub_u32_e32 v16, v35, v16
	s_waitcnt vmcnt(2)
	v_xor_b32_e32 v43, v26, v43
	v_and_b32_e32 v49, 0xff000000, v26
	v_and_b32_e32 v50, 0xff0000, v26
	;; [unrolled: 1-line block ×3, first 2 shown]
	v_sub_u32_e32 v17, v40, v17
	v_sub_u32_e32 v41, v40, v41
	;; [unrolled: 1-line block ×4, first 2 shown]
	v_and_b32_e32 v36, 0xff000000, v36
	v_and_b32_e32 v39, 0xff00, v39
	v_perm_b32 v16, v37, v16, s14
	v_xor_b32_e32 v44, v27, v44
	v_and_b32_e32 v52, 0xff000000, v27
	v_and_b32_e32 v53, 0xff0000, v27
	;; [unrolled: 1-line block ×3, first 2 shown]
	s_waitcnt vmcnt(1)
	v_xor_b32_e32 v45, v28, v45
	v_and_b32_e32 v55, 0xff000000, v28
	v_and_b32_e32 v56, 0xff0000, v28
	;; [unrolled: 1-line block ×3, first 2 shown]
	v_xor_b32_e32 v46, v29, v46
	v_and_b32_e32 v58, 0xff000000, v29
	v_and_b32_e32 v59, 0xff0000, v29
	;; [unrolled: 1-line block ×3, first 2 shown]
	v_sub_u32_e32 v49, v43, v49
	v_sub_u32_e32 v50, v43, v50
	;; [unrolled: 1-line block ×4, first 2 shown]
	v_and_b32_e32 v37, 0xff000000, v41
	v_and_b32_e32 v40, 0xff00, v40
	v_perm_b32 v17, v42, v17, s14
	v_or3_b32 v16, v16, v36, v39
	s_waitcnt vmcnt(0)
	v_xor_b32_e32 v38, v30, v38
	v_and_b32_e32 v35, 0xff000000, v30
	v_and_b32_e32 v48, 0xff0000, v30
	v_sub_u32_e32 v27, v44, v27
	v_and_b32_e32 v43, 0xff00, v30
	v_xor_b32_e32 v47, v31, v47
	v_sub_u32_e32 v52, v44, v52
	v_sub_u32_e32 v53, v44, v53
	;; [unrolled: 1-line block ×3, first 2 shown]
	v_and_b32_e32 v54, 0xff000000, v31
	v_sub_u32_e32 v55, v45, v55
	v_sub_u32_e32 v56, v45, v56
	;; [unrolled: 1-line block ×5, first 2 shown]
	v_and_b32_e32 v45, 0xff0000, v31
	v_sub_u32_e32 v58, v46, v58
	v_sub_u32_e32 v59, v46, v59
	;; [unrolled: 1-line block ×3, first 2 shown]
	v_and_b32_e32 v60, 0xff00, v31
	v_and_b32_e32 v41, 0xff000000, v49
	;; [unrolled: 1-line block ×3, first 2 shown]
	v_perm_b32 v26, v50, v26, s14
	v_or3_b32 v17, v17, v37, v40
	v_dot4c_i32_i8_e32 v25, v16, v5
	v_sub_u32_e32 v35, v38, v35
	v_sub_u32_e32 v48, v38, v48
	;; [unrolled: 1-line block ×8, first 2 shown]
	v_and_b32_e32 v47, 0xff000000, v52
	v_and_b32_e32 v44, 0xff00, v44
	v_perm_b32 v27, v53, v27, s14
	v_or3_b32 v26, v26, v41, v42
	v_dot4c_i32_i8_e32 v25, v17, v6
	v_and_b32_e32 v49, 0xff000000, v55
	v_and_b32_e32 v50, 0xff00, v57
	v_perm_b32 v28, v56, v28, s14
	v_or3_b32 v27, v27, v47, v44
	v_dot4c_i32_i8_e32 v25, v26, v7
	;; [unrolled: 5-line block ×5, first 2 shown]
	v_or3_b32 v31, v31, v38, v48
	v_dot4c_i32_i8_e32 v25, v30, v3
	v_dot4c_i32_i8_e32 v25, v31, v32
	v_mul_f32_e32 v1, v33, v34
	v_mul_f32_e32 v1, v1, v4
	v_mul_f32_e32 v1, 0.5, v1
	v_cvt_f32_i32_e32 v0, v25
	v_fmac_f32_e32 v21, v1, v0
	s_andn2_b64 exec, exec, s[0:1]
	s_cbranch_execnz .LBB70_3
; %bb.4:
	s_or_b64 exec, exec, s[0:1]
.LBB70_5:
	s_or_b64 exec, exec, s[8:9]
	v_mbcnt_lo_u32_b32 v0, -1, 0
	v_mbcnt_hi_u32_b32 v1, -1, v0
	v_and_b32_e32 v0, 64, v1
	v_add_u32_e32 v2, 64, v0
	v_xor_b32_e32 v0, 32, v1
	v_cmp_lt_i32_e32 vcc, v0, v2
	v_xor_b32_e32 v3, 16, v1
	v_xor_b32_e32 v4, 8, v1
	v_cndmask_b32_e32 v0, v1, v0, vcc
	v_lshlrev_b32_e32 v0, 2, v0
	ds_bpermute_b32 v0, v0, v21
	v_cmp_lt_i32_e32 vcc, v3, v2
	s_waitcnt lgkmcnt(0)
	v_add_f32_e32 v0, v21, v0
	v_cndmask_b32_e32 v3, v1, v3, vcc
	v_lshlrev_b32_e32 v3, 2, v3
	ds_bpermute_b32 v3, v3, v0
	v_cmp_lt_i32_e32 vcc, v4, v2
	s_waitcnt lgkmcnt(0)
	v_add_f32_e32 v0, v0, v3
	v_cndmask_b32_e32 v3, v1, v4, vcc
	v_lshlrev_b32_e32 v3, 2, v3
	ds_bpermute_b32 v3, v3, v0
	v_xor_b32_e32 v4, 4, v1
	v_cmp_lt_i32_e32 vcc, v4, v2
	s_waitcnt lgkmcnt(0)
	v_add_f32_e32 v0, v0, v3
	v_cndmask_b32_e32 v3, v1, v4, vcc
	v_lshlrev_b32_e32 v3, 2, v3
	ds_bpermute_b32 v3, v3, v0
	v_xor_b32_e32 v4, 2, v1
	;; [unrolled: 7-line block ×3, first 2 shown]
	v_cmp_lt_i32_e32 vcc, v4, v2
	s_waitcnt lgkmcnt(0)
	v_add_f32_e32 v0, v0, v3
	v_cndmask_b32_e32 v1, v1, v4, vcc
	v_lshlrev_b32_e32 v1, 2, v1
	ds_bpermute_b32 v1, v1, v0
	v_cmp_eq_u32_e32 vcc, 0, v19
	s_and_b64 exec, exec, vcc
	s_cbranch_execz .LBB70_7
; %bb.6:
	s_mul_i32 s0, s5, s3
	s_waitcnt lgkmcnt(0)
	v_add_f32_e32 v2, v0, v1
	v_add_u32_e32 v0, s0, v18
	v_mov_b32_e32 v1, 0
	v_lshl_add_u64 v[0:1], v[0:1], 2, s[6:7]
	global_store_dword v[0:1], v2, off
.LBB70_7:
	s_endpgm
	.section	.rodata,"a",@progbits
	.p2align	6, 0x0
	.amdhsa_kernel _ZL13mul_mat_vec_qIfLi256ELi8E13block_iq3_xxsLi1EXadL_ZL20vec_dot_iq3_xxs_q8_1PKvPK10block_q8_1RKiEEEvS2_S2_PT_iii
		.amdhsa_group_segment_fixed_size 0
		.amdhsa_private_segment_fixed_size 0
		.amdhsa_kernarg_size 296
		.amdhsa_user_sgpr_count 2
		.amdhsa_user_sgpr_dispatch_ptr 0
		.amdhsa_user_sgpr_queue_ptr 0
		.amdhsa_user_sgpr_kernarg_segment_ptr 1
		.amdhsa_user_sgpr_dispatch_id 0
		.amdhsa_user_sgpr_kernarg_preload_length 0
		.amdhsa_user_sgpr_kernarg_preload_offset 0
		.amdhsa_user_sgpr_private_segment_size 0
		.amdhsa_uses_dynamic_stack 0
		.amdhsa_enable_private_segment 0
		.amdhsa_system_sgpr_workgroup_id_x 1
		.amdhsa_system_sgpr_workgroup_id_y 1
		.amdhsa_system_sgpr_workgroup_id_z 0
		.amdhsa_system_sgpr_workgroup_info 0
		.amdhsa_system_vgpr_workitem_id 1
		.amdhsa_next_free_vgpr 61
		.amdhsa_next_free_sgpr 18
		.amdhsa_accum_offset 64
		.amdhsa_reserve_vcc 1
		.amdhsa_float_round_mode_32 0
		.amdhsa_float_round_mode_16_64 0
		.amdhsa_float_denorm_mode_32 3
		.amdhsa_float_denorm_mode_16_64 3
		.amdhsa_dx10_clamp 1
		.amdhsa_ieee_mode 1
		.amdhsa_fp16_overflow 0
		.amdhsa_tg_split 0
		.amdhsa_exception_fp_ieee_invalid_op 0
		.amdhsa_exception_fp_denorm_src 0
		.amdhsa_exception_fp_ieee_div_zero 0
		.amdhsa_exception_fp_ieee_overflow 0
		.amdhsa_exception_fp_ieee_underflow 0
		.amdhsa_exception_fp_ieee_inexact 0
		.amdhsa_exception_int_div_zero 0
	.end_amdhsa_kernel
	.section	.text._ZL13mul_mat_vec_qIfLi256ELi8E13block_iq3_xxsLi1EXadL_ZL20vec_dot_iq3_xxs_q8_1PKvPK10block_q8_1RKiEEEvS2_S2_PT_iii,"axG",@progbits,_ZL13mul_mat_vec_qIfLi256ELi8E13block_iq3_xxsLi1EXadL_ZL20vec_dot_iq3_xxs_q8_1PKvPK10block_q8_1RKiEEEvS2_S2_PT_iii,comdat
.Lfunc_end70:
	.size	_ZL13mul_mat_vec_qIfLi256ELi8E13block_iq3_xxsLi1EXadL_ZL20vec_dot_iq3_xxs_q8_1PKvPK10block_q8_1RKiEEEvS2_S2_PT_iii, .Lfunc_end70-_ZL13mul_mat_vec_qIfLi256ELi8E13block_iq3_xxsLi1EXadL_ZL20vec_dot_iq3_xxs_q8_1PKvPK10block_q8_1RKiEEEvS2_S2_PT_iii
                                        ; -- End function
	.set _ZL13mul_mat_vec_qIfLi256ELi8E13block_iq3_xxsLi1EXadL_ZL20vec_dot_iq3_xxs_q8_1PKvPK10block_q8_1RKiEEEvS2_S2_PT_iii.num_vgpr, 61
	.set _ZL13mul_mat_vec_qIfLi256ELi8E13block_iq3_xxsLi1EXadL_ZL20vec_dot_iq3_xxs_q8_1PKvPK10block_q8_1RKiEEEvS2_S2_PT_iii.num_agpr, 0
	.set _ZL13mul_mat_vec_qIfLi256ELi8E13block_iq3_xxsLi1EXadL_ZL20vec_dot_iq3_xxs_q8_1PKvPK10block_q8_1RKiEEEvS2_S2_PT_iii.numbered_sgpr, 18
	.set _ZL13mul_mat_vec_qIfLi256ELi8E13block_iq3_xxsLi1EXadL_ZL20vec_dot_iq3_xxs_q8_1PKvPK10block_q8_1RKiEEEvS2_S2_PT_iii.num_named_barrier, 0
	.set _ZL13mul_mat_vec_qIfLi256ELi8E13block_iq3_xxsLi1EXadL_ZL20vec_dot_iq3_xxs_q8_1PKvPK10block_q8_1RKiEEEvS2_S2_PT_iii.private_seg_size, 0
	.set _ZL13mul_mat_vec_qIfLi256ELi8E13block_iq3_xxsLi1EXadL_ZL20vec_dot_iq3_xxs_q8_1PKvPK10block_q8_1RKiEEEvS2_S2_PT_iii.uses_vcc, 1
	.set _ZL13mul_mat_vec_qIfLi256ELi8E13block_iq3_xxsLi1EXadL_ZL20vec_dot_iq3_xxs_q8_1PKvPK10block_q8_1RKiEEEvS2_S2_PT_iii.uses_flat_scratch, 0
	.set _ZL13mul_mat_vec_qIfLi256ELi8E13block_iq3_xxsLi1EXadL_ZL20vec_dot_iq3_xxs_q8_1PKvPK10block_q8_1RKiEEEvS2_S2_PT_iii.has_dyn_sized_stack, 0
	.set _ZL13mul_mat_vec_qIfLi256ELi8E13block_iq3_xxsLi1EXadL_ZL20vec_dot_iq3_xxs_q8_1PKvPK10block_q8_1RKiEEEvS2_S2_PT_iii.has_recursion, 0
	.set _ZL13mul_mat_vec_qIfLi256ELi8E13block_iq3_xxsLi1EXadL_ZL20vec_dot_iq3_xxs_q8_1PKvPK10block_q8_1RKiEEEvS2_S2_PT_iii.has_indirect_call, 0
	.section	.AMDGPU.csdata,"",@progbits
; Kernel info:
; codeLenInByte = 1584
; TotalNumSgprs: 24
; NumVgprs: 61
; NumAgprs: 0
; TotalNumVgprs: 61
; ScratchSize: 0
; MemoryBound: 0
; FloatMode: 240
; IeeeMode: 1
; LDSByteSize: 0 bytes/workgroup (compile time only)
; SGPRBlocks: 2
; VGPRBlocks: 7
; NumSGPRsForWavesPerEU: 24
; NumVGPRsForWavesPerEU: 61
; AccumOffset: 64
; Occupancy: 8
; WaveLimiterHint : 0
; COMPUTE_PGM_RSRC2:SCRATCH_EN: 0
; COMPUTE_PGM_RSRC2:USER_SGPR: 2
; COMPUTE_PGM_RSRC2:TRAP_HANDLER: 0
; COMPUTE_PGM_RSRC2:TGID_X_EN: 1
; COMPUTE_PGM_RSRC2:TGID_Y_EN: 1
; COMPUTE_PGM_RSRC2:TGID_Z_EN: 0
; COMPUTE_PGM_RSRC2:TIDIG_COMP_CNT: 1
; COMPUTE_PGM_RSRC3_GFX90A:ACCUM_OFFSET: 15
; COMPUTE_PGM_RSRC3_GFX90A:TG_SPLIT: 0
	.section	.text._ZL13mul_mat_vec_qIfLi256ELi8E11block_iq1_sLi1EXadL_ZL18vec_dot_iq1_s_q8_1PKvPK10block_q8_1RKiEEEvS2_S2_PT_iii,"axG",@progbits,_ZL13mul_mat_vec_qIfLi256ELi8E11block_iq1_sLi1EXadL_ZL18vec_dot_iq1_s_q8_1PKvPK10block_q8_1RKiEEEvS2_S2_PT_iii,comdat
	.globl	_ZL13mul_mat_vec_qIfLi256ELi8E11block_iq1_sLi1EXadL_ZL18vec_dot_iq1_s_q8_1PKvPK10block_q8_1RKiEEEvS2_S2_PT_iii ; -- Begin function _ZL13mul_mat_vec_qIfLi256ELi8E11block_iq1_sLi1EXadL_ZL18vec_dot_iq1_s_q8_1PKvPK10block_q8_1RKiEEEvS2_S2_PT_iii
	.p2align	8
	.type	_ZL13mul_mat_vec_qIfLi256ELi8E11block_iq1_sLi1EXadL_ZL18vec_dot_iq1_s_q8_1PKvPK10block_q8_1RKiEEEvS2_S2_PT_iii,@function
_ZL13mul_mat_vec_qIfLi256ELi8E11block_iq1_sLi1EXadL_ZL18vec_dot_iq1_s_q8_1PKvPK10block_q8_1RKiEEEvS2_S2_PT_iii: ; @_ZL13mul_mat_vec_qIfLi256ELi8E11block_iq1_sLi1EXadL_ZL18vec_dot_iq1_s_q8_1PKvPK10block_q8_1RKiEEEvS2_S2_PT_iii
; %bb.0:
	s_load_dword s8, s[0:1], 0x34
	s_load_dwordx4 s[4:7], s[0:1], 0x18
	v_bfe_u32 v1, v0, 10, 10
	s_waitcnt lgkmcnt(0)
	s_lshr_b32 s7, s8, 16
	s_mul_i32 s2, s2, s7
	v_add_u32_e32 v6, s2, v1
	s_cmp_lt_u32 s3, s6
	v_cmp_gt_u32_e32 vcc, s5, v6
	s_cselect_b64 s[6:7], -1, 0
	s_and_b64 s[6:7], s[6:7], vcc
	s_and_saveexec_b64 s[8:9], s[6:7]
	s_cbranch_execz .LBB71_7
; %bb.1:
	s_load_dwordx2 s[6:7], s[0:1], 0x10
	s_ashr_i32 s2, s4, 31
	s_lshr_b32 s2, s2, 24
	s_add_i32 s2, s4, s2
	s_ashr_i32 s2, s2, 8
	v_bfe_u32 v8, v0, 3, 7
	v_and_b32_e32 v7, 0x3ff, v0
	v_cmp_gt_u32_e32 vcc, s2, v8
	v_mov_b32_e32 v9, 0
	s_and_saveexec_b64 s[12:13], vcc
	s_cbranch_execz .LBB71_5
; %bb.2:
	s_load_dwordx4 s[8:11], s[0:1], 0x0
	s_add_i32 s0, s4, 0x1ff
	s_ashr_i32 s1, s0, 31
	s_lshr_b32 s1, s1, 23
	s_add_i32 s0, s0, s1
	s_ashr_i32 s0, s0, 9
	v_and_b32_e32 v4, 7, v7
	s_mul_i32 s4, s3, s0
	v_lshlrev_b32_e32 v0, 1, v4
	v_mov_b32_e32 v1, 0
	s_waitcnt lgkmcnt(0)
	v_mad_u64_u32 v[2:3], s[0:1], v4, 36, s[10:11]
	v_lshlrev_b32_e32 v5, 3, v8
	v_mul_lo_u32 v10, v6, s2
	v_lshl_add_u32 v11, s4, 4, v5
	s_mov_b64 s[0:1], 0
	v_lshlrev_b32_e32 v0, 1, v0
	v_lshlrev_b32_e32 v4, 1, v4
	v_mov_b32_e32 v5, v1
	s_movk_i32 s4, 0x700
	v_mov_b32_e32 v12, 0xbf600000
	v_mov_b32_e32 v9, v1
.LBB71_3:                               ; =>This Inner Loop Header: Depth=1
	v_add_u32_e32 v13, v10, v8
	v_mad_i64_i32 v[22:23], s[10:11], v13, 50, s[8:9]
	v_lshl_add_u64 v[14:15], v[22:23], 0, v[0:1]
	v_lshl_add_u64 v[16:17], v[22:23], 0, v[4:5]
	global_load_dword v13, v[14:15], off offset:2
	global_load_ushort v26, v[16:17], off offset:34
	v_mad_i64_i32 v[24:25], s[10:11], v11, 36, v[2:3]
	global_load_dwordx4 v[14:17], v[24:25], off
	global_load_dwordx4 v[18:21], v[24:25], off offset:16
	global_load_ushort v27, v[22:23], off
	s_getpc_b64 s[10:11]
	s_add_u32 s10, s10, _ZL13iq1s_grid_gpu@rel32@lo+4
	s_addc_u32 s11, s11, _ZL13iq1s_grid_gpu@rel32@hi+12
	v_add_u32_e32 v8, 8, v8
	v_cmp_le_u32_e32 vcc, s2, v8
	v_add_u32_e32 v11, 64, v11
	s_or_b64 s[0:1], vcc, s[0:1]
	s_waitcnt vmcnt(4)
	v_and_b32_e32 v23, 0xff, v13
	s_waitcnt vmcnt(3)
	v_lshlrev_b32_e32 v28, 8, v26
	v_lshrrev_b32_e32 v22, 24, v13
	v_bfe_u32 v29, v13, 8, 8
	v_lshlrev_b32_e32 v30, 5, v26
	v_bfe_u32 v13, v13, 16, 8
	v_lshlrev_b32_e32 v31, 2, v26
	v_lshrrev_b32_e32 v32, 1, v26
	v_and_or_b32 v23, v28, s4, v23
	v_and_or_b32 v28, v30, s4, v29
	;; [unrolled: 1-line block ×4, first 2 shown]
	v_lshlrev_b32_e32 v23, 3, v23
	v_lshlrev_b32_e32 v28, 3, v28
	;; [unrolled: 1-line block ×4, first 2 shown]
	global_load_dword v29, v23, s[10:11]
	global_load_dword v30, v28, s[10:11]
	;; [unrolled: 1-line block ×4, first 2 shown]
	global_load_dword v33, v[24:25], off offset:32
	s_waitcnt vmcnt(7)
	v_cvt_f32_f16_e32 v22, v14
	v_cvt_f32_f16_sdwa v23, v14 dst_sel:DWORD dst_unused:UNUSED_PAD src0_sel:WORD_1
	v_lshrrev_b32_e32 v14, 11, v26
	v_mov_b32_e32 v13, 0
	s_waitcnt vmcnt(5)
	v_cvt_f32_f16_e32 v24, v27
	v_and_b32_e32 v25, 0x8000, v26
	v_and_or_b32 v26, v14, 14, 1
	v_cvt_f32_u32_e32 v25, v25
	s_waitcnt vmcnt(4)
	v_and_b32_e32 v14, 0xf0f0f0f, v29
	v_lshrrev_b32_e32 v27, 4, v29
	v_and_b32_e32 v27, 0xf0f0f0f, v27
	v_dot4c_i32_i8_e32 v13, v14, v15
	s_waitcnt vmcnt(3)
	v_and_b32_e32 v28, 0xf0f0f0f, v30
	v_lshrrev_b32_e32 v29, 4, v30
	v_dot4c_i32_i8_e32 v13, v27, v16
	v_and_b32_e32 v14, 0xf0f0f0f, v29
	v_dot4c_i32_i8_e32 v13, v28, v17
	s_waitcnt vmcnt(2)
	v_and_b32_e32 v30, 0xf0f0f0f, v31
	v_lshrrev_b32_e32 v31, 4, v31
	v_dot4c_i32_i8_e32 v13, v14, v18
	;; [unrolled: 6-line block ×3, first 2 shown]
	v_and_b32_e32 v29, 0xf0f0f0f, v32
	v_dot4c_i32_i8_e32 v13, v34, v21
	s_waitcnt vmcnt(0)
	v_dot4c_i32_i8_e32 v13, v29, v33
	v_fmamk_f32 v15, v25, 0xb7000000, v12
	s_nop 1
	v_cvt_f32_i32_e32 v14, v13
	v_cvt_f32_ubyte0_e32 v13, v26
	v_mul_f32_e32 v13, v13, v24
	v_pk_mul_f32 v[14:15], v[14:15], v[22:23]
	s_nop 0
	v_add_f32_e32 v14, v14, v15
	v_fmac_f32_e32 v9, v13, v14
	s_andn2_b64 exec, exec, s[0:1]
	s_cbranch_execnz .LBB71_3
; %bb.4:
	s_or_b64 exec, exec, s[0:1]
.LBB71_5:
	s_or_b64 exec, exec, s[12:13]
	v_mbcnt_lo_u32_b32 v0, -1, 0
	v_mbcnt_hi_u32_b32 v1, -1, v0
	v_and_b32_e32 v0, 64, v1
	v_add_u32_e32 v2, 64, v0
	v_xor_b32_e32 v0, 32, v1
	v_cmp_lt_i32_e32 vcc, v0, v2
	v_xor_b32_e32 v3, 16, v1
	v_xor_b32_e32 v4, 8, v1
	v_cndmask_b32_e32 v0, v1, v0, vcc
	v_lshlrev_b32_e32 v0, 2, v0
	ds_bpermute_b32 v0, v0, v9
	v_cmp_lt_i32_e32 vcc, v3, v2
	s_waitcnt lgkmcnt(0)
	v_add_f32_e32 v0, v9, v0
	v_cndmask_b32_e32 v3, v1, v3, vcc
	v_lshlrev_b32_e32 v3, 2, v3
	ds_bpermute_b32 v3, v3, v0
	v_cmp_lt_i32_e32 vcc, v4, v2
	s_waitcnt lgkmcnt(0)
	v_add_f32_e32 v0, v0, v3
	v_cndmask_b32_e32 v3, v1, v4, vcc
	v_lshlrev_b32_e32 v3, 2, v3
	ds_bpermute_b32 v3, v3, v0
	v_xor_b32_e32 v4, 4, v1
	v_cmp_lt_i32_e32 vcc, v4, v2
	s_waitcnt lgkmcnt(0)
	v_add_f32_e32 v0, v0, v3
	v_cndmask_b32_e32 v3, v1, v4, vcc
	v_lshlrev_b32_e32 v3, 2, v3
	ds_bpermute_b32 v3, v3, v0
	v_xor_b32_e32 v4, 2, v1
	;; [unrolled: 7-line block ×3, first 2 shown]
	v_cmp_lt_i32_e32 vcc, v4, v2
	s_waitcnt lgkmcnt(0)
	v_add_f32_e32 v0, v0, v3
	v_cndmask_b32_e32 v1, v1, v4, vcc
	v_lshlrev_b32_e32 v1, 2, v1
	ds_bpermute_b32 v1, v1, v0
	v_cmp_eq_u32_e32 vcc, 0, v7
	s_and_b64 exec, exec, vcc
	s_cbranch_execz .LBB71_7
; %bb.6:
	s_mul_i32 s0, s5, s3
	s_waitcnt lgkmcnt(0)
	v_add_f32_e32 v2, v0, v1
	v_add_u32_e32 v0, s0, v6
	v_mov_b32_e32 v1, 0
	v_lshl_add_u64 v[0:1], v[0:1], 2, s[6:7]
	global_store_dword v[0:1], v2, off
.LBB71_7:
	s_endpgm
	.section	.rodata,"a",@progbits
	.p2align	6, 0x0
	.amdhsa_kernel _ZL13mul_mat_vec_qIfLi256ELi8E11block_iq1_sLi1EXadL_ZL18vec_dot_iq1_s_q8_1PKvPK10block_q8_1RKiEEEvS2_S2_PT_iii
		.amdhsa_group_segment_fixed_size 0
		.amdhsa_private_segment_fixed_size 0
		.amdhsa_kernarg_size 296
		.amdhsa_user_sgpr_count 2
		.amdhsa_user_sgpr_dispatch_ptr 0
		.amdhsa_user_sgpr_queue_ptr 0
		.amdhsa_user_sgpr_kernarg_segment_ptr 1
		.amdhsa_user_sgpr_dispatch_id 0
		.amdhsa_user_sgpr_kernarg_preload_length 0
		.amdhsa_user_sgpr_kernarg_preload_offset 0
		.amdhsa_user_sgpr_private_segment_size 0
		.amdhsa_uses_dynamic_stack 0
		.amdhsa_enable_private_segment 0
		.amdhsa_system_sgpr_workgroup_id_x 1
		.amdhsa_system_sgpr_workgroup_id_y 1
		.amdhsa_system_sgpr_workgroup_id_z 0
		.amdhsa_system_sgpr_workgroup_info 0
		.amdhsa_system_vgpr_workitem_id 1
		.amdhsa_next_free_vgpr 35
		.amdhsa_next_free_sgpr 14
		.amdhsa_accum_offset 36
		.amdhsa_reserve_vcc 1
		.amdhsa_float_round_mode_32 0
		.amdhsa_float_round_mode_16_64 0
		.amdhsa_float_denorm_mode_32 3
		.amdhsa_float_denorm_mode_16_64 3
		.amdhsa_dx10_clamp 1
		.amdhsa_ieee_mode 1
		.amdhsa_fp16_overflow 0
		.amdhsa_tg_split 0
		.amdhsa_exception_fp_ieee_invalid_op 0
		.amdhsa_exception_fp_denorm_src 0
		.amdhsa_exception_fp_ieee_div_zero 0
		.amdhsa_exception_fp_ieee_overflow 0
		.amdhsa_exception_fp_ieee_underflow 0
		.amdhsa_exception_fp_ieee_inexact 0
		.amdhsa_exception_int_div_zero 0
	.end_amdhsa_kernel
	.section	.text._ZL13mul_mat_vec_qIfLi256ELi8E11block_iq1_sLi1EXadL_ZL18vec_dot_iq1_s_q8_1PKvPK10block_q8_1RKiEEEvS2_S2_PT_iii,"axG",@progbits,_ZL13mul_mat_vec_qIfLi256ELi8E11block_iq1_sLi1EXadL_ZL18vec_dot_iq1_s_q8_1PKvPK10block_q8_1RKiEEEvS2_S2_PT_iii,comdat
.Lfunc_end71:
	.size	_ZL13mul_mat_vec_qIfLi256ELi8E11block_iq1_sLi1EXadL_ZL18vec_dot_iq1_s_q8_1PKvPK10block_q8_1RKiEEEvS2_S2_PT_iii, .Lfunc_end71-_ZL13mul_mat_vec_qIfLi256ELi8E11block_iq1_sLi1EXadL_ZL18vec_dot_iq1_s_q8_1PKvPK10block_q8_1RKiEEEvS2_S2_PT_iii
                                        ; -- End function
	.set _ZL13mul_mat_vec_qIfLi256ELi8E11block_iq1_sLi1EXadL_ZL18vec_dot_iq1_s_q8_1PKvPK10block_q8_1RKiEEEvS2_S2_PT_iii.num_vgpr, 35
	.set _ZL13mul_mat_vec_qIfLi256ELi8E11block_iq1_sLi1EXadL_ZL18vec_dot_iq1_s_q8_1PKvPK10block_q8_1RKiEEEvS2_S2_PT_iii.num_agpr, 0
	.set _ZL13mul_mat_vec_qIfLi256ELi8E11block_iq1_sLi1EXadL_ZL18vec_dot_iq1_s_q8_1PKvPK10block_q8_1RKiEEEvS2_S2_PT_iii.numbered_sgpr, 14
	.set _ZL13mul_mat_vec_qIfLi256ELi8E11block_iq1_sLi1EXadL_ZL18vec_dot_iq1_s_q8_1PKvPK10block_q8_1RKiEEEvS2_S2_PT_iii.num_named_barrier, 0
	.set _ZL13mul_mat_vec_qIfLi256ELi8E11block_iq1_sLi1EXadL_ZL18vec_dot_iq1_s_q8_1PKvPK10block_q8_1RKiEEEvS2_S2_PT_iii.private_seg_size, 0
	.set _ZL13mul_mat_vec_qIfLi256ELi8E11block_iq1_sLi1EXadL_ZL18vec_dot_iq1_s_q8_1PKvPK10block_q8_1RKiEEEvS2_S2_PT_iii.uses_vcc, 1
	.set _ZL13mul_mat_vec_qIfLi256ELi8E11block_iq1_sLi1EXadL_ZL18vec_dot_iq1_s_q8_1PKvPK10block_q8_1RKiEEEvS2_S2_PT_iii.uses_flat_scratch, 0
	.set _ZL13mul_mat_vec_qIfLi256ELi8E11block_iq1_sLi1EXadL_ZL18vec_dot_iq1_s_q8_1PKvPK10block_q8_1RKiEEEvS2_S2_PT_iii.has_dyn_sized_stack, 0
	.set _ZL13mul_mat_vec_qIfLi256ELi8E11block_iq1_sLi1EXadL_ZL18vec_dot_iq1_s_q8_1PKvPK10block_q8_1RKiEEEvS2_S2_PT_iii.has_recursion, 0
	.set _ZL13mul_mat_vec_qIfLi256ELi8E11block_iq1_sLi1EXadL_ZL18vec_dot_iq1_s_q8_1PKvPK10block_q8_1RKiEEEvS2_S2_PT_iii.has_indirect_call, 0
	.section	.AMDGPU.csdata,"",@progbits
; Kernel info:
; codeLenInByte = 988
; TotalNumSgprs: 20
; NumVgprs: 35
; NumAgprs: 0
; TotalNumVgprs: 35
; ScratchSize: 0
; MemoryBound: 0
; FloatMode: 240
; IeeeMode: 1
; LDSByteSize: 0 bytes/workgroup (compile time only)
; SGPRBlocks: 2
; VGPRBlocks: 4
; NumSGPRsForWavesPerEU: 20
; NumVGPRsForWavesPerEU: 35
; AccumOffset: 36
; Occupancy: 8
; WaveLimiterHint : 0
; COMPUTE_PGM_RSRC2:SCRATCH_EN: 0
; COMPUTE_PGM_RSRC2:USER_SGPR: 2
; COMPUTE_PGM_RSRC2:TRAP_HANDLER: 0
; COMPUTE_PGM_RSRC2:TGID_X_EN: 1
; COMPUTE_PGM_RSRC2:TGID_Y_EN: 1
; COMPUTE_PGM_RSRC2:TGID_Z_EN: 0
; COMPUTE_PGM_RSRC2:TIDIG_COMP_CNT: 1
; COMPUTE_PGM_RSRC3_GFX90A:ACCUM_OFFSET: 8
; COMPUTE_PGM_RSRC3_GFX90A:TG_SPLIT: 0
	.section	.text._ZL13mul_mat_vec_qIfLi32ELi4E12block_iq4_nlLi2EXadL_ZL19vec_dot_iq4_nl_q8_1PKvPK10block_q8_1RKiEEEvS2_S2_PT_iii,"axG",@progbits,_ZL13mul_mat_vec_qIfLi32ELi4E12block_iq4_nlLi2EXadL_ZL19vec_dot_iq4_nl_q8_1PKvPK10block_q8_1RKiEEEvS2_S2_PT_iii,comdat
	.globl	_ZL13mul_mat_vec_qIfLi32ELi4E12block_iq4_nlLi2EXadL_ZL19vec_dot_iq4_nl_q8_1PKvPK10block_q8_1RKiEEEvS2_S2_PT_iii ; -- Begin function _ZL13mul_mat_vec_qIfLi32ELi4E12block_iq4_nlLi2EXadL_ZL19vec_dot_iq4_nl_q8_1PKvPK10block_q8_1RKiEEEvS2_S2_PT_iii
	.p2align	8
	.type	_ZL13mul_mat_vec_qIfLi32ELi4E12block_iq4_nlLi2EXadL_ZL19vec_dot_iq4_nl_q8_1PKvPK10block_q8_1RKiEEEvS2_S2_PT_iii,@function
_ZL13mul_mat_vec_qIfLi32ELi4E12block_iq4_nlLi2EXadL_ZL19vec_dot_iq4_nl_q8_1PKvPK10block_q8_1RKiEEEvS2_S2_PT_iii: ; @_ZL13mul_mat_vec_qIfLi32ELi4E12block_iq4_nlLi2EXadL_ZL19vec_dot_iq4_nl_q8_1PKvPK10block_q8_1RKiEEEvS2_S2_PT_iii
; %bb.0:
	s_load_dword s8, s[0:1], 0x34
	s_load_dwordx4 s[4:7], s[0:1], 0x18
	v_bfe_u32 v1, v0, 10, 10
	s_waitcnt lgkmcnt(0)
	s_lshr_b32 s7, s8, 16
	s_mul_i32 s2, s2, s7
	v_add_u32_e32 v4, s2, v1
	s_cmp_lt_u32 s3, s6
	v_cmp_gt_u32_e32 vcc, s5, v4
	s_cselect_b64 s[6:7], -1, 0
	s_and_b64 s[6:7], s[6:7], vcc
	s_and_saveexec_b64 s[8:9], s[6:7]
	s_cbranch_execz .LBB72_7
; %bb.1:
	s_load_dwordx2 s[6:7], s[0:1], 0x10
	s_ashr_i32 s2, s4, 31
	s_lshr_b32 s2, s2, 27
	s_add_i32 s2, s4, s2
	s_ashr_i32 s2, s2, 5
	v_bfe_u32 v6, v0, 1, 9
	v_and_b32_e32 v5, 0x3ff, v0
	v_cmp_gt_u32_e32 vcc, s2, v6
	v_mov_b32_e32 v7, 0
	s_and_saveexec_b64 s[12:13], vcc
	s_cbranch_execz .LBB72_5
; %bb.2:
	s_load_dwordx4 s[8:11], s[0:1], 0x0
	s_add_i32 s0, s4, 0x1ff
	s_ashr_i32 s1, s0, 31
	s_lshr_b32 s1, s1, 23
	s_add_i32 s0, s0, s1
	v_lshlrev_b32_e32 v0, 1, v5
	s_ashr_i32 s0, s0, 9
	v_and_b32_e32 v2, 2, v0
	s_mul_i32 s0, s3, s0
	v_lshlrev_b32_e32 v0, 1, v2
	v_mov_b32_e32 v1, 0
	v_mul_lo_u32 v8, v4, s2
	s_lshl_b32 s4, s0, 4
	s_mov_b64 s[0:1], 0
	v_lshlrev_b32_e32 v0, 1, v0
	v_lshlrev_b32_e32 v2, 2, v2
	v_mov_b32_e32 v3, v1
	v_mov_b32_e32 v7, v1
.LBB72_3:                               ; =>This Inner Loop Header: Depth=1
	v_add_u32_e32 v9, v8, v6
	s_waitcnt lgkmcnt(0)
	v_mad_i64_i32 v[10:11], s[14:15], v9, 18, s[8:9]
	v_lshl_add_u64 v[12:13], v[10:11], 0, v[0:1]
	global_load_dwordx2 v[12:13], v[12:13], off offset:2
	v_add_u32_e32 v9, s4, v6
	v_mad_i64_i32 v[14:15], s[16:17], v9, 36, s[10:11]
	s_getpc_b64 s[14:15]
	s_add_u32 s14, s14, _ZL13kvalues_iq4nl@rel32@lo+4
	s_addc_u32 s15, s15, _ZL13kvalues_iq4nl@rel32@hi+12
	v_lshl_add_u64 v[16:17], v[14:15], 0, v[2:3]
	global_load_ushort v9, v[10:11], off
	global_load_dwordx2 v[18:19], v[16:17], off offset:4
	global_load_dwordx2 v[20:21], v[16:17], off offset:20
	v_add_u32_e32 v6, 32, v6
	v_cmp_le_u32_e32 vcc, s2, v6
	s_or_b64 s[0:1], vcc, s[0:1]
	s_waitcnt vmcnt(3)
	v_bfe_u32 v10, v12, 24, 4
	v_and_b32_e32 v11, 15, v12
	v_bfe_u32 v16, v12, 8, 4
	v_bfe_u32 v17, v12, 16, 4
	;; [unrolled: 1-line block ×4, first 2 shown]
	v_lshrrev_b32_e32 v24, 28, v12
	v_bfe_u32 v12, v12, 4, 4
	v_bfe_u32 v25, v13, 24, 4
	v_and_b32_e32 v26, 15, v13
	v_bfe_u32 v27, v13, 8, 4
	v_bfe_u32 v28, v13, 16, 4
	;; [unrolled: 1-line block ×4, first 2 shown]
	v_lshrrev_b32_e32 v31, 28, v13
	v_bfe_u32 v13, v13, 4, 4
	global_load_ubyte v32, v11, s[14:15]
	global_load_ubyte v33, v16, s[14:15]
	;; [unrolled: 1-line block ×15, first 2 shown]
                                        ; kill: killed $vgpr10
                                        ; kill: killed $vgpr16
                                        ; kill: killed $vgpr22
                                        ; kill: killed $vgpr31
                                        ; kill: killed $vgpr24
                                        ; kill: killed $vgpr29
                                        ; kill: killed $vgpr28
                                        ; kill: killed $vgpr23
                                        ; kill: killed $vgpr27
                                        ; kill: killed $vgpr13
                                        ; kill: killed $vgpr11
                                        ; kill: killed $vgpr12
                                        ; kill: killed $vgpr26
                                        ; kill: killed $vgpr30
                                        ; kill: killed $vgpr17
	global_load_ubyte v10, v25, s[14:15]
	global_load_dword v11, v[14:15], off
	v_mov_b32_e32 v12, 0
	v_mov_b32_e32 v13, 0
	s_waitcnt vmcnt(19)
	v_cvt_f32_f16_e32 v9, v9
	s_waitcnt vmcnt(15)
	v_lshl_or_b32 v16, v33, 8, v32
	s_waitcnt vmcnt(14)
	v_lshlrev_b32_e32 v15, 16, v34
	s_waitcnt vmcnt(12)
	v_lshl_or_b32 v23, v36, 8, v35
	s_waitcnt vmcnt(11)
	v_lshlrev_b32_e32 v22, 16, v37
	s_waitcnt vmcnt(10)
	v_lshlrev_b32_e32 v17, 24, v38
	;; [unrolled: 2-line block ×3, first 2 shown]
	v_or3_b32 v14, v16, v15, v14
	s_waitcnt vmcnt(7)
	v_lshl_or_b32 v25, v41, 8, v40
	s_waitcnt vmcnt(6)
	v_lshlrev_b32_e32 v24, 16, v42
	v_or3_b32 v15, v23, v22, v17
	s_waitcnt vmcnt(4)
	v_lshl_or_b32 v28, v44, 8, v43
	s_waitcnt vmcnt(3)
	v_lshlrev_b32_e32 v27, 16, v45
	s_waitcnt vmcnt(2)
	v_lshlrev_b32_e32 v26, 24, v46
	v_or3_b32 v16, v28, v27, v26
	v_dot4c_i32_i8_e32 v12, v14, v18
	v_dot4c_i32_i8_e32 v13, v15, v20
	;; [unrolled: 1-line block ×3, first 2 shown]
	s_waitcnt vmcnt(1)
	v_lshlrev_b32_e32 v10, 24, v10
	v_or3_b32 v10, v25, v24, v10
	v_dot4c_i32_i8_e32 v12, v10, v19
	s_waitcnt vmcnt(0)
	v_cvt_f32_f16_e32 v11, v11
	v_mul_f32_e32 v9, v9, v11
	v_add_u32_e32 v10, v13, v12
	v_cvt_f32_i32_e32 v10, v10
	v_fmac_f32_e32 v7, v9, v10
	s_andn2_b64 exec, exec, s[0:1]
	s_cbranch_execnz .LBB72_3
; %bb.4:
	s_or_b64 exec, exec, s[0:1]
.LBB72_5:
	s_or_b64 exec, exec, s[12:13]
	v_mbcnt_lo_u32_b32 v0, -1, 0
	v_mbcnt_hi_u32_b32 v1, -1, v0
	v_and_b32_e32 v0, 64, v1
	v_add_u32_e32 v2, 64, v0
	v_xor_b32_e32 v0, 32, v1
	v_cmp_lt_i32_e32 vcc, v0, v2
	v_xor_b32_e32 v3, 16, v1
	v_xor_b32_e32 v6, 8, v1
	v_cndmask_b32_e32 v0, v1, v0, vcc
	v_lshlrev_b32_e32 v0, 2, v0
	ds_bpermute_b32 v0, v0, v7
	v_cmp_lt_i32_e32 vcc, v3, v2
	s_waitcnt lgkmcnt(0)
	v_add_f32_e32 v0, v7, v0
	v_cndmask_b32_e32 v3, v1, v3, vcc
	v_lshlrev_b32_e32 v3, 2, v3
	ds_bpermute_b32 v3, v3, v0
	v_cmp_lt_i32_e32 vcc, v6, v2
	s_waitcnt lgkmcnt(0)
	v_add_f32_e32 v0, v0, v3
	v_cndmask_b32_e32 v3, v1, v6, vcc
	v_lshlrev_b32_e32 v3, 2, v3
	ds_bpermute_b32 v3, v3, v0
	v_xor_b32_e32 v6, 4, v1
	v_cmp_lt_i32_e32 vcc, v6, v2
	s_waitcnt lgkmcnt(0)
	v_add_f32_e32 v0, v0, v3
	v_cndmask_b32_e32 v3, v1, v6, vcc
	v_lshlrev_b32_e32 v3, 2, v3
	ds_bpermute_b32 v3, v3, v0
	v_xor_b32_e32 v6, 2, v1
	;; [unrolled: 7-line block ×3, first 2 shown]
	v_cmp_lt_i32_e32 vcc, v6, v2
	s_waitcnt lgkmcnt(0)
	v_add_f32_e32 v0, v0, v3
	v_cndmask_b32_e32 v1, v1, v6, vcc
	v_lshlrev_b32_e32 v1, 2, v1
	ds_bpermute_b32 v1, v1, v0
	v_cmp_eq_u32_e32 vcc, 0, v5
	s_and_b64 exec, exec, vcc
	s_cbranch_execz .LBB72_7
; %bb.6:
	s_mul_i32 s0, s5, s3
	s_waitcnt lgkmcnt(0)
	v_add_f32_e32 v2, v0, v1
	v_add_u32_e32 v0, s0, v4
	v_mov_b32_e32 v1, 0
	v_lshl_add_u64 v[0:1], v[0:1], 2, s[6:7]
	global_store_dword v[0:1], v2, off
.LBB72_7:
	s_endpgm
	.section	.rodata,"a",@progbits
	.p2align	6, 0x0
	.amdhsa_kernel _ZL13mul_mat_vec_qIfLi32ELi4E12block_iq4_nlLi2EXadL_ZL19vec_dot_iq4_nl_q8_1PKvPK10block_q8_1RKiEEEvS2_S2_PT_iii
		.amdhsa_group_segment_fixed_size 0
		.amdhsa_private_segment_fixed_size 0
		.amdhsa_kernarg_size 296
		.amdhsa_user_sgpr_count 2
		.amdhsa_user_sgpr_dispatch_ptr 0
		.amdhsa_user_sgpr_queue_ptr 0
		.amdhsa_user_sgpr_kernarg_segment_ptr 1
		.amdhsa_user_sgpr_dispatch_id 0
		.amdhsa_user_sgpr_kernarg_preload_length 0
		.amdhsa_user_sgpr_kernarg_preload_offset 0
		.amdhsa_user_sgpr_private_segment_size 0
		.amdhsa_uses_dynamic_stack 0
		.amdhsa_enable_private_segment 0
		.amdhsa_system_sgpr_workgroup_id_x 1
		.amdhsa_system_sgpr_workgroup_id_y 1
		.amdhsa_system_sgpr_workgroup_id_z 0
		.amdhsa_system_sgpr_workgroup_info 0
		.amdhsa_system_vgpr_workitem_id 1
		.amdhsa_next_free_vgpr 47
		.amdhsa_next_free_sgpr 18
		.amdhsa_accum_offset 48
		.amdhsa_reserve_vcc 1
		.amdhsa_float_round_mode_32 0
		.amdhsa_float_round_mode_16_64 0
		.amdhsa_float_denorm_mode_32 3
		.amdhsa_float_denorm_mode_16_64 3
		.amdhsa_dx10_clamp 1
		.amdhsa_ieee_mode 1
		.amdhsa_fp16_overflow 0
		.amdhsa_tg_split 0
		.amdhsa_exception_fp_ieee_invalid_op 0
		.amdhsa_exception_fp_denorm_src 0
		.amdhsa_exception_fp_ieee_div_zero 0
		.amdhsa_exception_fp_ieee_overflow 0
		.amdhsa_exception_fp_ieee_underflow 0
		.amdhsa_exception_fp_ieee_inexact 0
		.amdhsa_exception_int_div_zero 0
	.end_amdhsa_kernel
	.section	.text._ZL13mul_mat_vec_qIfLi32ELi4E12block_iq4_nlLi2EXadL_ZL19vec_dot_iq4_nl_q8_1PKvPK10block_q8_1RKiEEEvS2_S2_PT_iii,"axG",@progbits,_ZL13mul_mat_vec_qIfLi32ELi4E12block_iq4_nlLi2EXadL_ZL19vec_dot_iq4_nl_q8_1PKvPK10block_q8_1RKiEEEvS2_S2_PT_iii,comdat
.Lfunc_end72:
	.size	_ZL13mul_mat_vec_qIfLi32ELi4E12block_iq4_nlLi2EXadL_ZL19vec_dot_iq4_nl_q8_1PKvPK10block_q8_1RKiEEEvS2_S2_PT_iii, .Lfunc_end72-_ZL13mul_mat_vec_qIfLi32ELi4E12block_iq4_nlLi2EXadL_ZL19vec_dot_iq4_nl_q8_1PKvPK10block_q8_1RKiEEEvS2_S2_PT_iii
                                        ; -- End function
	.set _ZL13mul_mat_vec_qIfLi32ELi4E12block_iq4_nlLi2EXadL_ZL19vec_dot_iq4_nl_q8_1PKvPK10block_q8_1RKiEEEvS2_S2_PT_iii.num_vgpr, 47
	.set _ZL13mul_mat_vec_qIfLi32ELi4E12block_iq4_nlLi2EXadL_ZL19vec_dot_iq4_nl_q8_1PKvPK10block_q8_1RKiEEEvS2_S2_PT_iii.num_agpr, 0
	.set _ZL13mul_mat_vec_qIfLi32ELi4E12block_iq4_nlLi2EXadL_ZL19vec_dot_iq4_nl_q8_1PKvPK10block_q8_1RKiEEEvS2_S2_PT_iii.numbered_sgpr, 18
	.set _ZL13mul_mat_vec_qIfLi32ELi4E12block_iq4_nlLi2EXadL_ZL19vec_dot_iq4_nl_q8_1PKvPK10block_q8_1RKiEEEvS2_S2_PT_iii.num_named_barrier, 0
	.set _ZL13mul_mat_vec_qIfLi32ELi4E12block_iq4_nlLi2EXadL_ZL19vec_dot_iq4_nl_q8_1PKvPK10block_q8_1RKiEEEvS2_S2_PT_iii.private_seg_size, 0
	.set _ZL13mul_mat_vec_qIfLi32ELi4E12block_iq4_nlLi2EXadL_ZL19vec_dot_iq4_nl_q8_1PKvPK10block_q8_1RKiEEEvS2_S2_PT_iii.uses_vcc, 1
	.set _ZL13mul_mat_vec_qIfLi32ELi4E12block_iq4_nlLi2EXadL_ZL19vec_dot_iq4_nl_q8_1PKvPK10block_q8_1RKiEEEvS2_S2_PT_iii.uses_flat_scratch, 0
	.set _ZL13mul_mat_vec_qIfLi32ELi4E12block_iq4_nlLi2EXadL_ZL19vec_dot_iq4_nl_q8_1PKvPK10block_q8_1RKiEEEvS2_S2_PT_iii.has_dyn_sized_stack, 0
	.set _ZL13mul_mat_vec_qIfLi32ELi4E12block_iq4_nlLi2EXadL_ZL19vec_dot_iq4_nl_q8_1PKvPK10block_q8_1RKiEEEvS2_S2_PT_iii.has_recursion, 0
	.set _ZL13mul_mat_vec_qIfLi32ELi4E12block_iq4_nlLi2EXadL_ZL19vec_dot_iq4_nl_q8_1PKvPK10block_q8_1RKiEEEvS2_S2_PT_iii.has_indirect_call, 0
	.section	.AMDGPU.csdata,"",@progbits
; Kernel info:
; codeLenInByte = 1040
; TotalNumSgprs: 24
; NumVgprs: 47
; NumAgprs: 0
; TotalNumVgprs: 47
; ScratchSize: 0
; MemoryBound: 0
; FloatMode: 240
; IeeeMode: 1
; LDSByteSize: 0 bytes/workgroup (compile time only)
; SGPRBlocks: 2
; VGPRBlocks: 5
; NumSGPRsForWavesPerEU: 24
; NumVGPRsForWavesPerEU: 47
; AccumOffset: 48
; Occupancy: 8
; WaveLimiterHint : 0
; COMPUTE_PGM_RSRC2:SCRATCH_EN: 0
; COMPUTE_PGM_RSRC2:USER_SGPR: 2
; COMPUTE_PGM_RSRC2:TRAP_HANDLER: 0
; COMPUTE_PGM_RSRC2:TGID_X_EN: 1
; COMPUTE_PGM_RSRC2:TGID_Y_EN: 1
; COMPUTE_PGM_RSRC2:TGID_Z_EN: 0
; COMPUTE_PGM_RSRC2:TIDIG_COMP_CNT: 1
; COMPUTE_PGM_RSRC3_GFX90A:ACCUM_OFFSET: 11
; COMPUTE_PGM_RSRC3_GFX90A:TG_SPLIT: 0
	.section	.text._ZL13mul_mat_vec_qIfLi256ELi8E11block_iq3_sLi1EXadL_ZL18vec_dot_iq3_s_q8_1PKvPK10block_q8_1RKiEEEvS2_S2_PT_iii,"axG",@progbits,_ZL13mul_mat_vec_qIfLi256ELi8E11block_iq3_sLi1EXadL_ZL18vec_dot_iq3_s_q8_1PKvPK10block_q8_1RKiEEEvS2_S2_PT_iii,comdat
	.globl	_ZL13mul_mat_vec_qIfLi256ELi8E11block_iq3_sLi1EXadL_ZL18vec_dot_iq3_s_q8_1PKvPK10block_q8_1RKiEEEvS2_S2_PT_iii ; -- Begin function _ZL13mul_mat_vec_qIfLi256ELi8E11block_iq3_sLi1EXadL_ZL18vec_dot_iq3_s_q8_1PKvPK10block_q8_1RKiEEEvS2_S2_PT_iii
	.p2align	8
	.type	_ZL13mul_mat_vec_qIfLi256ELi8E11block_iq3_sLi1EXadL_ZL18vec_dot_iq3_s_q8_1PKvPK10block_q8_1RKiEEEvS2_S2_PT_iii,@function
_ZL13mul_mat_vec_qIfLi256ELi8E11block_iq3_sLi1EXadL_ZL18vec_dot_iq3_s_q8_1PKvPK10block_q8_1RKiEEEvS2_S2_PT_iii: ; @_ZL13mul_mat_vec_qIfLi256ELi8E11block_iq3_sLi1EXadL_ZL18vec_dot_iq3_s_q8_1PKvPK10block_q8_1RKiEEEvS2_S2_PT_iii
; %bb.0:
	s_load_dword s8, s[0:1], 0x34
	s_load_dwordx4 s[4:7], s[0:1], 0x18
	v_bfe_u32 v1, v0, 10, 10
	s_waitcnt lgkmcnt(0)
	s_lshr_b32 s7, s8, 16
	s_mul_i32 s2, s2, s7
	v_add_u32_e32 v24, s2, v1
	s_cmp_lt_u32 s3, s6
	v_cmp_gt_u32_e32 vcc, s5, v24
	s_cselect_b64 s[6:7], -1, 0
	s_and_b64 s[6:7], s[6:7], vcc
	s_and_saveexec_b64 s[8:9], s[6:7]
	s_cbranch_execz .LBB73_9
; %bb.1:
	s_load_dwordx2 s[6:7], s[0:1], 0x10
	s_ashr_i32 s2, s4, 31
	s_lshr_b32 s2, s2, 24
	s_add_i32 s2, s4, s2
	s_ashr_i32 s2, s2, 8
	v_bfe_u32 v26, v0, 3, 7
	v_and_b32_e32 v25, 0x3ff, v0
	v_cmp_gt_u32_e32 vcc, s2, v26
	v_mov_b32_e32 v1, 0
	s_and_saveexec_b64 s[8:9], vcc
	s_cbranch_execz .LBB73_7
; %bb.2:
	s_load_dwordx4 s[12:15], s[0:1], 0x0
	s_add_i32 s0, s4, 0x1ff
	s_ashr_i32 s1, s0, 31
	s_lshr_b32 s1, s1, 23
	s_add_i32 s0, s0, s1
	s_ashr_i32 s0, s0, 9
	s_mul_i32 s0, s3, s0
	v_and_b32_e32 v2, 7, v25
	v_mov_b32_e32 v1, 0
	v_lshlrev_b32_e32 v8, 2, v25
	s_lshl_b32 s4, s0, 4
	v_lshlrev_b32_e32 v0, 3, v2
	s_waitcnt lgkmcnt(0)
	v_mad_u64_u32 v[4:5], s[0:1], v2, 36, s[14:15]
	v_and_b32_e32 v28, 4, v8
	v_lshlrev_b32_e32 v8, 2, v2
	v_mov_b32_e32 v9, v1
	v_mul_lo_u32 v27, v24, s2
	v_lshl_add_u64 v[8:9], s[12:13], 0, v[8:9]
	s_mov_b64 s[0:1], 0x4a
	v_lshl_add_u64 v[10:11], s[12:13], 0, v[0:1]
	v_mov_b32_e32 v3, v1
	v_bfe_u32 v6, v25, 1, 2
	v_mov_b32_e32 v7, v1
	v_lshl_add_u64 v[8:9], v[8:9], 0, s[0:1]
	v_add_u32_e32 v29, v26, v27
	v_lshl_add_u64 v[10:11], v[10:11], 0, 2
	s_mov_b64 s[0:1], 0
	s_movk_i32 s10, 0x6e
	v_mov_b64_e32 v[12:13], s[12:13]
	s_movk_i32 s11, 0x100
	s_mov_b32 s12, 0x1010101
	s_mov_b32 s13, 0x8040201
	;; [unrolled: 1-line block ×4, first 2 shown]
	v_mov_b32_e32 v0, 0xff0000
	s_movk_i32 s16, 0x200
	v_mov_b32_e32 v30, 0xff00
	v_mov_b32_e32 v31, 0xff
	s_mov_b32 s17, 0xc060c00
.LBB73_3:                               ; =>This Loop Header: Depth=1
                                        ;     Child Loop BB73_4 Depth 2
	v_add_u32_e32 v14, v26, v27
	v_mad_i64_i32 v[14:15], s[18:19], v14, s10, v[12:13]
	v_lshl_add_u64 v[16:17], v[14:15], 0, v[2:3]
	global_load_ubyte v33, v[16:17], off offset:66
	v_lshl_add_u32 v16, v26, 3, s4
	v_mad_i64_i32 v[18:19], s[18:19], v29, s10, v[8:9]
	v_mad_i64_i32 v[20:21], s[18:19], v29, s10, v[10:11]
	;; [unrolled: 1-line block ×3, first 2 shown]
	v_lshl_add_u64 v[22:23], v[16:17], 0, 4
	s_mov_b32 s18, 7
	v_mov_b32_e32 v32, 0
.LBB73_4:                               ;   Parent Loop BB73_3 Depth=1
                                        ; =>  This Inner Loop Header: Depth=2
	global_load_ushort v34, v[20:21], off
	global_load_ubyte v36, v[18:19], off
	s_add_i32 s19, s18, 1
	s_waitcnt vmcnt(2)
	v_lshlrev_b32_e32 v37, s19, v33
	v_lshlrev_b32_e32 v35, s18, v33
	s_getpc_b64 s[20:21]
	s_add_u32 s20, s20, _ZL10iq3xs_grid@rel32@lo+4
	s_addc_u32 s21, s21, _ZL10iq3xs_grid@rel32@hi+12
	s_add_i32 s18, s18, -2
	v_lshl_add_u64 v[18:19], v[18:19], 0, 1
	v_lshl_add_u64 v[20:21], v[20:21], 0, 2
	s_cmp_lg_u32 s18, -1
	s_waitcnt vmcnt(1)
	v_and_b32_e32 v38, 0xff, v34
	v_lshrrev_b16_e32 v34, 8, v34
	v_and_or_b32 v37, v37, s11, v38
	v_and_or_b32 v34, v35, s11, v34
	v_lshlrev_b32_e32 v37, 2, v37
	v_lshlrev_b32_e32 v38, 2, v34
	global_load_dword v39, v37, s[20:21]
	global_load_dword v40, v38, s[20:21]
	global_load_dwordx2 v[34:35], v[22:23], off
	s_waitcnt vmcnt(3)
	v_and_b32_e32 v37, 15, v36
	v_lshrrev_b16_e32 v36, 4, v36
	v_mul_lo_u32 v36, v36, s12
	v_bitop3_b32 v38, v36, s13, v36 bitop3:0xc
	v_bitop3_b32 v41, v36, s15, v36 bitop3:0xc
	v_cmp_gt_u32_e32 vcc, s14, v38
	v_and_b32_e32 v37, 0xffff, v37
	v_bitop3_b32 v42, v36, s16, v36 bitop3:0xc
	v_cndmask_b32_e64 v38, 0, -1, vcc
	v_cmp_eq_u32_e32 vcc, 0, v41
	v_mul_lo_u32 v37, v37, s12
	v_bitop3_b32 v36, v36, 1, v36 bitop3:0xc
	v_cndmask_b32_e32 v41, 0, v0, vcc
	v_cmp_eq_u32_e32 vcc, 0, v42
	v_bitop3_b32 v43, v37, s13, v37 bitop3:0xc
	v_bitop3_b32 v44, v37, s15, v37 bitop3:0xc
	v_cndmask_b32_e32 v42, 0, v30, vcc
	v_cmp_eq_u32_e32 vcc, 0, v36
	v_bitop3_b32 v45, v37, s16, v37 bitop3:0xc
	v_bitop3_b32 v37, v37, 1, v37 bitop3:0xc
	v_cndmask_b32_e32 v36, 0, v31, vcc
	v_cmp_gt_u32_e32 vcc, s14, v43
	v_lshlrev_b32_e32 v38, 24, v38
	v_or3_b32 v46, v42, v36, v41
	v_cndmask_b32_e64 v43, 0, -1, vcc
	v_cmp_eq_u32_e32 vcc, 0, v44
	v_lshlrev_b32_e32 v43, 24, v43
	v_lshl_add_u64 v[22:23], v[22:23], 0, 8
	v_cndmask_b32_e32 v44, 0, v0, vcc
	v_cmp_eq_u32_e32 vcc, 0, v45
	s_waitcnt vmcnt(1)
	v_bitop3_b32 v40, v46, v40, v38 bitop3:0x36
	v_cndmask_b32_e32 v45, 0, v30, vcc
	v_cmp_eq_u32_e32 vcc, 0, v37
	v_sub_u32_e32 v38, v40, v38
	v_sub_u32_e32 v36, v40, v36
	v_cndmask_b32_e32 v37, 0, v31, vcc
	v_or3_b32 v47, v45, v37, v44
	v_bitop3_b32 v39, v47, v39, v43 bitop3:0x36
	v_sub_u32_e32 v43, v39, v43
	v_sub_u32_e32 v44, v39, v44
	v_sub_u32_e32 v45, v39, v45
	v_sub_u32_e32 v37, v39, v37
	v_sub_u32_e32 v39, v40, v41
	v_sub_u32_e32 v41, v40, v42
	v_and_b32_e32 v40, 0xff000000, v43
	v_and_b32_e32 v42, 0xff00, v45
	v_perm_b32 v37, v44, v37, s17
	v_and_b32_e32 v38, 0xff000000, v38
	v_and_b32_e32 v41, 0xff00, v41
	v_perm_b32 v36, v39, v36, s17
	v_or3_b32 v37, v37, v40, v42
	v_or3_b32 v36, v36, v38, v41
	s_waitcnt vmcnt(0)
	v_dot4c_i32_i8_e32 v32, v37, v34
	v_dot4c_i32_i8_e32 v32, v36, v35
	s_cbranch_scc1 .LBB73_4
; %bb.5:                                ;   in Loop: Header=BB73_3 Depth=1
	global_load_ushort v18, v[14:15], off
	v_lshl_add_u64 v[14:15], v[14:15], 0, v[6:7]
	global_load_dword v19, v[16:17], off
	global_load_ubyte v20, v[14:15], off offset:106
	v_cvt_f32_i32_e32 v14, v32
	v_add_u32_e32 v26, 8, v26
	v_cmp_le_u32_e32 vcc, s2, v26
	s_or_b64 s[0:1], vcc, s[0:1]
	v_add_u32_e32 v29, 8, v29
	s_waitcnt vmcnt(2)
	v_cvt_f32_f16_e32 v15, v18
	s_waitcnt vmcnt(1)
	v_cvt_f32_f16_e32 v16, v19
	s_waitcnt vmcnt(0)
	v_bfe_u32 v17, v20, v28, 4
	v_cvt_f32_ubyte0_e32 v17, v17
	v_add_f32_e32 v17, 0.5, v17
	v_mul_f32_e32 v15, v17, v15
	v_mul_f32_e32 v15, v15, v16
	v_mul_f32_e32 v15, 0.5, v15
	v_fmac_f32_e32 v1, v15, v14
	s_andn2_b64 exec, exec, s[0:1]
	s_cbranch_execnz .LBB73_3
; %bb.6:
	s_or_b64 exec, exec, s[0:1]
.LBB73_7:
	s_or_b64 exec, exec, s[8:9]
	v_mbcnt_lo_u32_b32 v0, -1, 0
	v_mbcnt_hi_u32_b32 v2, -1, v0
	v_and_b32_e32 v0, 64, v2
	v_add_u32_e32 v3, 64, v0
	v_xor_b32_e32 v0, 32, v2
	v_cmp_lt_i32_e32 vcc, v0, v3
	v_xor_b32_e32 v4, 16, v2
	s_nop 0
	v_cndmask_b32_e32 v0, v2, v0, vcc
	v_lshlrev_b32_e32 v0, 2, v0
	ds_bpermute_b32 v0, v0, v1
	v_cmp_lt_i32_e32 vcc, v4, v3
	s_waitcnt lgkmcnt(0)
	v_add_f32_e32 v0, v1, v0
	v_cndmask_b32_e32 v1, v2, v4, vcc
	v_lshlrev_b32_e32 v1, 2, v1
	ds_bpermute_b32 v1, v1, v0
	v_xor_b32_e32 v4, 8, v2
	v_cmp_lt_i32_e32 vcc, v4, v3
	s_waitcnt lgkmcnt(0)
	v_add_f32_e32 v0, v0, v1
	v_cndmask_b32_e32 v1, v2, v4, vcc
	v_lshlrev_b32_e32 v1, 2, v1
	ds_bpermute_b32 v1, v1, v0
	v_xor_b32_e32 v4, 4, v2
	v_cmp_lt_i32_e32 vcc, v4, v3
	s_waitcnt lgkmcnt(0)
	v_add_f32_e32 v0, v0, v1
	v_cndmask_b32_e32 v1, v2, v4, vcc
	v_lshlrev_b32_e32 v1, 2, v1
	ds_bpermute_b32 v1, v1, v0
	v_xor_b32_e32 v4, 2, v2
	v_cmp_lt_i32_e32 vcc, v4, v3
	s_waitcnt lgkmcnt(0)
	v_add_f32_e32 v0, v0, v1
	v_cndmask_b32_e32 v1, v2, v4, vcc
	v_lshlrev_b32_e32 v1, 2, v1
	ds_bpermute_b32 v1, v1, v0
	v_xor_b32_e32 v4, 1, v2
	v_cmp_lt_i32_e32 vcc, v4, v3
	s_waitcnt lgkmcnt(0)
	v_add_f32_e32 v0, v0, v1
	v_cndmask_b32_e32 v1, v2, v4, vcc
	v_lshlrev_b32_e32 v1, 2, v1
	ds_bpermute_b32 v1, v1, v0
	v_cmp_eq_u32_e32 vcc, 0, v25
	s_and_b64 exec, exec, vcc
	s_cbranch_execz .LBB73_9
; %bb.8:
	s_mul_i32 s0, s5, s3
	s_waitcnt lgkmcnt(0)
	v_add_f32_e32 v2, v0, v1
	v_add_u32_e32 v0, s0, v24
	v_mov_b32_e32 v1, 0
	v_lshl_add_u64 v[0:1], v[0:1], 2, s[6:7]
	global_store_dword v[0:1], v2, off
.LBB73_9:
	s_endpgm
	.section	.rodata,"a",@progbits
	.p2align	6, 0x0
	.amdhsa_kernel _ZL13mul_mat_vec_qIfLi256ELi8E11block_iq3_sLi1EXadL_ZL18vec_dot_iq3_s_q8_1PKvPK10block_q8_1RKiEEEvS2_S2_PT_iii
		.amdhsa_group_segment_fixed_size 0
		.amdhsa_private_segment_fixed_size 0
		.amdhsa_kernarg_size 296
		.amdhsa_user_sgpr_count 2
		.amdhsa_user_sgpr_dispatch_ptr 0
		.amdhsa_user_sgpr_queue_ptr 0
		.amdhsa_user_sgpr_kernarg_segment_ptr 1
		.amdhsa_user_sgpr_dispatch_id 0
		.amdhsa_user_sgpr_kernarg_preload_length 0
		.amdhsa_user_sgpr_kernarg_preload_offset 0
		.amdhsa_user_sgpr_private_segment_size 0
		.amdhsa_uses_dynamic_stack 0
		.amdhsa_enable_private_segment 0
		.amdhsa_system_sgpr_workgroup_id_x 1
		.amdhsa_system_sgpr_workgroup_id_y 1
		.amdhsa_system_sgpr_workgroup_id_z 0
		.amdhsa_system_sgpr_workgroup_info 0
		.amdhsa_system_vgpr_workitem_id 1
		.amdhsa_next_free_vgpr 48
		.amdhsa_next_free_sgpr 22
		.amdhsa_accum_offset 48
		.amdhsa_reserve_vcc 1
		.amdhsa_float_round_mode_32 0
		.amdhsa_float_round_mode_16_64 0
		.amdhsa_float_denorm_mode_32 3
		.amdhsa_float_denorm_mode_16_64 3
		.amdhsa_dx10_clamp 1
		.amdhsa_ieee_mode 1
		.amdhsa_fp16_overflow 0
		.amdhsa_tg_split 0
		.amdhsa_exception_fp_ieee_invalid_op 0
		.amdhsa_exception_fp_denorm_src 0
		.amdhsa_exception_fp_ieee_div_zero 0
		.amdhsa_exception_fp_ieee_overflow 0
		.amdhsa_exception_fp_ieee_underflow 0
		.amdhsa_exception_fp_ieee_inexact 0
		.amdhsa_exception_int_div_zero 0
	.end_amdhsa_kernel
	.section	.text._ZL13mul_mat_vec_qIfLi256ELi8E11block_iq3_sLi1EXadL_ZL18vec_dot_iq3_s_q8_1PKvPK10block_q8_1RKiEEEvS2_S2_PT_iii,"axG",@progbits,_ZL13mul_mat_vec_qIfLi256ELi8E11block_iq3_sLi1EXadL_ZL18vec_dot_iq3_s_q8_1PKvPK10block_q8_1RKiEEEvS2_S2_PT_iii,comdat
.Lfunc_end73:
	.size	_ZL13mul_mat_vec_qIfLi256ELi8E11block_iq3_sLi1EXadL_ZL18vec_dot_iq3_s_q8_1PKvPK10block_q8_1RKiEEEvS2_S2_PT_iii, .Lfunc_end73-_ZL13mul_mat_vec_qIfLi256ELi8E11block_iq3_sLi1EXadL_ZL18vec_dot_iq3_s_q8_1PKvPK10block_q8_1RKiEEEvS2_S2_PT_iii
                                        ; -- End function
	.set _ZL13mul_mat_vec_qIfLi256ELi8E11block_iq3_sLi1EXadL_ZL18vec_dot_iq3_s_q8_1PKvPK10block_q8_1RKiEEEvS2_S2_PT_iii.num_vgpr, 48
	.set _ZL13mul_mat_vec_qIfLi256ELi8E11block_iq3_sLi1EXadL_ZL18vec_dot_iq3_s_q8_1PKvPK10block_q8_1RKiEEEvS2_S2_PT_iii.num_agpr, 0
	.set _ZL13mul_mat_vec_qIfLi256ELi8E11block_iq3_sLi1EXadL_ZL18vec_dot_iq3_s_q8_1PKvPK10block_q8_1RKiEEEvS2_S2_PT_iii.numbered_sgpr, 22
	.set _ZL13mul_mat_vec_qIfLi256ELi8E11block_iq3_sLi1EXadL_ZL18vec_dot_iq3_s_q8_1PKvPK10block_q8_1RKiEEEvS2_S2_PT_iii.num_named_barrier, 0
	.set _ZL13mul_mat_vec_qIfLi256ELi8E11block_iq3_sLi1EXadL_ZL18vec_dot_iq3_s_q8_1PKvPK10block_q8_1RKiEEEvS2_S2_PT_iii.private_seg_size, 0
	.set _ZL13mul_mat_vec_qIfLi256ELi8E11block_iq3_sLi1EXadL_ZL18vec_dot_iq3_s_q8_1PKvPK10block_q8_1RKiEEEvS2_S2_PT_iii.uses_vcc, 1
	.set _ZL13mul_mat_vec_qIfLi256ELi8E11block_iq3_sLi1EXadL_ZL18vec_dot_iq3_s_q8_1PKvPK10block_q8_1RKiEEEvS2_S2_PT_iii.uses_flat_scratch, 0
	.set _ZL13mul_mat_vec_qIfLi256ELi8E11block_iq3_sLi1EXadL_ZL18vec_dot_iq3_s_q8_1PKvPK10block_q8_1RKiEEEvS2_S2_PT_iii.has_dyn_sized_stack, 0
	.set _ZL13mul_mat_vec_qIfLi256ELi8E11block_iq3_sLi1EXadL_ZL18vec_dot_iq3_s_q8_1PKvPK10block_q8_1RKiEEEvS2_S2_PT_iii.has_recursion, 0
	.set _ZL13mul_mat_vec_qIfLi256ELi8E11block_iq3_sLi1EXadL_ZL18vec_dot_iq3_s_q8_1PKvPK10block_q8_1RKiEEEvS2_S2_PT_iii.has_indirect_call, 0
	.section	.AMDGPU.csdata,"",@progbits
; Kernel info:
; codeLenInByte = 1288
; TotalNumSgprs: 28
; NumVgprs: 48
; NumAgprs: 0
; TotalNumVgprs: 48
; ScratchSize: 0
; MemoryBound: 0
; FloatMode: 240
; IeeeMode: 1
; LDSByteSize: 0 bytes/workgroup (compile time only)
; SGPRBlocks: 3
; VGPRBlocks: 5
; NumSGPRsForWavesPerEU: 28
; NumVGPRsForWavesPerEU: 48
; AccumOffset: 48
; Occupancy: 8
; WaveLimiterHint : 0
; COMPUTE_PGM_RSRC2:SCRATCH_EN: 0
; COMPUTE_PGM_RSRC2:USER_SGPR: 2
; COMPUTE_PGM_RSRC2:TRAP_HANDLER: 0
; COMPUTE_PGM_RSRC2:TGID_X_EN: 1
; COMPUTE_PGM_RSRC2:TGID_Y_EN: 1
; COMPUTE_PGM_RSRC2:TGID_Z_EN: 0
; COMPUTE_PGM_RSRC2:TIDIG_COMP_CNT: 1
; COMPUTE_PGM_RSRC3_GFX90A:ACCUM_OFFSET: 11
; COMPUTE_PGM_RSRC3_GFX90A:TG_SPLIT: 0
	.section	.text._ZL13mul_mat_vec_qIfLi256ELi8E11block_iq2_sLi1EXadL_ZL18vec_dot_iq2_s_q8_1PKvPK10block_q8_1RKiEEEvS2_S2_PT_iii,"axG",@progbits,_ZL13mul_mat_vec_qIfLi256ELi8E11block_iq2_sLi1EXadL_ZL18vec_dot_iq2_s_q8_1PKvPK10block_q8_1RKiEEEvS2_S2_PT_iii,comdat
	.globl	_ZL13mul_mat_vec_qIfLi256ELi8E11block_iq2_sLi1EXadL_ZL18vec_dot_iq2_s_q8_1PKvPK10block_q8_1RKiEEEvS2_S2_PT_iii ; -- Begin function _ZL13mul_mat_vec_qIfLi256ELi8E11block_iq2_sLi1EXadL_ZL18vec_dot_iq2_s_q8_1PKvPK10block_q8_1RKiEEEvS2_S2_PT_iii
	.p2align	8
	.type	_ZL13mul_mat_vec_qIfLi256ELi8E11block_iq2_sLi1EXadL_ZL18vec_dot_iq2_s_q8_1PKvPK10block_q8_1RKiEEEvS2_S2_PT_iii,@function
_ZL13mul_mat_vec_qIfLi256ELi8E11block_iq2_sLi1EXadL_ZL18vec_dot_iq2_s_q8_1PKvPK10block_q8_1RKiEEEvS2_S2_PT_iii: ; @_ZL13mul_mat_vec_qIfLi256ELi8E11block_iq2_sLi1EXadL_ZL18vec_dot_iq2_s_q8_1PKvPK10block_q8_1RKiEEEvS2_S2_PT_iii
; %bb.0:
	s_load_dword s8, s[0:1], 0x34
	s_load_dwordx4 s[4:7], s[0:1], 0x18
	v_bfe_u32 v1, v0, 10, 10
	s_waitcnt lgkmcnt(0)
	s_lshr_b32 s7, s8, 16
	s_mul_i32 s2, s2, s7
	v_add_u32_e32 v14, s2, v1
	s_cmp_lt_u32 s3, s6
	v_cmp_gt_u32_e32 vcc, s5, v14
	s_cselect_b64 s[6:7], -1, 0
	s_and_b64 s[6:7], s[6:7], vcc
	s_and_saveexec_b64 s[8:9], s[6:7]
	s_cbranch_execz .LBB74_7
; %bb.1:
	s_load_dwordx2 s[6:7], s[0:1], 0x10
	s_ashr_i32 s2, s4, 31
	s_lshr_b32 s2, s2, 24
	s_add_i32 s2, s4, s2
	s_ashr_i32 s2, s2, 8
	v_bfe_u32 v16, v0, 3, 7
	v_and_b32_e32 v15, 0x3ff, v0
	v_cmp_gt_u32_e32 vcc, s2, v16
	v_mov_b32_e32 v18, 0
	s_and_saveexec_b64 s[8:9], vcc
	s_cbranch_execz .LBB74_5
; %bb.2:
	s_load_dwordx4 s[12:15], s[0:1], 0x0
	s_add_i32 s0, s4, 0x1ff
	s_ashr_i32 s1, s0, 31
	s_lshr_b32 s1, s1, 23
	s_add_i32 s0, s0, s1
	s_ashr_i32 s0, s0, 9
	s_mul_i32 s4, s3, s0
	v_and_b32_e32 v0, 7, v15
	v_mov_b32_e32 v1, 0
	v_lshlrev_b32_e32 v6, 3, v16
	v_mul_lo_u32 v17, v14, s2
	s_waitcnt lgkmcnt(0)
	v_mad_u64_u32 v[2:3], s[0:1], v0, 36, s[14:15]
	v_lshlrev_b32_e32 v4, 2, v0
	v_mov_b32_e32 v5, v1
	v_lshl_add_u32 v19, s4, 4, v6
	s_mov_b64 s[10:11], 0
	s_movk_i32 s4, 0x52
	v_mov_b64_e32 v[6:7], s[12:13]
	s_movk_i32 s12, 0x300
	s_mov_b32 s13, 0x1010101
	s_mov_b32 s14, 0x8040201
	;; [unrolled: 1-line block ×4, first 2 shown]
	v_mov_b32_e32 v20, 0xff0000
	s_movk_i32 s17, 0x200
	v_mov_b32_e32 v21, 0xff00
	v_mov_b32_e32 v22, 0xff
	s_mov_b32 s18, 0xc060c00
	v_mov_b32_e32 v23, 4
	v_mov_b32_e32 v18, v1
.LBB74_3:                               ; =>This Inner Loop Header: Depth=1
	v_add_u32_e32 v8, v17, v16
	v_mad_i64_i32 v[8:9], s[20:21], v8, s4, v[6:7]
	v_lshl_add_u64 v[10:11], v[8:9], 0, v[4:5]
	v_lshl_add_u64 v[12:13], v[8:9], 0, v[0:1]
	global_load_ushort v28, v[8:9], off
	global_load_dword v24, v[10:11], off offset:2
	global_load_ubyte v25, v[12:13], off offset:66
	global_load_dword v26, v[10:11], off offset:34
	global_load_ubyte v27, v[12:13], off offset:74
	s_getpc_b64 s[0:1]
	s_add_u32 s0, s0, _ZL9iq2s_grid@rel32@lo+4
	s_addc_u32 s1, s1, _ZL9iq2s_grid@rel32@hi+12
	v_add_u32_e32 v16, 8, v16
	s_waitcnt vmcnt(4)
	v_cvt_f32_f16_e32 v28, v28
	s_waitcnt vmcnt(3)
	v_and_b32_e32 v9, 0xff, v24
	s_waitcnt vmcnt(2)
	v_lshlrev_b32_e32 v10, 8, v25
	s_waitcnt vmcnt(1)
	v_and_b32_e32 v12, 15, v26
	v_lshrrev_b32_e32 v8, 24, v24
	v_bfe_u32 v29, v24, 8, 8
	v_bfe_u32 v24, v24, 16, 8
	v_lshlrev_b32_e32 v32, 4, v25
	v_and_or_b32 v9, v10, s12, v9
	v_mul_lo_u32 v10, v12, s13
	v_lshrrev_b16_e32 v13, 4, v26
	v_lshlrev_b32_e32 v30, 6, v25
	v_bfe_u32 v33, v26, 16, 4
	v_and_or_b32 v24, v32, s12, v24
	v_bitop3_b32 v32, v10, s14, v10 bitop3:0xc
	v_bfe_u32 v31, v26, 8, 4
	v_bfe_u32 v34, v26, 20, 4
	v_lshlrev_b32_e32 v25, 2, v25
	v_and_b32_e32 v12, 15, v13
	v_and_or_b32 v13, v30, s12, v29
	v_mul_lo_u32 v30, v33, s13
	v_bitop3_b32 v33, v10, s16, v10 bitop3:0xc
	v_cmp_gt_u32_e32 vcc, s15, v32
	v_lshrrev_b32_e32 v11, 8, v26
	v_mul_lo_u32 v29, v31, s13
	v_mul_lo_u32 v31, v34, s13
	v_and_or_b32 v8, v25, s12, v8
	v_lshlrev_b32_e32 v9, 3, v9
	v_bitop3_b32 v34, v10, s17, v10 bitop3:0xc
	v_cndmask_b32_e64 v32, 0, -1, vcc
	v_cmp_eq_u32_e32 vcc, 0, v33
	v_lshrrev_b16_e32 v11, 4, v11
	v_bitop3_b32 v10, v10, 1, v10 bitop3:0xc
	v_lshlrev_b32_e32 v13, 3, v13
	v_lshlrev_b32_e32 v45, 3, v8
	v_cndmask_b32_e32 v33, 0, v20, vcc
	global_load_dwordx2 v[8:9], v9, s[0:1]
	v_cmp_eq_u32_e32 vcc, 0, v34
	v_bfe_u32 v35, v26, 24, 4
	v_and_b32_e32 v12, 0xffff, v12
	v_and_b32_e32 v38, 15, v11
	v_lshlrev_b32_e32 v24, 3, v24
	v_cndmask_b32_e32 v34, 0, v21, vcc
	v_cmp_eq_u32_e32 vcc, 0, v10
	global_load_dwordx2 v[10:11], v13, s[0:1]
	v_mul_lo_u32 v25, v35, s13
	v_mul_lo_u32 v54, v12, s13
	global_load_dwordx2 v[12:13], v24, s[0:1]
	v_bitop3_b32 v46, v25, s14, v25 bitop3:0xc
	v_bitop3_b32 v47, v25, s16, v25 bitop3:0xc
	;; [unrolled: 1-line block ×4, first 2 shown]
	global_load_dwordx2 v[24:25], v45, s[0:1]
	v_bitop3_b32 v35, v29, s14, v29 bitop3:0xc
	v_bitop3_b32 v36, v29, s16, v29 bitop3:0xc
	v_cndmask_b32_e32 v53, 0, v22, vcc
	v_cmp_gt_u32_e32 vcc, s15, v35
	v_bitop3_b32 v37, v29, s17, v29 bitop3:0xc
	v_bitop3_b32 v29, v29, 1, v29 bitop3:0xc
	v_cndmask_b32_e64 v35, 0, -1, vcc
	v_cmp_eq_u32_e32 vcc, 0, v36
	v_bitop3_b32 v39, v30, s14, v30 bitop3:0xc
	v_bitop3_b32 v40, v30, s16, v30 bitop3:0xc
	v_cndmask_b32_e32 v36, 0, v20, vcc
	v_cmp_eq_u32_e32 vcc, 0, v37
	v_bitop3_b32 v41, v30, s17, v30 bitop3:0xc
	v_bitop3_b32 v30, v30, 1, v30 bitop3:0xc
	v_cndmask_b32_e32 v37, 0, v21, vcc
	v_cmp_eq_u32_e32 vcc, 0, v29
	v_bitop3_b32 v42, v31, s14, v31 bitop3:0xc
	v_bitop3_b32 v43, v31, s16, v31 bitop3:0xc
	v_cndmask_b32_e32 v29, 0, v22, vcc
	v_cmp_gt_u32_e32 vcc, s15, v39
	v_bitop3_b32 v44, v31, s17, v31 bitop3:0xc
	v_bitop3_b32 v31, v31, 1, v31 bitop3:0xc
	v_cndmask_b32_e64 v39, 0, -1, vcc
	v_cmp_eq_u32_e32 vcc, 0, v40
	v_lshrrev_b16_sdwa v26, v23, v26 dst_sel:DWORD dst_unused:UNUSED_PAD src0_sel:DWORD src1_sel:BYTE_3
	v_mul_lo_u32 v26, v26, s13
	v_cndmask_b32_e32 v40, 0, v20, vcc
	v_cmp_eq_u32_e32 vcc, 0, v41
	v_bitop3_b32 v50, v26, s14, v26 bitop3:0xc
	v_bitop3_b32 v51, v26, s16, v26 bitop3:0xc
	v_cndmask_b32_e32 v41, 0, v21, vcc
	v_cmp_eq_u32_e32 vcc, 0, v30
	v_bitop3_b32 v52, v26, s17, v26 bitop3:0xc
	v_bitop3_b32 v26, v26, 1, v26 bitop3:0xc
	v_cndmask_b32_e32 v30, 0, v22, vcc
	v_cmp_gt_u32_e32 vcc, s15, v42
	v_bitop3_b32 v55, v54, s14, v54 bitop3:0xc
	v_and_b32_e32 v38, 0xffff, v38
	v_cndmask_b32_e64 v42, 0, -1, vcc
	v_cmp_eq_u32_e32 vcc, 0, v43
	v_bitop3_b32 v56, v54, s16, v54 bitop3:0xc
	v_bitop3_b32 v57, v54, s17, v54 bitop3:0xc
	v_cndmask_b32_e32 v43, 0, v20, vcc
	v_cmp_eq_u32_e32 vcc, 0, v44
	v_mul_lo_u32 v38, v38, s13
	v_bitop3_b32 v54, v54, 1, v54 bitop3:0xc
	v_cndmask_b32_e32 v44, 0, v21, vcc
	v_cmp_eq_u32_e32 vcc, 0, v31
	v_bitop3_b32 v59, v38, s14, v38 bitop3:0xc
	v_bitop3_b32 v60, v38, s16, v38 bitop3:0xc
	v_cndmask_b32_e32 v31, 0, v22, vcc
	v_cmp_gt_u32_e32 vcc, s15, v46
	v_cmp_gt_u32_e64 s[0:1], s15, v59
	v_bitop3_b32 v61, v38, s17, v38 bitop3:0xc
	v_cndmask_b32_e64 v45, 0, -1, vcc
	v_cmp_eq_u32_e32 vcc, 0, v47
	v_bitop3_b32 v38, v38, 1, v38 bitop3:0xc
	v_cndmask_b32_e64 v59, 0, -1, s[0:1]
	v_cndmask_b32_e32 v46, 0, v20, vcc
	v_cmp_eq_u32_e32 vcc, 0, v48
	v_cmp_eq_u32_e64 s[0:1], 0, v60
	v_lshlrev_b32_e32 v32, 24, v32
	v_cndmask_b32_e32 v47, 0, v21, vcc
	v_cmp_eq_u32_e32 vcc, 0, v49
	v_cndmask_b32_e64 v60, 0, v20, s[0:1]
	v_cmp_eq_u32_e64 s[0:1], 0, v61
	v_cndmask_b32_e32 v48, 0, v22, vcc
	v_cmp_gt_u32_e32 vcc, s15, v50
	v_lshlrev_b32_e32 v35, 24, v35
	v_or3_b32 v58, v37, v29, v36
	v_cndmask_b32_e64 v49, 0, -1, vcc
	v_cmp_eq_u32_e32 vcc, 0, v51
	v_cndmask_b32_e64 v61, 0, v21, s[0:1]
	v_lshlrev_b32_e32 v39, 24, v39
	v_cndmask_b32_e32 v50, 0, v20, vcc
	v_cmp_eq_u32_e32 vcc, 0, v52
	v_or3_b32 v52, v34, v53, v33
	s_waitcnt vmcnt(3)
	v_bitop3_b32 v8, v52, v8, v32 bitop3:0x36
	v_cndmask_b32_e32 v51, 0, v21, vcc
	v_cmp_eq_u32_e32 vcc, 0, v26
	v_lshlrev_b32_e32 v52, 24, v59
	s_waitcnt vmcnt(2)
	v_bitop3_b32 v10, v58, v10, v35 bitop3:0x36
	v_cndmask_b32_e32 v26, 0, v22, vcc
	v_cmp_gt_u32_e32 vcc, s15, v55
	v_or3_b32 v58, v41, v30, v40
	v_lshlrev_b32_e32 v42, 24, v42
	v_cndmask_b32_e64 v55, 0, -1, vcc
	v_cmp_eq_u32_e32 vcc, 0, v56
	v_lshlrev_b32_e32 v55, 24, v55
	v_lshlrev_b32_e32 v45, 24, v45
	v_cndmask_b32_e32 v56, 0, v20, vcc
	v_cmp_eq_u32_e32 vcc, 0, v57
	s_waitcnt vmcnt(1)
	v_bitop3_b32 v58, v58, v12, v39 bitop3:0x36
	v_or3_b32 v12, v47, v48, v46
	v_cndmask_b32_e32 v57, 0, v21, vcc
	v_cmp_eq_u32_e32 vcc, 0, v54
	v_lshlrev_b32_e32 v49, 24, v49
	s_waitcnt vmcnt(0)
	v_bitop3_b32 v62, v12, v24, v45 bitop3:0x36
	v_cndmask_b32_e32 v54, 0, v22, vcc
	v_cmp_eq_u32_e32 vcc, 0, v38
	v_or3_b32 v38, v57, v54, v56
	v_bitop3_b32 v9, v38, v9, v55 bitop3:0x36
	v_cndmask_b32_e32 v38, 0, v22, vcc
	v_or3_b32 v59, v61, v38, v60
	v_bitop3_b32 v11, v59, v11, v52 bitop3:0x36
	v_or3_b32 v59, v44, v31, v43
	v_bitop3_b32 v59, v59, v13, v42 bitop3:0x36
	v_or3_b32 v13, v51, v26, v50
	v_lshrrev_b16_e32 v12, 4, v27
	v_and_b32_e32 v24, 15, v27
	v_bitop3_b32 v63, v13, v25, v49 bitop3:0x36
	v_cvt_f32_ubyte0_e32 v13, v12
	v_cvt_f32_ubyte0_e32 v12, v24
	v_mad_i64_i32 v[24:25], s[0:1], v19, 36, v[2:3]
	v_sub_u32_e32 v32, v8, v32
	v_sub_u32_e32 v33, v8, v33
	;; [unrolled: 1-line block ×16, first 2 shown]
	global_load_dwordx4 v[8:11], v[24:25], off
	v_sub_u32_e32 v39, v58, v39
	v_sub_u32_e32 v40, v58, v40
	;; [unrolled: 1-line block ×8, first 2 shown]
	global_load_dword v58, v[24:25], off offset:32
	v_sub_u32_e32 v59, v63, v26
	global_load_dwordx4 v[24:27], v[24:25], off offset:16
	v_sub_u32_e32 v45, v62, v45
	v_sub_u32_e32 v46, v62, v46
	v_sub_u32_e32 v48, v62, v48
	v_sub_u32_e32 v49, v63, v49
	v_perm_b32 v33, v33, v53, s18
	v_perm_b32 v29, v36, v29, s18
	v_and_b32_e32 v39, 0xff000000, v39
	v_and_b32_e32 v41, 0xff00, v41
	v_perm_b32 v30, v40, v30, s18
	v_and_b32_e32 v34, 0xff00, v34
	v_sub_u32_e32 v47, v62, v47
	v_mov_b32_e32 v53, 0
	v_perm_b32 v54, v56, v54, s18
	v_mov_b32_e32 v56, 0
	v_and_b32_e32 v40, 0xff000000, v42
	v_and_b32_e32 v42, 0xff00, v44
	v_perm_b32 v31, v43, v31, s18
	v_and_b32_e32 v43, 0xff000000, v45
	v_perm_b32 v45, v46, v48, s18
	v_and_b32_e32 v46, 0xff000000, v49
	v_and_b32_e32 v49, 0xff00, v57
	v_or3_b32 v30, v30, v39, v41
	v_sub_u32_e32 v50, v63, v50
	v_sub_u32_e32 v51, v63, v51
	v_and_b32_e32 v35, 0xff000000, v35
	v_and_b32_e32 v44, 0xff00, v47
	;; [unrolled: 1-line block ×3, first 2 shown]
	v_or3_b32 v31, v31, v40, v42
	v_and_b32_e32 v52, 0xff000000, v52
	v_perm_b32 v38, v60, v38, s18
	v_and_b32_e32 v47, 0xff00, v51
	v_perm_b32 v48, v50, v59, s18
	v_and_b32_e32 v50, 0xff00, v61
	v_or3_b32 v39, v45, v43, v44
	v_or3_b32 v29, v29, v35, v37
	;; [unrolled: 1-line block ×3, first 2 shown]
	v_cmp_le_u32_e32 vcc, s2, v16
	v_add_u32_e32 v19, 64, v19
	s_or_b64 s[10:11], vcc, s[10:11]
	s_waitcnt vmcnt(2)
	v_cvt_f32_f16_e32 v36, v8
	v_and_b32_e32 v8, 0xff000000, v32
	v_and_b32_e32 v32, 0xff000000, v55
	v_or3_b32 v8, v33, v8, v34
	v_or3_b32 v32, v54, v32, v49
	v_dot4c_i32_i8_e32 v56, v8, v9
	v_dot4c_i32_i8_e32 v56, v32, v10
	v_or3_b32 v33, v38, v52, v50
	v_dot4c_i32_i8_e32 v56, v29, v11
	v_pk_add_f32 v[10:11], v[12:13], 0.5 op_sel_hi:[1,0]
	v_mul_f32_e32 v12, v28, v36
	s_waitcnt vmcnt(0)
	v_dot4c_i32_i8_e32 v53, v30, v25
	v_dot4c_i32_i8_e32 v53, v31, v26
	;; [unrolled: 1-line block ×5, first 2 shown]
	v_mul_f32_e32 v12, 0x3e800000, v12
	s_nop 0
	v_cvt_f32_i32_e32 v9, v53
	v_cvt_f32_i32_e32 v8, v56
	v_pk_mul_f32 v[8:9], v[10:11], v[8:9]
	s_nop 0
	v_add_f32_e32 v8, v8, v9
	v_fmac_f32_e32 v18, v12, v8
	s_andn2_b64 exec, exec, s[10:11]
	s_cbranch_execnz .LBB74_3
; %bb.4:
	s_or_b64 exec, exec, s[10:11]
.LBB74_5:
	s_or_b64 exec, exec, s[8:9]
	v_mbcnt_lo_u32_b32 v0, -1, 0
	v_mbcnt_hi_u32_b32 v1, -1, v0
	v_and_b32_e32 v0, 64, v1
	v_add_u32_e32 v2, 64, v0
	v_xor_b32_e32 v0, 32, v1
	v_cmp_lt_i32_e32 vcc, v0, v2
	v_xor_b32_e32 v3, 16, v1
	v_xor_b32_e32 v4, 8, v1
	v_cndmask_b32_e32 v0, v1, v0, vcc
	v_lshlrev_b32_e32 v0, 2, v0
	ds_bpermute_b32 v0, v0, v18
	v_cmp_lt_i32_e32 vcc, v3, v2
	s_waitcnt lgkmcnt(0)
	v_add_f32_e32 v0, v18, v0
	v_cndmask_b32_e32 v3, v1, v3, vcc
	v_lshlrev_b32_e32 v3, 2, v3
	ds_bpermute_b32 v3, v3, v0
	v_cmp_lt_i32_e32 vcc, v4, v2
	s_waitcnt lgkmcnt(0)
	v_add_f32_e32 v0, v0, v3
	v_cndmask_b32_e32 v3, v1, v4, vcc
	v_lshlrev_b32_e32 v3, 2, v3
	ds_bpermute_b32 v3, v3, v0
	v_xor_b32_e32 v4, 4, v1
	v_cmp_lt_i32_e32 vcc, v4, v2
	s_waitcnt lgkmcnt(0)
	v_add_f32_e32 v0, v0, v3
	v_cndmask_b32_e32 v3, v1, v4, vcc
	v_lshlrev_b32_e32 v3, 2, v3
	ds_bpermute_b32 v3, v3, v0
	v_xor_b32_e32 v4, 2, v1
	v_cmp_lt_i32_e32 vcc, v4, v2
	s_waitcnt lgkmcnt(0)
	v_add_f32_e32 v0, v0, v3
	v_cndmask_b32_e32 v3, v1, v4, vcc
	v_lshlrev_b32_e32 v3, 2, v3
	ds_bpermute_b32 v3, v3, v0
	v_xor_b32_e32 v4, 1, v1
	v_cmp_lt_i32_e32 vcc, v4, v2
	s_waitcnt lgkmcnt(0)
	v_add_f32_e32 v0, v0, v3
	v_cndmask_b32_e32 v1, v1, v4, vcc
	v_lshlrev_b32_e32 v1, 2, v1
	ds_bpermute_b32 v1, v1, v0
	v_cmp_eq_u32_e32 vcc, 0, v15
	s_and_b64 exec, exec, vcc
	s_cbranch_execz .LBB74_7
; %bb.6:
	s_mul_i32 s0, s5, s3
	s_waitcnt lgkmcnt(0)
	v_add_f32_e32 v2, v0, v1
	v_add_u32_e32 v0, s0, v14
	v_mov_b32_e32 v1, 0
	v_lshl_add_u64 v[0:1], v[0:1], 2, s[6:7]
	global_store_dword v[0:1], v2, off
.LBB74_7:
	s_endpgm
	.section	.rodata,"a",@progbits
	.p2align	6, 0x0
	.amdhsa_kernel _ZL13mul_mat_vec_qIfLi256ELi8E11block_iq2_sLi1EXadL_ZL18vec_dot_iq2_s_q8_1PKvPK10block_q8_1RKiEEEvS2_S2_PT_iii
		.amdhsa_group_segment_fixed_size 0
		.amdhsa_private_segment_fixed_size 0
		.amdhsa_kernarg_size 296
		.amdhsa_user_sgpr_count 2
		.amdhsa_user_sgpr_dispatch_ptr 0
		.amdhsa_user_sgpr_queue_ptr 0
		.amdhsa_user_sgpr_kernarg_segment_ptr 1
		.amdhsa_user_sgpr_dispatch_id 0
		.amdhsa_user_sgpr_kernarg_preload_length 0
		.amdhsa_user_sgpr_kernarg_preload_offset 0
		.amdhsa_user_sgpr_private_segment_size 0
		.amdhsa_uses_dynamic_stack 0
		.amdhsa_enable_private_segment 0
		.amdhsa_system_sgpr_workgroup_id_x 1
		.amdhsa_system_sgpr_workgroup_id_y 1
		.amdhsa_system_sgpr_workgroup_id_z 0
		.amdhsa_system_sgpr_workgroup_info 0
		.amdhsa_system_vgpr_workitem_id 1
		.amdhsa_next_free_vgpr 64
		.amdhsa_next_free_sgpr 22
		.amdhsa_accum_offset 64
		.amdhsa_reserve_vcc 1
		.amdhsa_float_round_mode_32 0
		.amdhsa_float_round_mode_16_64 0
		.amdhsa_float_denorm_mode_32 3
		.amdhsa_float_denorm_mode_16_64 3
		.amdhsa_dx10_clamp 1
		.amdhsa_ieee_mode 1
		.amdhsa_fp16_overflow 0
		.amdhsa_tg_split 0
		.amdhsa_exception_fp_ieee_invalid_op 0
		.amdhsa_exception_fp_denorm_src 0
		.amdhsa_exception_fp_ieee_div_zero 0
		.amdhsa_exception_fp_ieee_overflow 0
		.amdhsa_exception_fp_ieee_underflow 0
		.amdhsa_exception_fp_ieee_inexact 0
		.amdhsa_exception_int_div_zero 0
	.end_amdhsa_kernel
	.section	.text._ZL13mul_mat_vec_qIfLi256ELi8E11block_iq2_sLi1EXadL_ZL18vec_dot_iq2_s_q8_1PKvPK10block_q8_1RKiEEEvS2_S2_PT_iii,"axG",@progbits,_ZL13mul_mat_vec_qIfLi256ELi8E11block_iq2_sLi1EXadL_ZL18vec_dot_iq2_s_q8_1PKvPK10block_q8_1RKiEEEvS2_S2_PT_iii,comdat
.Lfunc_end74:
	.size	_ZL13mul_mat_vec_qIfLi256ELi8E11block_iq2_sLi1EXadL_ZL18vec_dot_iq2_s_q8_1PKvPK10block_q8_1RKiEEEvS2_S2_PT_iii, .Lfunc_end74-_ZL13mul_mat_vec_qIfLi256ELi8E11block_iq2_sLi1EXadL_ZL18vec_dot_iq2_s_q8_1PKvPK10block_q8_1RKiEEEvS2_S2_PT_iii
                                        ; -- End function
	.set _ZL13mul_mat_vec_qIfLi256ELi8E11block_iq2_sLi1EXadL_ZL18vec_dot_iq2_s_q8_1PKvPK10block_q8_1RKiEEEvS2_S2_PT_iii.num_vgpr, 64
	.set _ZL13mul_mat_vec_qIfLi256ELi8E11block_iq2_sLi1EXadL_ZL18vec_dot_iq2_s_q8_1PKvPK10block_q8_1RKiEEEvS2_S2_PT_iii.num_agpr, 0
	.set _ZL13mul_mat_vec_qIfLi256ELi8E11block_iq2_sLi1EXadL_ZL18vec_dot_iq2_s_q8_1PKvPK10block_q8_1RKiEEEvS2_S2_PT_iii.numbered_sgpr, 22
	.set _ZL13mul_mat_vec_qIfLi256ELi8E11block_iq2_sLi1EXadL_ZL18vec_dot_iq2_s_q8_1PKvPK10block_q8_1RKiEEEvS2_S2_PT_iii.num_named_barrier, 0
	.set _ZL13mul_mat_vec_qIfLi256ELi8E11block_iq2_sLi1EXadL_ZL18vec_dot_iq2_s_q8_1PKvPK10block_q8_1RKiEEEvS2_S2_PT_iii.private_seg_size, 0
	.set _ZL13mul_mat_vec_qIfLi256ELi8E11block_iq2_sLi1EXadL_ZL18vec_dot_iq2_s_q8_1PKvPK10block_q8_1RKiEEEvS2_S2_PT_iii.uses_vcc, 1
	.set _ZL13mul_mat_vec_qIfLi256ELi8E11block_iq2_sLi1EXadL_ZL18vec_dot_iq2_s_q8_1PKvPK10block_q8_1RKiEEEvS2_S2_PT_iii.uses_flat_scratch, 0
	.set _ZL13mul_mat_vec_qIfLi256ELi8E11block_iq2_sLi1EXadL_ZL18vec_dot_iq2_s_q8_1PKvPK10block_q8_1RKiEEEvS2_S2_PT_iii.has_dyn_sized_stack, 0
	.set _ZL13mul_mat_vec_qIfLi256ELi8E11block_iq2_sLi1EXadL_ZL18vec_dot_iq2_s_q8_1PKvPK10block_q8_1RKiEEEvS2_S2_PT_iii.has_recursion, 0
	.set _ZL13mul_mat_vec_qIfLi256ELi8E11block_iq2_sLi1EXadL_ZL18vec_dot_iq2_s_q8_1PKvPK10block_q8_1RKiEEEvS2_S2_PT_iii.has_indirect_call, 0
	.section	.AMDGPU.csdata,"",@progbits
; Kernel info:
; codeLenInByte = 2240
; TotalNumSgprs: 28
; NumVgprs: 64
; NumAgprs: 0
; TotalNumVgprs: 64
; ScratchSize: 0
; MemoryBound: 0
; FloatMode: 240
; IeeeMode: 1
; LDSByteSize: 0 bytes/workgroup (compile time only)
; SGPRBlocks: 3
; VGPRBlocks: 7
; NumSGPRsForWavesPerEU: 28
; NumVGPRsForWavesPerEU: 64
; AccumOffset: 64
; Occupancy: 8
; WaveLimiterHint : 0
; COMPUTE_PGM_RSRC2:SCRATCH_EN: 0
; COMPUTE_PGM_RSRC2:USER_SGPR: 2
; COMPUTE_PGM_RSRC2:TRAP_HANDLER: 0
; COMPUTE_PGM_RSRC2:TGID_X_EN: 1
; COMPUTE_PGM_RSRC2:TGID_Y_EN: 1
; COMPUTE_PGM_RSRC2:TGID_Z_EN: 0
; COMPUTE_PGM_RSRC2:TIDIG_COMP_CNT: 1
; COMPUTE_PGM_RSRC3_GFX90A:ACCUM_OFFSET: 15
; COMPUTE_PGM_RSRC3_GFX90A:TG_SPLIT: 0
	.section	.text._ZL13mul_mat_vec_qIfLi256ELi8E12block_iq4_xsLi1EXadL_ZL19vec_dot_iq4_xs_q8_1PKvPK10block_q8_1RKiEEEvS2_S2_PT_iii,"axG",@progbits,_ZL13mul_mat_vec_qIfLi256ELi8E12block_iq4_xsLi1EXadL_ZL19vec_dot_iq4_xs_q8_1PKvPK10block_q8_1RKiEEEvS2_S2_PT_iii,comdat
	.globl	_ZL13mul_mat_vec_qIfLi256ELi8E12block_iq4_xsLi1EXadL_ZL19vec_dot_iq4_xs_q8_1PKvPK10block_q8_1RKiEEEvS2_S2_PT_iii ; -- Begin function _ZL13mul_mat_vec_qIfLi256ELi8E12block_iq4_xsLi1EXadL_ZL19vec_dot_iq4_xs_q8_1PKvPK10block_q8_1RKiEEEvS2_S2_PT_iii
	.p2align	8
	.type	_ZL13mul_mat_vec_qIfLi256ELi8E12block_iq4_xsLi1EXadL_ZL19vec_dot_iq4_xs_q8_1PKvPK10block_q8_1RKiEEEvS2_S2_PT_iii,@function
_ZL13mul_mat_vec_qIfLi256ELi8E12block_iq4_xsLi1EXadL_ZL19vec_dot_iq4_xs_q8_1PKvPK10block_q8_1RKiEEEvS2_S2_PT_iii: ; @_ZL13mul_mat_vec_qIfLi256ELi8E12block_iq4_xsLi1EXadL_ZL19vec_dot_iq4_xs_q8_1PKvPK10block_q8_1RKiEEEvS2_S2_PT_iii
; %bb.0:
	s_load_dword s8, s[0:1], 0x34
	s_load_dwordx4 s[4:7], s[0:1], 0x18
	v_bfe_u32 v1, v0, 10, 10
	s_waitcnt lgkmcnt(0)
	s_lshr_b32 s7, s8, 16
	s_mul_i32 s2, s2, s7
	v_add_u32_e32 v18, s2, v1
	s_cmp_lt_u32 s3, s6
	v_cmp_gt_u32_e32 vcc, s5, v18
	s_cselect_b64 s[6:7], -1, 0
	s_and_b64 s[6:7], s[6:7], vcc
	s_and_saveexec_b64 s[8:9], s[6:7]
	s_cbranch_execz .LBB75_7
; %bb.1:
	s_load_dwordx2 s[6:7], s[0:1], 0x10
	s_ashr_i32 s2, s4, 31
	s_lshr_b32 s2, s2, 24
	s_add_i32 s2, s4, s2
	s_ashr_i32 s2, s2, 8
	v_bfe_u32 v20, v0, 3, 7
	v_and_b32_e32 v19, 0x3ff, v0
	v_cmp_gt_u32_e32 vcc, s2, v20
	v_mov_b32_e32 v21, 0
	s_and_saveexec_b64 s[8:9], vcc
	s_cbranch_execz .LBB75_5
; %bb.2:
	s_load_dwordx4 s[12:15], s[0:1], 0x0
	s_add_i32 s0, s4, 0x1ff
	s_ashr_i32 s1, s0, 31
	s_lshr_b32 s1, s1, 23
	s_add_i32 s0, s0, s1
	s_ashr_i32 s0, s0, 9
	v_and_b32_e32 v1, 7, v19
	s_mul_i32 s4, s3, s0
	s_waitcnt lgkmcnt(0)
	v_mad_u64_u32 v[8:9], s[0:1], v1, 36, s[14:15]
	v_lshlrev_b32_e32 v0, 2, v1
	v_mov_b32_e32 v11, 0
	v_lshlrev_b32_e32 v2, 2, v19
	v_lshlrev_b32_e32 v24, 1, v1
	;; [unrolled: 1-line block ×3, first 2 shown]
	v_mul_lo_u32 v22, v18, s2
	v_bfe_u32 v10, v19, 1, 2
	v_and_b32_e32 v23, 4, v2
	v_lshl_add_u32 v25, s4, 4, v1
	s_mov_b64 s[0:1], 0
	s_movk_i32 s4, 0x88
	v_mov_b64_e32 v[12:13], s[12:13]
	v_lshlrev_b32_e32 v14, 2, v0
	v_mov_b32_e32 v15, v11
	v_mov_b32_e32 v21, v11
.LBB75_3:                               ; =>This Inner Loop Header: Depth=1
	v_add_u32_e32 v0, v22, v20
	v_mad_i64_i32 v[26:27], s[12:13], v0, s4, v[12:13]
	v_lshl_add_u64 v[28:29], v[26:27], 0, v[14:15]
	v_mad_i64_i32 v[16:17], s[10:11], v25, 36, v[8:9]
	v_lshl_add_u64 v[30:31], v[26:27], 0, v[10:11]
	global_load_dwordx4 v[4:7], v[28:29], off offset:8
	global_load_ubyte v32, v[30:31], off offset:4
	global_load_dwordx4 v[0:3], v[16:17], off
	s_getpc_b64 s[10:11]
	s_add_u32 s10, s10, _ZL13kvalues_iq4nl@rel32@lo+4
	s_addc_u32 s11, s11, _ZL13kvalues_iq4nl@rel32@hi+12
	v_add_u32_e32 v20, 8, v20
	v_cmp_le_u32_e32 vcc, s2, v20
	v_add_u32_e32 v25, 64, v25
	s_or_b64 s[0:1], vcc, s[0:1]
	s_waitcnt vmcnt(2)
	v_bfe_u32 v28, v4, 24, 4
	v_and_b32_e32 v29, 15, v4
	v_bfe_u32 v30, v4, 8, 4
	v_bfe_u32 v31, v4, 16, 4
	v_bfe_u32 v33, v4, 20, 4
	v_lshrrev_b32_e32 v34, 28, v4
	v_bfe_u32 v35, v4, 4, 4
	v_bfe_u32 v36, v4, 12, 4
	v_bfe_u32 v37, v5, 24, 4
	v_and_b32_e32 v38, 15, v5
	v_bfe_u32 v39, v5, 8, 4
	v_bfe_u32 v40, v5, 16, 4
	v_bfe_u32 v41, v5, 20, 4
	v_lshrrev_b32_e32 v42, 28, v5
	v_bfe_u32 v43, v5, 4, 4
	v_bfe_u32 v44, v5, 12, 4
	v_bfe_u32 v45, v6, 24, 4
	v_and_b32_e32 v46, 15, v6
	v_bfe_u32 v47, v6, 8, 4
	v_bfe_u32 v48, v6, 16, 4
	v_bfe_u32 v49, v6, 20, 4
	v_lshrrev_b32_e32 v50, 28, v6
	v_bfe_u32 v51, v6, 4, 4
	v_bfe_u32 v52, v6, 12, 4
	v_bfe_u32 v53, v7, 24, 4
	v_bfe_u32 v55, v7, 8, 4
	;; [unrolled: 1-line block ×4, first 2 shown]
	v_lshrrev_b32_e32 v58, 28, v7
	v_and_b32_e32 v54, 15, v7
	v_bfe_u32 v59, v7, 4, 4
	v_bfe_u32 v60, v7, 12, 4
	global_load_dwordx4 v[4:7], v[16:17], off offset:16
	global_load_dword v61, v[26:27], off
	global_load_ubyte v62, v29, s[10:11]
	global_load_ubyte v63, v30, s[10:11]
                                        ; kill: killed $vgpr26_vgpr27
                                        ; kill: killed $vgpr29
                                        ; kill: killed $vgpr30
	s_nop 0
	global_load_ubyte v26, v31, s[10:11]
	global_load_ubyte v27, v35, s[10:11]
	global_load_ubyte v29, v36, s[10:11]
	global_load_ubyte v30, v33, s[10:11]
                                        ; kill: killed $vgpr33
                                        ; kill: killed $vgpr36
                                        ; kill: killed $vgpr31
                                        ; kill: killed $vgpr35
	s_nop 0
	global_load_ubyte v31, v34, s[10:11]
	global_load_ubyte v33, v28, s[10:11]
	;; [unrolled: 1-line block ×4, first 2 shown]
                                        ; kill: killed $vgpr34
                                        ; kill: killed $vgpr39
                                        ; kill: killed $vgpr38
                                        ; kill: killed $vgpr28
	s_nop 0
	global_load_ubyte v28, v40, s[10:11]
	global_load_ubyte v34, v43, s[10:11]
	global_load_ubyte v38, v44, s[10:11]
	global_load_ubyte v39, v41, s[10:11]
                                        ; kill: killed $vgpr41
                                        ; kill: killed $vgpr40
                                        ; kill: killed $vgpr44
                                        ; kill: killed $vgpr43
	s_nop 0
	global_load_ubyte v40, v42, s[10:11]
	global_load_ubyte v41, v37, s[10:11]
	;; [unrolled: 1-line block ×4, first 2 shown]
                                        ; kill: killed $vgpr37
                                        ; kill: killed $vgpr47
                                        ; kill: killed $vgpr46
                                        ; kill: killed $vgpr42
	s_nop 0
	global_load_ubyte v37, v48, s[10:11]
	global_load_ubyte v42, v51, s[10:11]
	;; [unrolled: 1-line block ×4, first 2 shown]
                                        ; kill: killed $vgpr49
                                        ; kill: killed $vgpr48
                                        ; kill: killed $vgpr52
                                        ; kill: killed $vgpr51
	s_nop 0
	global_load_ubyte v48, v50, s[10:11]
	global_load_ubyte v49, v45, s[10:11]
	;; [unrolled: 1-line block ×4, first 2 shown]
                                        ; kill: killed $vgpr45
                                        ; kill: killed $vgpr56
                                        ; kill: killed $vgpr55
                                        ; kill: killed $vgpr50
	s_nop 0
	global_load_ubyte v45, v60, s[10:11]
	global_load_ubyte v50, v57, s[10:11]
	;; [unrolled: 1-line block ×4, first 2 shown]
                                        ; kill: killed $vgpr53
                                        ; kill: killed $vgpr57
                                        ; kill: killed $vgpr58
                                        ; kill: killed $vgpr60
	s_nop 0
	global_load_ubyte v53, v54, s[10:11]
	global_load_ubyte v57, v59, s[10:11]
	global_load_dword v58, v[16:17], off offset:32
	v_mov_b32_e32 v16, 0
	v_mov_b32_e32 v17, 0
	s_waitcnt vmcnt(36)
	v_bfe_u32 v32, v32, v23, 4
	s_waitcnt vmcnt(35)
	v_cvt_f32_f16_e32 v0, v0
	s_waitcnt vmcnt(33)
	v_lshrrev_b32_sdwa v54, v24, v61 dst_sel:DWORD dst_unused:UNUSED_PAD src0_sel:DWORD src1_sel:WORD_1
	v_lshlrev_b32_e32 v54, 4, v54
	s_waitcnt vmcnt(31)
	v_lshl_or_b32 v59, v63, 8, v62
	v_and_or_b32 v32, v54, 48, v32
	v_subrev_u32_e32 v32, 32, v32
	v_cvt_f32_f16_e32 v54, v61
	s_waitcnt vmcnt(30)
	v_lshlrev_b32_e32 v26, 16, v26
	v_cvt_f32_i32_e32 v32, v32
	s_waitcnt vmcnt(28)
	v_lshl_or_b32 v27, v29, 8, v27
	s_waitcnt vmcnt(27)
	v_lshlrev_b32_e32 v30, 16, v30
	s_waitcnt vmcnt(26)
	v_lshlrev_b32_e32 v31, 24, v31
	;; [unrolled: 2-line block ×3, first 2 shown]
	v_or3_b32 v26, v59, v26, v33
	s_waitcnt vmcnt(23)
	v_lshl_or_b32 v35, v36, 8, v35
	v_or3_b32 v27, v27, v30, v31
	v_dot4c_i32_i8_e32 v16, v26, v1
	v_dot4c_i32_i8_e32 v17, v27, v5
	s_waitcnt vmcnt(22)
	v_lshlrev_b32_e32 v28, 16, v28
	s_waitcnt vmcnt(20)
	v_lshl_or_b32 v34, v38, 8, v34
	s_waitcnt vmcnt(19)
	v_lshlrev_b32_e32 v39, 16, v39
	s_waitcnt vmcnt(18)
	v_lshlrev_b32_e32 v36, 24, v40
	;; [unrolled: 2-line block ×3, first 2 shown]
	v_or3_b32 v28, v35, v28, v29
	s_waitcnt vmcnt(15)
	v_lshl_or_b32 v40, v44, 8, v43
	v_or3_b32 v29, v34, v39, v36
	v_dot4c_i32_i8_e32 v16, v28, v2
	v_dot4c_i32_i8_e32 v17, v29, v6
	v_mul_f32_e32 v2, v54, v32
	s_waitcnt vmcnt(14)
	v_lshlrev_b32_e32 v37, 16, v37
	v_mul_f32_e32 v0, v2, v0
	s_waitcnt vmcnt(12)
	v_lshl_or_b32 v42, v46, 8, v42
	s_waitcnt vmcnt(11)
	v_lshlrev_b32_e32 v43, 16, v47
	s_waitcnt vmcnt(10)
	v_lshlrev_b32_e32 v41, 24, v48
	;; [unrolled: 2-line block ×3, first 2 shown]
	v_or3_b32 v30, v40, v37, v38
	s_waitcnt vmcnt(7)
	v_lshlrev_b32_e32 v46, 16, v52
	v_or3_b32 v31, v42, v43, v41
	v_dot4c_i32_i8_e32 v16, v30, v3
	v_dot4c_i32_i8_e32 v17, v31, v7
	s_waitcnt vmcnt(5)
	v_lshlrev_b32_e32 v49, 16, v50
	s_waitcnt vmcnt(4)
	v_lshlrev_b32_e32 v48, 24, v55
	;; [unrolled: 2-line block ×3, first 2 shown]
	s_waitcnt vmcnt(2)
	v_lshl_or_b32 v47, v51, 8, v53
	s_waitcnt vmcnt(1)
	v_lshl_or_b32 v45, v45, 8, v57
	v_or3_b32 v33, v47, v46, v44
	v_or3_b32 v34, v45, v49, v48
	v_dot4c_i32_i8_e32 v16, v33, v4
	s_waitcnt vmcnt(0)
	v_dot4c_i32_i8_e32 v17, v34, v58
	s_nop 2
	v_add_u32_e32 v1, v17, v16
	v_cvt_f32_i32_e32 v1, v1
	v_fmac_f32_e32 v21, v0, v1
	s_andn2_b64 exec, exec, s[0:1]
	s_cbranch_execnz .LBB75_3
; %bb.4:
	s_or_b64 exec, exec, s[0:1]
.LBB75_5:
	s_or_b64 exec, exec, s[8:9]
	v_mbcnt_lo_u32_b32 v0, -1, 0
	v_mbcnt_hi_u32_b32 v1, -1, v0
	v_and_b32_e32 v0, 64, v1
	v_add_u32_e32 v2, 64, v0
	v_xor_b32_e32 v0, 32, v1
	v_cmp_lt_i32_e32 vcc, v0, v2
	v_xor_b32_e32 v3, 16, v1
	v_xor_b32_e32 v4, 8, v1
	v_cndmask_b32_e32 v0, v1, v0, vcc
	v_lshlrev_b32_e32 v0, 2, v0
	ds_bpermute_b32 v0, v0, v21
	v_cmp_lt_i32_e32 vcc, v3, v2
	s_waitcnt lgkmcnt(0)
	v_add_f32_e32 v0, v21, v0
	v_cndmask_b32_e32 v3, v1, v3, vcc
	v_lshlrev_b32_e32 v3, 2, v3
	ds_bpermute_b32 v3, v3, v0
	v_cmp_lt_i32_e32 vcc, v4, v2
	s_waitcnt lgkmcnt(0)
	v_add_f32_e32 v0, v0, v3
	v_cndmask_b32_e32 v3, v1, v4, vcc
	v_lshlrev_b32_e32 v3, 2, v3
	ds_bpermute_b32 v3, v3, v0
	v_xor_b32_e32 v4, 4, v1
	v_cmp_lt_i32_e32 vcc, v4, v2
	s_waitcnt lgkmcnt(0)
	v_add_f32_e32 v0, v0, v3
	v_cndmask_b32_e32 v3, v1, v4, vcc
	v_lshlrev_b32_e32 v3, 2, v3
	ds_bpermute_b32 v3, v3, v0
	v_xor_b32_e32 v4, 2, v1
	;; [unrolled: 7-line block ×3, first 2 shown]
	v_cmp_lt_i32_e32 vcc, v4, v2
	s_waitcnt lgkmcnt(0)
	v_add_f32_e32 v0, v0, v3
	v_cndmask_b32_e32 v1, v1, v4, vcc
	v_lshlrev_b32_e32 v1, 2, v1
	ds_bpermute_b32 v1, v1, v0
	v_cmp_eq_u32_e32 vcc, 0, v19
	s_and_b64 exec, exec, vcc
	s_cbranch_execz .LBB75_7
; %bb.6:
	s_mul_i32 s0, s5, s3
	s_waitcnt lgkmcnt(0)
	v_add_f32_e32 v2, v0, v1
	v_add_u32_e32 v0, s0, v18
	v_mov_b32_e32 v1, 0
	v_lshl_add_u64 v[0:1], v[0:1], 2, s[6:7]
	global_store_dword v[0:1], v2, off
.LBB75_7:
	s_endpgm
	.section	.rodata,"a",@progbits
	.p2align	6, 0x0
	.amdhsa_kernel _ZL13mul_mat_vec_qIfLi256ELi8E12block_iq4_xsLi1EXadL_ZL19vec_dot_iq4_xs_q8_1PKvPK10block_q8_1RKiEEEvS2_S2_PT_iii
		.amdhsa_group_segment_fixed_size 0
		.amdhsa_private_segment_fixed_size 0
		.amdhsa_kernarg_size 296
		.amdhsa_user_sgpr_count 2
		.amdhsa_user_sgpr_dispatch_ptr 0
		.amdhsa_user_sgpr_queue_ptr 0
		.amdhsa_user_sgpr_kernarg_segment_ptr 1
		.amdhsa_user_sgpr_dispatch_id 0
		.amdhsa_user_sgpr_kernarg_preload_length 0
		.amdhsa_user_sgpr_kernarg_preload_offset 0
		.amdhsa_user_sgpr_private_segment_size 0
		.amdhsa_uses_dynamic_stack 0
		.amdhsa_enable_private_segment 0
		.amdhsa_system_sgpr_workgroup_id_x 1
		.amdhsa_system_sgpr_workgroup_id_y 1
		.amdhsa_system_sgpr_workgroup_id_z 0
		.amdhsa_system_sgpr_workgroup_info 0
		.amdhsa_system_vgpr_workitem_id 1
		.amdhsa_next_free_vgpr 64
		.amdhsa_next_free_sgpr 16
		.amdhsa_accum_offset 64
		.amdhsa_reserve_vcc 1
		.amdhsa_float_round_mode_32 0
		.amdhsa_float_round_mode_16_64 0
		.amdhsa_float_denorm_mode_32 3
		.amdhsa_float_denorm_mode_16_64 3
		.amdhsa_dx10_clamp 1
		.amdhsa_ieee_mode 1
		.amdhsa_fp16_overflow 0
		.amdhsa_tg_split 0
		.amdhsa_exception_fp_ieee_invalid_op 0
		.amdhsa_exception_fp_denorm_src 0
		.amdhsa_exception_fp_ieee_div_zero 0
		.amdhsa_exception_fp_ieee_overflow 0
		.amdhsa_exception_fp_ieee_underflow 0
		.amdhsa_exception_fp_ieee_inexact 0
		.amdhsa_exception_int_div_zero 0
	.end_amdhsa_kernel
	.section	.text._ZL13mul_mat_vec_qIfLi256ELi8E12block_iq4_xsLi1EXadL_ZL19vec_dot_iq4_xs_q8_1PKvPK10block_q8_1RKiEEEvS2_S2_PT_iii,"axG",@progbits,_ZL13mul_mat_vec_qIfLi256ELi8E12block_iq4_xsLi1EXadL_ZL19vec_dot_iq4_xs_q8_1PKvPK10block_q8_1RKiEEEvS2_S2_PT_iii,comdat
.Lfunc_end75:
	.size	_ZL13mul_mat_vec_qIfLi256ELi8E12block_iq4_xsLi1EXadL_ZL19vec_dot_iq4_xs_q8_1PKvPK10block_q8_1RKiEEEvS2_S2_PT_iii, .Lfunc_end75-_ZL13mul_mat_vec_qIfLi256ELi8E12block_iq4_xsLi1EXadL_ZL19vec_dot_iq4_xs_q8_1PKvPK10block_q8_1RKiEEEvS2_S2_PT_iii
                                        ; -- End function
	.set _ZL13mul_mat_vec_qIfLi256ELi8E12block_iq4_xsLi1EXadL_ZL19vec_dot_iq4_xs_q8_1PKvPK10block_q8_1RKiEEEvS2_S2_PT_iii.num_vgpr, 64
	.set _ZL13mul_mat_vec_qIfLi256ELi8E12block_iq4_xsLi1EXadL_ZL19vec_dot_iq4_xs_q8_1PKvPK10block_q8_1RKiEEEvS2_S2_PT_iii.num_agpr, 0
	.set _ZL13mul_mat_vec_qIfLi256ELi8E12block_iq4_xsLi1EXadL_ZL19vec_dot_iq4_xs_q8_1PKvPK10block_q8_1RKiEEEvS2_S2_PT_iii.numbered_sgpr, 16
	.set _ZL13mul_mat_vec_qIfLi256ELi8E12block_iq4_xsLi1EXadL_ZL19vec_dot_iq4_xs_q8_1PKvPK10block_q8_1RKiEEEvS2_S2_PT_iii.num_named_barrier, 0
	.set _ZL13mul_mat_vec_qIfLi256ELi8E12block_iq4_xsLi1EXadL_ZL19vec_dot_iq4_xs_q8_1PKvPK10block_q8_1RKiEEEvS2_S2_PT_iii.private_seg_size, 0
	.set _ZL13mul_mat_vec_qIfLi256ELi8E12block_iq4_xsLi1EXadL_ZL19vec_dot_iq4_xs_q8_1PKvPK10block_q8_1RKiEEEvS2_S2_PT_iii.uses_vcc, 1
	.set _ZL13mul_mat_vec_qIfLi256ELi8E12block_iq4_xsLi1EXadL_ZL19vec_dot_iq4_xs_q8_1PKvPK10block_q8_1RKiEEEvS2_S2_PT_iii.uses_flat_scratch, 0
	.set _ZL13mul_mat_vec_qIfLi256ELi8E12block_iq4_xsLi1EXadL_ZL19vec_dot_iq4_xs_q8_1PKvPK10block_q8_1RKiEEEvS2_S2_PT_iii.has_dyn_sized_stack, 0
	.set _ZL13mul_mat_vec_qIfLi256ELi8E12block_iq4_xsLi1EXadL_ZL19vec_dot_iq4_xs_q8_1PKvPK10block_q8_1RKiEEEvS2_S2_PT_iii.has_recursion, 0
	.set _ZL13mul_mat_vec_qIfLi256ELi8E12block_iq4_xsLi1EXadL_ZL19vec_dot_iq4_xs_q8_1PKvPK10block_q8_1RKiEEEvS2_S2_PT_iii.has_indirect_call, 0
	.section	.AMDGPU.csdata,"",@progbits
; Kernel info:
; codeLenInByte = 1568
; TotalNumSgprs: 22
; NumVgprs: 64
; NumAgprs: 0
; TotalNumVgprs: 64
; ScratchSize: 0
; MemoryBound: 0
; FloatMode: 240
; IeeeMode: 1
; LDSByteSize: 0 bytes/workgroup (compile time only)
; SGPRBlocks: 2
; VGPRBlocks: 7
; NumSGPRsForWavesPerEU: 22
; NumVGPRsForWavesPerEU: 64
; AccumOffset: 64
; Occupancy: 8
; WaveLimiterHint : 0
; COMPUTE_PGM_RSRC2:SCRATCH_EN: 0
; COMPUTE_PGM_RSRC2:USER_SGPR: 2
; COMPUTE_PGM_RSRC2:TRAP_HANDLER: 0
; COMPUTE_PGM_RSRC2:TGID_X_EN: 1
; COMPUTE_PGM_RSRC2:TGID_Y_EN: 1
; COMPUTE_PGM_RSRC2:TGID_Z_EN: 0
; COMPUTE_PGM_RSRC2:TIDIG_COMP_CNT: 1
; COMPUTE_PGM_RSRC3_GFX90A:ACCUM_OFFSET: 15
; COMPUTE_PGM_RSRC3_GFX90A:TG_SPLIT: 0
	.section	.text._ZL13mul_mat_vec_qIfLi256ELi8E11block_iq1_mLi1EXadL_ZL18vec_dot_iq1_m_q8_1PKvPK10block_q8_1RKiEEEvS2_S2_PT_iii,"axG",@progbits,_ZL13mul_mat_vec_qIfLi256ELi8E11block_iq1_mLi1EXadL_ZL18vec_dot_iq1_m_q8_1PKvPK10block_q8_1RKiEEEvS2_S2_PT_iii,comdat
	.globl	_ZL13mul_mat_vec_qIfLi256ELi8E11block_iq1_mLi1EXadL_ZL18vec_dot_iq1_m_q8_1PKvPK10block_q8_1RKiEEEvS2_S2_PT_iii ; -- Begin function _ZL13mul_mat_vec_qIfLi256ELi8E11block_iq1_mLi1EXadL_ZL18vec_dot_iq1_m_q8_1PKvPK10block_q8_1RKiEEEvS2_S2_PT_iii
	.p2align	8
	.type	_ZL13mul_mat_vec_qIfLi256ELi8E11block_iq1_mLi1EXadL_ZL18vec_dot_iq1_m_q8_1PKvPK10block_q8_1RKiEEEvS2_S2_PT_iii,@function
_ZL13mul_mat_vec_qIfLi256ELi8E11block_iq1_mLi1EXadL_ZL18vec_dot_iq1_m_q8_1PKvPK10block_q8_1RKiEEEvS2_S2_PT_iii: ; @_ZL13mul_mat_vec_qIfLi256ELi8E11block_iq1_mLi1EXadL_ZL18vec_dot_iq1_m_q8_1PKvPK10block_q8_1RKiEEEvS2_S2_PT_iii
; %bb.0:
	s_load_dword s8, s[0:1], 0x34
	s_load_dwordx4 s[4:7], s[0:1], 0x18
	v_bfe_u32 v1, v0, 10, 10
	s_waitcnt lgkmcnt(0)
	s_lshr_b32 s7, s8, 16
	s_mul_i32 s2, s2, s7
	v_add_u32_e32 v18, s2, v1
	s_cmp_lt_u32 s3, s6
	v_cmp_gt_u32_e32 vcc, s5, v18
	s_cselect_b64 s[6:7], -1, 0
	s_and_b64 s[6:7], s[6:7], vcc
	s_and_saveexec_b64 s[8:9], s[6:7]
	s_cbranch_execz .LBB76_7
; %bb.1:
	s_load_dwordx2 s[6:7], s[0:1], 0x10
	s_ashr_i32 s2, s4, 31
	s_lshr_b32 s2, s2, 24
	s_add_i32 s2, s4, s2
	s_ashr_i32 s14, s2, 8
	v_bfe_u32 v20, v0, 3, 7
	v_and_b32_e32 v19, 0x3ff, v0
	v_cmp_gt_u32_e32 vcc, s14, v20
	v_mov_b32_e32 v22, 0
	s_and_saveexec_b64 s[12:13], vcc
	s_cbranch_execz .LBB76_5
; %bb.2:
	s_load_dwordx4 s[8:11], s[0:1], 0x0
	s_add_i32 s0, s4, 0x1ff
	s_ashr_i32 s1, s0, 31
	s_lshr_b32 s1, s1, 23
	s_add_i32 s0, s0, s1
	s_ashr_i32 s0, s0, 9
	v_and_b32_e32 v0, 7, v19
	v_and_b32_e32 v1, 1, v19
	s_mul_i32 s2, s3, s0
	v_mov_b32_e32 v9, 0
	s_waitcnt lgkmcnt(0)
	v_mad_u64_u32 v[10:11], s[0:1], v0, 36, s[10:11]
	v_bfe_u32 v2, v19, 1, 2
	v_cmp_eq_u32_e32 vcc, 1, v1
	v_lshlrev_b32_e32 v1, 3, v20
	s_mov_b32 s10, 0xbf600000
	v_mul_lo_u32 v21, v18, s14
	v_lshlrev_b32_e32 v8, 1, v0
	v_cndmask_b32_e64 v23, 0, 6, vcc
	v_lshl_add_u32 v24, s2, 4, v1
	s_mov_b64 s[0:1], 0
	v_lshlrev_b32_e32 v12, 2, v0
	v_mov_b32_e32 v13, v9
	s_movk_i32 s4, 0x700
	s_mov_b32 s2, 0x3d000000
	v_mov_b64_e32 v[14:15], s[10:11]
	s_mov_b32 s15, 0x8000c
	s_movk_i32 s16, 0xf0
	v_lshlrev_b32_e32 v16, 1, v2
	v_mov_b32_e32 v17, v9
	v_mov_b32_e32 v25, 8
	;; [unrolled: 1-line block ×4, first 2 shown]
.LBB76_3:                               ; =>This Inner Loop Header: Depth=1
	v_add_u32_e32 v0, v21, v20
	v_mad_i64_i32 v[28:29], s[10:11], v0, 56, s[8:9]
	v_lshl_add_u64 v[0:1], v[28:29], 0, v[12:13]
	v_lshl_add_u64 v[2:3], v[28:29], 0, v[8:9]
	global_load_dword v27, v[0:1], off
	global_load_ushort v34, v[2:3], off offset:32
	v_mad_i64_i32 v[30:31], s[10:11], v24, 36, v[10:11]
	global_load_dwordx4 v[0:3], v[30:31], off
	global_load_dwordx4 v[4:7], v[30:31], off offset:16
	global_load_dword v38, v[30:31], off offset:32
	v_lshl_add_u64 v[30:31], v[28:29], 0, v[16:17]
	global_load_dwordx2 v[32:33], v[28:29], off offset:48
	global_load_ushort v35, v[30:31], off offset:48
	s_getpc_b64 s[10:11]
	s_add_u32 s10, s10, _ZL13iq1s_grid_gpu@rel32@lo+4
	s_addc_u32 s11, s11, _ZL13iq1s_grid_gpu@rel32@hi+12
	v_mov_b32_e32 v43, 0
	v_add_u32_e32 v20, 8, v20
	v_cmp_le_u32_e32 vcc, s14, v20
	v_add_u32_e32 v24, 64, v24
	s_or_b64 s[0:1], vcc, s[0:1]
	s_waitcnt vmcnt(6)
	v_and_b32_e32 v29, 0xff, v27
	s_waitcnt vmcnt(5)
	v_lshlrev_b32_e32 v30, 8, v34
	v_lshrrev_b32_e32 v28, 24, v27
	v_bfe_u32 v31, v27, 8, 8
	v_lshlrev_b32_e32 v36, 4, v34
	v_bfe_u32 v27, v27, 16, 8
	v_lshlrev_b32_sdwa v37, v25, v34 dst_sel:DWORD dst_unused:UNUSED_PAD src0_sel:DWORD src1_sel:BYTE_1
	v_lshlrev_b32_sdwa v39, v26, v34 dst_sel:DWORD dst_unused:UNUSED_PAD src0_sel:DWORD src1_sel:BYTE_1
	v_and_or_b32 v29, v30, s4, v29
	v_and_or_b32 v30, v36, s4, v31
	;; [unrolled: 1-line block ×4, first 2 shown]
	v_lshlrev_b32_e32 v29, 3, v29
	v_lshlrev_b32_e32 v30, 3, v30
	;; [unrolled: 1-line block ×4, first 2 shown]
	global_load_dword v39, v29, s[10:11]
	global_load_dword v40, v30, s[10:11]
	;; [unrolled: 1-line block ×4, first 2 shown]
	v_mov_b32_e32 v28, 0
	v_mov_b32_e32 v29, 0
	s_waitcnt vmcnt(8)
	v_dot4c_i32_i8_e32 v28, 0x1010101, v1
	v_dot4c_i32_i8_e32 v29, 0x1010101, v3
	;; [unrolled: 1-line block ×3, first 2 shown]
	s_waitcnt vmcnt(7)
	v_dot4c_i32_i8_e32 v29, 0x1010101, v4
	v_mov_b32_e32 v30, 0
	v_mov_b32_e32 v31, 0
	v_bfe_u32 v36, v34, 4, 4
	v_cvt_f32_i32_e32 v29, v29
	v_cvt_f32_i32_e32 v28, v28
	v_dot4c_i32_i8_e32 v30, 0x1010101, v5
	v_dot4c_i32_i8_e32 v31, 0x1010101, v7
	v_and_b32_sdwa v37, v34, v25 dst_sel:DWORD dst_unused:UNUSED_PAD src0_sel:BYTE_0 src1_sel:DWORD
	s_waitcnt vmcnt(5)
	v_pk_lshrrev_b16 v33, 4, v33
	v_and_b32_e32 v36, 8, v36
	v_dot4c_i32_i8_e32 v30, 0x1010101, v6
	v_dot4c_i32_i8_e32 v31, 0x1010101, v38
	v_pk_lshrrev_b16 v45, s15, v32
	v_cvt_f32_ubyte0_e32 v32, v37
	v_and_b32_e32 v46, 0xf0000f00, v33
	v_cvt_f32_ubyte0_e32 v33, v36
	v_lshrrev_b32_sdwa v44, v26, v34 dst_sel:DWORD dst_unused:UNUSED_PAD src0_sel:DWORD src1_sel:BYTE_1
	v_cvt_f32_i32_e32 v31, v31
	v_cvt_f32_i32_e32 v30, v30
	v_pk_fma_f32 v[32:33], v[32:33], s[2:3], v[14:15] op_sel_hi:[1,0,0] neg_lo:[1,0,0] neg_hi:[1,0,0]
	v_and_b32_sdwa v34, v34, v25 dst_sel:DWORD dst_unused:UNUSED_PAD src0_sel:BYTE_1 src1_sel:DWORD
	s_waitcnt vmcnt(4)
	v_lshrrev_b32_e32 v35, v23, v35
	v_and_b32_e32 v37, 8, v44
	v_pk_mul_f32 v[28:29], v[32:33], v[28:29]
	v_cvt_f32_ubyte0_e32 v34, v34
	v_lshlrev_b32_e32 v47, 1, v35
	v_lshrrev_b32_e32 v48, 2, v35
	v_cvt_f32_ubyte0_e32 v35, v37
	v_add_f32_e32 v28, 0, v28
	v_mov_b32_e32 v27, 0
	v_pk_fma_f32 v[34:35], v[34:35], s[2:3], v[14:15] op_sel_hi:[1,0,0] neg_lo:[1,0,0] neg_hi:[1,0,0]
	v_add_f32_e32 v28, v28, v29
	v_pk_mul_f32 v[30:31], v[34:35], v[30:31]
	v_lshrrev_b32_e32 v44, 16, v45
	v_bitop3_b16 v36, v44, v45, s16 bitop3:0xec
	v_lshrrev_b32_e32 v37, 16, v46
	v_bitop3_b16 v36, v36, v37, v46 bitop3:0xfe
	v_cvt_f32_f16_e32 v0, v0
	v_cvt_f32_f16_e32 v36, v36
	v_and_or_b32 v44, v47, 14, 1
	v_add_f32_e32 v30, 0, v30
	v_and_or_b32 v45, v48, 14, 1
	v_cvt_f32_ubyte0_e32 v37, v44
	v_cvt_f32_ubyte0_e32 v44, v45
	s_waitcnt vmcnt(3)
	v_and_b32_e32 v29, 0xf0f0f0f, v39
	v_lshrrev_b32_e32 v32, 4, v39
	s_waitcnt vmcnt(1)
	v_and_b32_e32 v35, 0xf0f0f0f, v41
	v_lshrrev_b32_e32 v39, 4, v41
	v_and_b32_e32 v32, 0xf0f0f0f, v32
	v_dot4c_i32_i8_e32 v27, v29, v1
	v_and_b32_e32 v33, 0xf0f0f0f, v40
	v_lshrrev_b32_e32 v34, 4, v40
	v_and_b32_e32 v29, 0xf0f0f0f, v39
	v_dot4c_i32_i8_e32 v43, v35, v5
	v_dot4c_i32_i8_e32 v27, v32, v2
	s_waitcnt vmcnt(0)
	v_and_b32_e32 v40, 0xf0f0f0f, v42
	v_lshrrev_b32_e32 v41, 4, v42
	v_and_b32_e32 v1, 0xf0f0f0f, v34
	v_dot4c_i32_i8_e32 v43, v29, v6
	v_dot4c_i32_i8_e32 v27, v33, v3
	v_and_b32_e32 v5, 0xf0f0f0f, v41
	v_dot4c_i32_i8_e32 v43, v40, v7
	v_dot4c_i32_i8_e32 v27, v1, v4
	v_dot4c_i32_i8_e32 v43, v5, v38
	v_add_f32_e32 v3, v30, v31
	s_nop 0
	v_cvt_f32_i32_e32 v1, v27
	v_cvt_f32_i32_e32 v2, v43
	v_add_f32_e32 v1, v28, v1
	v_add_f32_e32 v2, v3, v2
	v_pk_mul_f32 v[0:1], v[0:1], v[36:37]
	s_nop 0
	v_fma_f32 v1, v2, v44, v1
	v_fmac_f32_e32 v22, v0, v1
	s_andn2_b64 exec, exec, s[0:1]
	s_cbranch_execnz .LBB76_3
; %bb.4:
	s_or_b64 exec, exec, s[0:1]
.LBB76_5:
	s_or_b64 exec, exec, s[12:13]
	v_mbcnt_lo_u32_b32 v0, -1, 0
	v_mbcnt_hi_u32_b32 v1, -1, v0
	v_and_b32_e32 v0, 64, v1
	v_add_u32_e32 v2, 64, v0
	v_xor_b32_e32 v0, 32, v1
	v_cmp_lt_i32_e32 vcc, v0, v2
	v_xor_b32_e32 v3, 16, v1
	v_xor_b32_e32 v4, 8, v1
	v_cndmask_b32_e32 v0, v1, v0, vcc
	v_lshlrev_b32_e32 v0, 2, v0
	ds_bpermute_b32 v0, v0, v22
	v_cmp_lt_i32_e32 vcc, v3, v2
	s_waitcnt lgkmcnt(0)
	v_add_f32_e32 v0, v22, v0
	v_cndmask_b32_e32 v3, v1, v3, vcc
	v_lshlrev_b32_e32 v3, 2, v3
	ds_bpermute_b32 v3, v3, v0
	v_cmp_lt_i32_e32 vcc, v4, v2
	s_waitcnt lgkmcnt(0)
	v_add_f32_e32 v0, v0, v3
	v_cndmask_b32_e32 v3, v1, v4, vcc
	v_lshlrev_b32_e32 v3, 2, v3
	ds_bpermute_b32 v3, v3, v0
	v_xor_b32_e32 v4, 4, v1
	v_cmp_lt_i32_e32 vcc, v4, v2
	s_waitcnt lgkmcnt(0)
	v_add_f32_e32 v0, v0, v3
	v_cndmask_b32_e32 v3, v1, v4, vcc
	v_lshlrev_b32_e32 v3, 2, v3
	ds_bpermute_b32 v3, v3, v0
	v_xor_b32_e32 v4, 2, v1
	;; [unrolled: 7-line block ×3, first 2 shown]
	v_cmp_lt_i32_e32 vcc, v4, v2
	s_waitcnt lgkmcnt(0)
	v_add_f32_e32 v0, v0, v3
	v_cndmask_b32_e32 v1, v1, v4, vcc
	v_lshlrev_b32_e32 v1, 2, v1
	ds_bpermute_b32 v1, v1, v0
	v_cmp_eq_u32_e32 vcc, 0, v19
	s_and_b64 exec, exec, vcc
	s_cbranch_execz .LBB76_7
; %bb.6:
	s_mul_i32 s0, s5, s3
	s_waitcnt lgkmcnt(0)
	v_add_f32_e32 v2, v0, v1
	v_add_u32_e32 v0, s0, v18
	v_mov_b32_e32 v1, 0
	v_lshl_add_u64 v[0:1], v[0:1], 2, s[6:7]
	global_store_dword v[0:1], v2, off
.LBB76_7:
	s_endpgm
	.section	.rodata,"a",@progbits
	.p2align	6, 0x0
	.amdhsa_kernel _ZL13mul_mat_vec_qIfLi256ELi8E11block_iq1_mLi1EXadL_ZL18vec_dot_iq1_m_q8_1PKvPK10block_q8_1RKiEEEvS2_S2_PT_iii
		.amdhsa_group_segment_fixed_size 0
		.amdhsa_private_segment_fixed_size 0
		.amdhsa_kernarg_size 296
		.amdhsa_user_sgpr_count 2
		.amdhsa_user_sgpr_dispatch_ptr 0
		.amdhsa_user_sgpr_queue_ptr 0
		.amdhsa_user_sgpr_kernarg_segment_ptr 1
		.amdhsa_user_sgpr_dispatch_id 0
		.amdhsa_user_sgpr_kernarg_preload_length 0
		.amdhsa_user_sgpr_kernarg_preload_offset 0
		.amdhsa_user_sgpr_private_segment_size 0
		.amdhsa_uses_dynamic_stack 0
		.amdhsa_enable_private_segment 0
		.amdhsa_system_sgpr_workgroup_id_x 1
		.amdhsa_system_sgpr_workgroup_id_y 1
		.amdhsa_system_sgpr_workgroup_id_z 0
		.amdhsa_system_sgpr_workgroup_info 0
		.amdhsa_system_vgpr_workitem_id 1
		.amdhsa_next_free_vgpr 49
		.amdhsa_next_free_sgpr 17
		.amdhsa_accum_offset 52
		.amdhsa_reserve_vcc 1
		.amdhsa_float_round_mode_32 0
		.amdhsa_float_round_mode_16_64 0
		.amdhsa_float_denorm_mode_32 3
		.amdhsa_float_denorm_mode_16_64 3
		.amdhsa_dx10_clamp 1
		.amdhsa_ieee_mode 1
		.amdhsa_fp16_overflow 0
		.amdhsa_tg_split 0
		.amdhsa_exception_fp_ieee_invalid_op 0
		.amdhsa_exception_fp_denorm_src 0
		.amdhsa_exception_fp_ieee_div_zero 0
		.amdhsa_exception_fp_ieee_overflow 0
		.amdhsa_exception_fp_ieee_underflow 0
		.amdhsa_exception_fp_ieee_inexact 0
		.amdhsa_exception_int_div_zero 0
	.end_amdhsa_kernel
	.section	.text._ZL13mul_mat_vec_qIfLi256ELi8E11block_iq1_mLi1EXadL_ZL18vec_dot_iq1_m_q8_1PKvPK10block_q8_1RKiEEEvS2_S2_PT_iii,"axG",@progbits,_ZL13mul_mat_vec_qIfLi256ELi8E11block_iq1_mLi1EXadL_ZL18vec_dot_iq1_m_q8_1PKvPK10block_q8_1RKiEEEvS2_S2_PT_iii,comdat
.Lfunc_end76:
	.size	_ZL13mul_mat_vec_qIfLi256ELi8E11block_iq1_mLi1EXadL_ZL18vec_dot_iq1_m_q8_1PKvPK10block_q8_1RKiEEEvS2_S2_PT_iii, .Lfunc_end76-_ZL13mul_mat_vec_qIfLi256ELi8E11block_iq1_mLi1EXadL_ZL18vec_dot_iq1_m_q8_1PKvPK10block_q8_1RKiEEEvS2_S2_PT_iii
                                        ; -- End function
	.set _ZL13mul_mat_vec_qIfLi256ELi8E11block_iq1_mLi1EXadL_ZL18vec_dot_iq1_m_q8_1PKvPK10block_q8_1RKiEEEvS2_S2_PT_iii.num_vgpr, 49
	.set _ZL13mul_mat_vec_qIfLi256ELi8E11block_iq1_mLi1EXadL_ZL18vec_dot_iq1_m_q8_1PKvPK10block_q8_1RKiEEEvS2_S2_PT_iii.num_agpr, 0
	.set _ZL13mul_mat_vec_qIfLi256ELi8E11block_iq1_mLi1EXadL_ZL18vec_dot_iq1_m_q8_1PKvPK10block_q8_1RKiEEEvS2_S2_PT_iii.numbered_sgpr, 17
	.set _ZL13mul_mat_vec_qIfLi256ELi8E11block_iq1_mLi1EXadL_ZL18vec_dot_iq1_m_q8_1PKvPK10block_q8_1RKiEEEvS2_S2_PT_iii.num_named_barrier, 0
	.set _ZL13mul_mat_vec_qIfLi256ELi8E11block_iq1_mLi1EXadL_ZL18vec_dot_iq1_m_q8_1PKvPK10block_q8_1RKiEEEvS2_S2_PT_iii.private_seg_size, 0
	.set _ZL13mul_mat_vec_qIfLi256ELi8E11block_iq1_mLi1EXadL_ZL18vec_dot_iq1_m_q8_1PKvPK10block_q8_1RKiEEEvS2_S2_PT_iii.uses_vcc, 1
	.set _ZL13mul_mat_vec_qIfLi256ELi8E11block_iq1_mLi1EXadL_ZL18vec_dot_iq1_m_q8_1PKvPK10block_q8_1RKiEEEvS2_S2_PT_iii.uses_flat_scratch, 0
	.set _ZL13mul_mat_vec_qIfLi256ELi8E11block_iq1_mLi1EXadL_ZL18vec_dot_iq1_m_q8_1PKvPK10block_q8_1RKiEEEvS2_S2_PT_iii.has_dyn_sized_stack, 0
	.set _ZL13mul_mat_vec_qIfLi256ELi8E11block_iq1_mLi1EXadL_ZL18vec_dot_iq1_m_q8_1PKvPK10block_q8_1RKiEEEvS2_S2_PT_iii.has_recursion, 0
	.set _ZL13mul_mat_vec_qIfLi256ELi8E11block_iq1_mLi1EXadL_ZL18vec_dot_iq1_m_q8_1PKvPK10block_q8_1RKiEEEvS2_S2_PT_iii.has_indirect_call, 0
	.section	.AMDGPU.csdata,"",@progbits
; Kernel info:
; codeLenInByte = 1328
; TotalNumSgprs: 23
; NumVgprs: 49
; NumAgprs: 0
; TotalNumVgprs: 49
; ScratchSize: 0
; MemoryBound: 0
; FloatMode: 240
; IeeeMode: 1
; LDSByteSize: 0 bytes/workgroup (compile time only)
; SGPRBlocks: 2
; VGPRBlocks: 6
; NumSGPRsForWavesPerEU: 23
; NumVGPRsForWavesPerEU: 49
; AccumOffset: 52
; Occupancy: 8
; WaveLimiterHint : 0
; COMPUTE_PGM_RSRC2:SCRATCH_EN: 0
; COMPUTE_PGM_RSRC2:USER_SGPR: 2
; COMPUTE_PGM_RSRC2:TRAP_HANDLER: 0
; COMPUTE_PGM_RSRC2:TGID_X_EN: 1
; COMPUTE_PGM_RSRC2:TGID_Y_EN: 1
; COMPUTE_PGM_RSRC2:TGID_Z_EN: 0
; COMPUTE_PGM_RSRC2:TIDIG_COMP_CNT: 1
; COMPUTE_PGM_RSRC3_GFX90A:ACCUM_OFFSET: 12
; COMPUTE_PGM_RSRC3_GFX90A:TG_SPLIT: 0
	.section	.text._ZL13quantize_q8_1IN3c104HalfEEvPKT_Pvii,"axG",@progbits,_ZL13quantize_q8_1IN3c104HalfEEvPKT_Pvii,comdat
	.globl	_ZL13quantize_q8_1IN3c104HalfEEvPKT_Pvii ; -- Begin function _ZL13quantize_q8_1IN3c104HalfEEvPKT_Pvii
	.p2align	8
	.type	_ZL13quantize_q8_1IN3c104HalfEEvPKT_Pvii,@function
_ZL13quantize_q8_1IN3c104HalfEEvPKT_Pvii: ; @_ZL13quantize_q8_1IN3c104HalfEEvPKT_Pvii
; %bb.0:
	s_load_dword s6, s[0:1], 0x24
	s_load_dwordx2 s[4:5], s[0:1], 0x10
	s_add_u32 s8, s0, 24
	s_addc_u32 s9, s1, 0
	v_and_b32_e32 v1, 0x3ff, v0
	s_waitcnt lgkmcnt(0)
	s_and_b32 s6, s6, 0xffff
	s_mul_i32 s2, s2, s6
	v_add_u32_e32 v2, s2, v1
	v_cmp_gt_u32_e32 vcc, s5, v2
	s_and_saveexec_b64 s[6:7], vcc
	s_cbranch_execz .LBB77_7
; %bb.1:
	s_load_dword s2, s[8:9], 0xc
	s_load_dwordx2 s[6:7], s[0:1], 0x8
	v_bfe_u32 v0, v0, 10, 10
	v_cmp_gt_u32_e32 vcc, s4, v2
	v_mov_b32_e32 v3, 0
	s_waitcnt lgkmcnt(0)
	s_lshr_b32 s2, s2, 16
	s_mul_i32 s3, s3, s2
	v_add_u32_e32 v0, s3, v0
	v_mov_b32_e32 v1, 0
	s_and_saveexec_b64 s[2:3], vcc
	s_cbranch_execz .LBB77_3
; %bb.2:
	s_load_dwordx2 s[0:1], s[0:1], 0x0
	v_mad_u64_u32 v[4:5], s[8:9], v0, s4, v[2:3]
	v_mov_b32_e32 v5, 0
	s_waitcnt lgkmcnt(0)
	v_lshl_add_u64 v[4:5], v[4:5], 1, s[0:1]
	global_load_ushort v1, v[4:5], off
	s_waitcnt vmcnt(0)
	v_cvt_f32_f16_e32 v1, v1
.LBB77_3:
	s_or_b64 exec, exec, s[2:3]
	v_mbcnt_lo_u32_b32 v5, -1, 0
	v_mbcnt_hi_u32_b32 v5, -1, v5
	v_and_b32_e32 v6, 0x60, v5
	v_add_u32_e32 v6, 32, v6
	v_xor_b32_e32 v7, 16, v5
	v_cmp_lt_i32_e32 vcc, v7, v6
	v_and_b32_e32 v4, 0x7fffffff, v1
	v_max_f32_e64 v8, |v1|, |v1|
	v_cndmask_b32_e32 v7, v5, v7, vcc
	v_lshlrev_b32_e32 v7, 2, v7
	ds_bpermute_b32 v4, v7, v4
	ds_bpermute_b32 v7, v7, v1
	s_mov_b32 s3, 0x42fe0000
	s_brev_b32 s2, -2
	s_waitcnt lgkmcnt(1)
	v_max_f32_e32 v4, v4, v4
	v_max_f32_e32 v4, v8, v4
	v_xor_b32_e32 v8, 8, v5
	v_cmp_lt_i32_e32 vcc, v8, v6
	s_waitcnt lgkmcnt(0)
	v_add_f32_e32 v7, v1, v7
	v_cndmask_b32_e32 v8, v5, v8, vcc
	v_lshlrev_b32_e32 v8, 2, v8
	ds_bpermute_b32 v9, v8, v4
	ds_bpermute_b32 v8, v8, v7
	s_waitcnt lgkmcnt(1)
	v_max_f32_e32 v9, v9, v9
	v_max_f32_e32 v4, v4, v9
	v_xor_b32_e32 v9, 4, v5
	v_cmp_lt_i32_e32 vcc, v9, v6
	s_waitcnt lgkmcnt(0)
	v_add_f32_e32 v7, v7, v8
	v_cndmask_b32_e32 v9, v5, v9, vcc
	v_lshlrev_b32_e32 v9, 2, v9
	ds_bpermute_b32 v10, v9, v4
	ds_bpermute_b32 v8, v9, v7
	;; [unrolled: 11-line block ×3, first 2 shown]
	s_waitcnt lgkmcnt(1)
	v_max_f32_e32 v9, v11, v11
	v_max_f32_e32 v4, v4, v9
	v_xor_b32_e32 v9, 1, v5
	v_cmp_lt_i32_e32 vcc, v9, v6
	s_nop 1
	v_cndmask_b32_e32 v5, v5, v9, vcc
	v_lshlrev_b32_e32 v5, 2, v5
	ds_bpermute_b32 v6, v5, v4
	s_waitcnt lgkmcnt(0)
	v_max_f32_e32 v6, v6, v6
	v_max_f32_e32 v9, v4, v6
	v_div_scale_f32 v6, s[0:1], s3, s3, v9
	v_rcp_f32_e32 v10, v6
	v_add_f32_e32 v4, v7, v8
	ds_bpermute_b32 v5, v5, v4
	v_fma_f32 v7, -v6, v10, 1.0
	v_fmac_f32_e32 v10, v7, v10
	v_div_scale_f32 v7, vcc, v9, s3, v9
	v_mul_f32_e32 v8, v7, v10
	v_fma_f32 v11, -v6, v8, v7
	v_fmac_f32_e32 v8, v11, v10
	v_fma_f32 v6, -v6, v8, v7
	v_div_fmas_f32 v6, v6, v10, v8
	v_div_fixup_f32 v6, v6, s3, v9
	v_cmp_neq_f32_e32 vcc, 0, v9
	s_and_saveexec_b64 s[0:1], vcc
	s_cbranch_execz .LBB77_5
; %bb.4:
	v_div_scale_f32 v3, s[8:9], v6, v6, v1
	v_rcp_f32_e32 v7, v3
	v_div_scale_f32 v8, vcc, v1, v6, v1
	v_fma_f32 v9, -v3, v7, 1.0
	v_fmac_f32_e32 v7, v9, v7
	v_mul_f32_e32 v9, v8, v7
	v_fma_f32 v10, -v3, v9, v8
	v_fmac_f32_e32 v9, v10, v7
	v_fma_f32 v3, -v3, v9, v8
	v_div_fmas_f32 v3, v3, v7, v9
	v_div_fixup_f32 v1, v3, v6, v1
	v_trunc_f32_e32 v3, v1
	v_sub_f32_e32 v7, v1, v3
	v_cmp_ge_f32_e64 s[8:9], |v7|, 0.5
	s_nop 1
	v_cndmask_b32_e64 v7, 0, 1.0, s[8:9]
	v_bfi_b32 v1, s2, v7, v1
	v_add_f32_e32 v1, v3, v1
	v_cvt_i32_f32_e32 v3, v1
.LBB77_5:
	s_or_b64 exec, exec, s[0:1]
	v_mad_u64_u32 v[0:1], s[0:1], v0, s5, v[2:3]
	v_ashrrev_i32_e32 v1, 31, v0
	v_lshrrev_b32_e32 v1, 27, v1
	v_add_u32_e32 v1, v0, v1
	v_ashrrev_i32_e32 v2, 5, v1
	v_and_b32_e32 v1, 0xffffffe0, v1
	v_sub_u32_e32 v8, v0, v1
	v_mad_i64_i32 v[0:1], s[0:1], v2, 36, s[6:7]
	v_ashrrev_i32_e32 v9, 31, v8
	v_lshl_add_u64 v[10:11], v[0:1], 0, v[8:9]
	v_cmp_gt_i32_e32 vcc, 1, v8
	global_store_byte v[10:11], v3, off offset:4
	s_and_b64 exec, exec, vcc
	s_cbranch_execz .LBB77_7
; %bb.6:
	s_waitcnt lgkmcnt(0)
	v_add_f32_e32 v2, v4, v5
	v_cvt_pk_f16_f32 v2, v6, v2
	global_store_dword v[0:1], v2, off
.LBB77_7:
	s_endpgm
	.section	.rodata,"a",@progbits
	.p2align	6, 0x0
	.amdhsa_kernel _ZL13quantize_q8_1IN3c104HalfEEvPKT_Pvii
		.amdhsa_group_segment_fixed_size 0
		.amdhsa_private_segment_fixed_size 0
		.amdhsa_kernarg_size 280
		.amdhsa_user_sgpr_count 2
		.amdhsa_user_sgpr_dispatch_ptr 0
		.amdhsa_user_sgpr_queue_ptr 0
		.amdhsa_user_sgpr_kernarg_segment_ptr 1
		.amdhsa_user_sgpr_dispatch_id 0
		.amdhsa_user_sgpr_kernarg_preload_length 0
		.amdhsa_user_sgpr_kernarg_preload_offset 0
		.amdhsa_user_sgpr_private_segment_size 0
		.amdhsa_uses_dynamic_stack 0
		.amdhsa_enable_private_segment 0
		.amdhsa_system_sgpr_workgroup_id_x 1
		.amdhsa_system_sgpr_workgroup_id_y 1
		.amdhsa_system_sgpr_workgroup_id_z 0
		.amdhsa_system_sgpr_workgroup_info 0
		.amdhsa_system_vgpr_workitem_id 1
		.amdhsa_next_free_vgpr 12
		.amdhsa_next_free_sgpr 10
		.amdhsa_accum_offset 12
		.amdhsa_reserve_vcc 1
		.amdhsa_float_round_mode_32 0
		.amdhsa_float_round_mode_16_64 0
		.amdhsa_float_denorm_mode_32 3
		.amdhsa_float_denorm_mode_16_64 3
		.amdhsa_dx10_clamp 1
		.amdhsa_ieee_mode 1
		.amdhsa_fp16_overflow 0
		.amdhsa_tg_split 0
		.amdhsa_exception_fp_ieee_invalid_op 0
		.amdhsa_exception_fp_denorm_src 0
		.amdhsa_exception_fp_ieee_div_zero 0
		.amdhsa_exception_fp_ieee_overflow 0
		.amdhsa_exception_fp_ieee_underflow 0
		.amdhsa_exception_fp_ieee_inexact 0
		.amdhsa_exception_int_div_zero 0
	.end_amdhsa_kernel
	.section	.text._ZL13quantize_q8_1IN3c104HalfEEvPKT_Pvii,"axG",@progbits,_ZL13quantize_q8_1IN3c104HalfEEvPKT_Pvii,comdat
.Lfunc_end77:
	.size	_ZL13quantize_q8_1IN3c104HalfEEvPKT_Pvii, .Lfunc_end77-_ZL13quantize_q8_1IN3c104HalfEEvPKT_Pvii
                                        ; -- End function
	.set _ZL13quantize_q8_1IN3c104HalfEEvPKT_Pvii.num_vgpr, 12
	.set _ZL13quantize_q8_1IN3c104HalfEEvPKT_Pvii.num_agpr, 0
	.set _ZL13quantize_q8_1IN3c104HalfEEvPKT_Pvii.numbered_sgpr, 10
	.set _ZL13quantize_q8_1IN3c104HalfEEvPKT_Pvii.num_named_barrier, 0
	.set _ZL13quantize_q8_1IN3c104HalfEEvPKT_Pvii.private_seg_size, 0
	.set _ZL13quantize_q8_1IN3c104HalfEEvPKT_Pvii.uses_vcc, 1
	.set _ZL13quantize_q8_1IN3c104HalfEEvPKT_Pvii.uses_flat_scratch, 0
	.set _ZL13quantize_q8_1IN3c104HalfEEvPKT_Pvii.has_dyn_sized_stack, 0
	.set _ZL13quantize_q8_1IN3c104HalfEEvPKT_Pvii.has_recursion, 0
	.set _ZL13quantize_q8_1IN3c104HalfEEvPKT_Pvii.has_indirect_call, 0
	.section	.AMDGPU.csdata,"",@progbits
; Kernel info:
; codeLenInByte = 792
; TotalNumSgprs: 16
; NumVgprs: 12
; NumAgprs: 0
; TotalNumVgprs: 12
; ScratchSize: 0
; MemoryBound: 0
; FloatMode: 240
; IeeeMode: 1
; LDSByteSize: 0 bytes/workgroup (compile time only)
; SGPRBlocks: 1
; VGPRBlocks: 1
; NumSGPRsForWavesPerEU: 16
; NumVGPRsForWavesPerEU: 12
; AccumOffset: 12
; Occupancy: 8
; WaveLimiterHint : 0
; COMPUTE_PGM_RSRC2:SCRATCH_EN: 0
; COMPUTE_PGM_RSRC2:USER_SGPR: 2
; COMPUTE_PGM_RSRC2:TRAP_HANDLER: 0
; COMPUTE_PGM_RSRC2:TGID_X_EN: 1
; COMPUTE_PGM_RSRC2:TGID_Y_EN: 1
; COMPUTE_PGM_RSRC2:TGID_Z_EN: 0
; COMPUTE_PGM_RSRC2:TIDIG_COMP_CNT: 1
; COMPUTE_PGM_RSRC3_GFX90A:ACCUM_OFFSET: 2
; COMPUTE_PGM_RSRC3_GFX90A:TG_SPLIT: 0
	.section	.text._ZL13mul_mat_vec_qIN3c104HalfELi32ELi4E10block_q4_0Li2EXadL_ZL17vec_dot_q4_0_q8_1PKvPK10block_q8_1RKiEEEvS4_S4_PT_iii,"axG",@progbits,_ZL13mul_mat_vec_qIN3c104HalfELi32ELi4E10block_q4_0Li2EXadL_ZL17vec_dot_q4_0_q8_1PKvPK10block_q8_1RKiEEEvS4_S4_PT_iii,comdat
	.globl	_ZL13mul_mat_vec_qIN3c104HalfELi32ELi4E10block_q4_0Li2EXadL_ZL17vec_dot_q4_0_q8_1PKvPK10block_q8_1RKiEEEvS4_S4_PT_iii ; -- Begin function _ZL13mul_mat_vec_qIN3c104HalfELi32ELi4E10block_q4_0Li2EXadL_ZL17vec_dot_q4_0_q8_1PKvPK10block_q8_1RKiEEEvS4_S4_PT_iii
	.p2align	8
	.type	_ZL13mul_mat_vec_qIN3c104HalfELi32ELi4E10block_q4_0Li2EXadL_ZL17vec_dot_q4_0_q8_1PKvPK10block_q8_1RKiEEEvS4_S4_PT_iii,@function
_ZL13mul_mat_vec_qIN3c104HalfELi32ELi4E10block_q4_0Li2EXadL_ZL17vec_dot_q4_0_q8_1PKvPK10block_q8_1RKiEEEvS4_S4_PT_iii: ; @_ZL13mul_mat_vec_qIN3c104HalfELi32ELi4E10block_q4_0Li2EXadL_ZL17vec_dot_q4_0_q8_1PKvPK10block_q8_1RKiEEEvS4_S4_PT_iii
; %bb.0:
	s_load_dword s8, s[0:1], 0x34
	s_load_dwordx4 s[4:7], s[0:1], 0x18
	v_bfe_u32 v1, v0, 10, 10
	s_waitcnt lgkmcnt(0)
	s_lshr_b32 s7, s8, 16
	s_mul_i32 s2, s2, s7
	v_add_u32_e32 v4, s2, v1
	s_cmp_lt_u32 s3, s6
	v_cmp_gt_u32_e32 vcc, s5, v4
	s_cselect_b64 s[6:7], -1, 0
	s_and_b64 s[6:7], s[6:7], vcc
	s_and_saveexec_b64 s[8:9], s[6:7]
	s_cbranch_execz .LBB78_7
; %bb.1:
	s_load_dwordx2 s[6:7], s[0:1], 0x10
	s_ashr_i32 s2, s4, 31
	s_lshr_b32 s2, s2, 27
	s_add_i32 s2, s4, s2
	s_ashr_i32 s2, s2, 5
	v_bfe_u32 v7, v0, 1, 9
	v_and_b32_e32 v5, 0x3ff, v0
	v_cmp_gt_u32_e32 vcc, s2, v7
	v_mov_b32_e32 v6, 0
	s_and_saveexec_b64 s[12:13], vcc
	s_cbranch_execz .LBB78_5
; %bb.2:
	s_load_dwordx4 s[8:11], s[0:1], 0x0
	s_add_i32 s0, s4, 0x1ff
	s_ashr_i32 s1, s0, 31
	s_lshr_b32 s1, s1, 23
	s_add_i32 s0, s0, s1
	s_ashr_i32 s0, s0, 9
	s_mul_i32 s0, s3, s0
	v_lshlrev_b32_e32 v0, 3, v5
	v_mov_b32_e32 v1, 0
	v_mul_lo_u32 v8, v4, s2
	s_lshl_b32 s4, s0, 4
	v_and_b32_e32 v0, 8, v0
	s_mov_b64 s[0:1], 0
	v_mov_b32_e32 v3, 4.0
	v_mov_b32_e32 v6, v1
.LBB78_3:                               ; =>This Inner Loop Header: Depth=1
	v_add_u32_e32 v2, v8, v7
	v_add_u32_e32 v9, s4, v7
	s_waitcnt lgkmcnt(0)
	v_mad_i64_i32 v[10:11], s[14:15], v2, 18, s[8:9]
	v_mad_i64_i32 v[12:13], s[14:15], v9, 36, s[10:11]
	v_lshl_add_u64 v[14:15], v[10:11], 0, v[0:1]
	v_lshl_add_u64 v[16:17], v[12:13], 0, v[0:1]
	global_load_dwordx2 v[18:19], v[14:15], off offset:2
	global_load_dwordx2 v[20:21], v[16:17], off offset:4
	;; [unrolled: 1-line block ×3, first 2 shown]
	global_load_dword v2, v[12:13], off
	global_load_ushort v9, v[10:11], off
	v_mov_b32_e32 v12, 0
	v_add_u32_e32 v7, 32, v7
	v_cmp_le_u32_e32 vcc, s2, v7
	s_or_b64 s[0:1], vcc, s[0:1]
	s_waitcnt vmcnt(4)
	v_lshrrev_b32_e32 v13, 4, v18
	v_and_b32_e32 v13, 0xf0f0f0f, v13
	v_and_b32_e32 v14, 0xf0f0f0f, v19
	s_waitcnt vmcnt(1)
	v_cvt_f32_f16_e32 v10, v2
	v_cvt_f32_f16_sdwa v11, v2 dst_sel:DWORD dst_unused:UNUSED_PAD src0_sel:WORD_1
	v_and_b32_e32 v2, 0xf0f0f0f, v18
	v_dot4c_i32_i8_e32 v12, v2, v20
	v_lshrrev_b32_e32 v15, 4, v19
	v_dot4c_i32_i8_e32 v12, v13, v22
	v_and_b32_e32 v2, 0xf0f0f0f, v15
	v_dot4c_i32_i8_e32 v12, v14, v21
	v_dot4c_i32_i8_e32 v12, v2, v23
	s_nop 2
	v_cvt_f32_i32_e32 v2, v12
	v_pk_mul_f32 v[10:11], v[2:3], v[10:11]
	s_nop 0
	v_sub_f32_e32 v2, v10, v11
	s_waitcnt vmcnt(0)
	v_fma_mix_f32 v6, v2, v9, v6 op_sel_hi:[0,1,0]
	s_andn2_b64 exec, exec, s[0:1]
	s_cbranch_execnz .LBB78_3
; %bb.4:
	s_or_b64 exec, exec, s[0:1]
.LBB78_5:
	s_or_b64 exec, exec, s[12:13]
	v_mbcnt_lo_u32_b32 v0, -1, 0
	v_mbcnt_hi_u32_b32 v1, -1, v0
	v_and_b32_e32 v0, 64, v1
	v_add_u32_e32 v2, 64, v0
	v_xor_b32_e32 v0, 32, v1
	v_cmp_lt_i32_e32 vcc, v0, v2
	v_xor_b32_e32 v3, 16, v1
	s_nop 0
	v_cndmask_b32_e32 v0, v1, v0, vcc
	v_lshlrev_b32_e32 v0, 2, v0
	ds_bpermute_b32 v0, v0, v6
	v_cmp_lt_i32_e32 vcc, v3, v2
	s_waitcnt lgkmcnt(0)
	v_add_f32_e32 v0, v6, v0
	v_cndmask_b32_e32 v3, v1, v3, vcc
	v_lshlrev_b32_e32 v3, 2, v3
	ds_bpermute_b32 v3, v3, v0
	v_xor_b32_e32 v6, 8, v1
	v_cmp_lt_i32_e32 vcc, v6, v2
	s_waitcnt lgkmcnt(0)
	v_add_f32_e32 v0, v0, v3
	v_cndmask_b32_e32 v3, v1, v6, vcc
	v_lshlrev_b32_e32 v3, 2, v3
	ds_bpermute_b32 v3, v3, v0
	v_xor_b32_e32 v6, 4, v1
	v_cmp_lt_i32_e32 vcc, v6, v2
	s_waitcnt lgkmcnt(0)
	v_add_f32_e32 v0, v0, v3
	v_cndmask_b32_e32 v3, v1, v6, vcc
	v_lshlrev_b32_e32 v3, 2, v3
	ds_bpermute_b32 v3, v3, v0
	v_xor_b32_e32 v6, 2, v1
	v_cmp_lt_i32_e32 vcc, v6, v2
	s_waitcnt lgkmcnt(0)
	v_add_f32_e32 v0, v0, v3
	v_cndmask_b32_e32 v3, v1, v6, vcc
	v_lshlrev_b32_e32 v3, 2, v3
	ds_bpermute_b32 v3, v3, v0
	v_xor_b32_e32 v6, 1, v1
	v_cmp_lt_i32_e32 vcc, v6, v2
	s_waitcnt lgkmcnt(0)
	v_add_f32_e32 v0, v0, v3
	v_cndmask_b32_e32 v1, v1, v6, vcc
	v_lshlrev_b32_e32 v1, 2, v1
	ds_bpermute_b32 v1, v1, v0
	v_cmp_eq_u32_e32 vcc, 0, v5
	s_and_b64 exec, exec, vcc
	s_cbranch_execz .LBB78_7
; %bb.6:
	s_waitcnt lgkmcnt(0)
	v_add_f32_e32 v0, v0, v1
	v_cvt_f16_f32_e32 v2, v0
	s_mul_i32 s0, s5, s3
	v_add_u32_e32 v0, s0, v4
	v_mov_b32_e32 v1, 0
	v_lshl_add_u64 v[0:1], v[0:1], 1, s[6:7]
	global_store_short v[0:1], v2, off
.LBB78_7:
	s_endpgm
	.section	.rodata,"a",@progbits
	.p2align	6, 0x0
	.amdhsa_kernel _ZL13mul_mat_vec_qIN3c104HalfELi32ELi4E10block_q4_0Li2EXadL_ZL17vec_dot_q4_0_q8_1PKvPK10block_q8_1RKiEEEvS4_S4_PT_iii
		.amdhsa_group_segment_fixed_size 0
		.amdhsa_private_segment_fixed_size 0
		.amdhsa_kernarg_size 296
		.amdhsa_user_sgpr_count 2
		.amdhsa_user_sgpr_dispatch_ptr 0
		.amdhsa_user_sgpr_queue_ptr 0
		.amdhsa_user_sgpr_kernarg_segment_ptr 1
		.amdhsa_user_sgpr_dispatch_id 0
		.amdhsa_user_sgpr_kernarg_preload_length 0
		.amdhsa_user_sgpr_kernarg_preload_offset 0
		.amdhsa_user_sgpr_private_segment_size 0
		.amdhsa_uses_dynamic_stack 0
		.amdhsa_enable_private_segment 0
		.amdhsa_system_sgpr_workgroup_id_x 1
		.amdhsa_system_sgpr_workgroup_id_y 1
		.amdhsa_system_sgpr_workgroup_id_z 0
		.amdhsa_system_sgpr_workgroup_info 0
		.amdhsa_system_vgpr_workitem_id 1
		.amdhsa_next_free_vgpr 24
		.amdhsa_next_free_sgpr 16
		.amdhsa_accum_offset 24
		.amdhsa_reserve_vcc 1
		.amdhsa_float_round_mode_32 0
		.amdhsa_float_round_mode_16_64 0
		.amdhsa_float_denorm_mode_32 3
		.amdhsa_float_denorm_mode_16_64 3
		.amdhsa_dx10_clamp 1
		.amdhsa_ieee_mode 1
		.amdhsa_fp16_overflow 0
		.amdhsa_tg_split 0
		.amdhsa_exception_fp_ieee_invalid_op 0
		.amdhsa_exception_fp_denorm_src 0
		.amdhsa_exception_fp_ieee_div_zero 0
		.amdhsa_exception_fp_ieee_overflow 0
		.amdhsa_exception_fp_ieee_underflow 0
		.amdhsa_exception_fp_ieee_inexact 0
		.amdhsa_exception_int_div_zero 0
	.end_amdhsa_kernel
	.section	.text._ZL13mul_mat_vec_qIN3c104HalfELi32ELi4E10block_q4_0Li2EXadL_ZL17vec_dot_q4_0_q8_1PKvPK10block_q8_1RKiEEEvS4_S4_PT_iii,"axG",@progbits,_ZL13mul_mat_vec_qIN3c104HalfELi32ELi4E10block_q4_0Li2EXadL_ZL17vec_dot_q4_0_q8_1PKvPK10block_q8_1RKiEEEvS4_S4_PT_iii,comdat
.Lfunc_end78:
	.size	_ZL13mul_mat_vec_qIN3c104HalfELi32ELi4E10block_q4_0Li2EXadL_ZL17vec_dot_q4_0_q8_1PKvPK10block_q8_1RKiEEEvS4_S4_PT_iii, .Lfunc_end78-_ZL13mul_mat_vec_qIN3c104HalfELi32ELi4E10block_q4_0Li2EXadL_ZL17vec_dot_q4_0_q8_1PKvPK10block_q8_1RKiEEEvS4_S4_PT_iii
                                        ; -- End function
	.set _ZL13mul_mat_vec_qIN3c104HalfELi32ELi4E10block_q4_0Li2EXadL_ZL17vec_dot_q4_0_q8_1PKvPK10block_q8_1RKiEEEvS4_S4_PT_iii.num_vgpr, 24
	.set _ZL13mul_mat_vec_qIN3c104HalfELi32ELi4E10block_q4_0Li2EXadL_ZL17vec_dot_q4_0_q8_1PKvPK10block_q8_1RKiEEEvS4_S4_PT_iii.num_agpr, 0
	.set _ZL13mul_mat_vec_qIN3c104HalfELi32ELi4E10block_q4_0Li2EXadL_ZL17vec_dot_q4_0_q8_1PKvPK10block_q8_1RKiEEEvS4_S4_PT_iii.numbered_sgpr, 16
	.set _ZL13mul_mat_vec_qIN3c104HalfELi32ELi4E10block_q4_0Li2EXadL_ZL17vec_dot_q4_0_q8_1PKvPK10block_q8_1RKiEEEvS4_S4_PT_iii.num_named_barrier, 0
	.set _ZL13mul_mat_vec_qIN3c104HalfELi32ELi4E10block_q4_0Li2EXadL_ZL17vec_dot_q4_0_q8_1PKvPK10block_q8_1RKiEEEvS4_S4_PT_iii.private_seg_size, 0
	.set _ZL13mul_mat_vec_qIN3c104HalfELi32ELi4E10block_q4_0Li2EXadL_ZL17vec_dot_q4_0_q8_1PKvPK10block_q8_1RKiEEEvS4_S4_PT_iii.uses_vcc, 1
	.set _ZL13mul_mat_vec_qIN3c104HalfELi32ELi4E10block_q4_0Li2EXadL_ZL17vec_dot_q4_0_q8_1PKvPK10block_q8_1RKiEEEvS4_S4_PT_iii.uses_flat_scratch, 0
	.set _ZL13mul_mat_vec_qIN3c104HalfELi32ELi4E10block_q4_0Li2EXadL_ZL17vec_dot_q4_0_q8_1PKvPK10block_q8_1RKiEEEvS4_S4_PT_iii.has_dyn_sized_stack, 0
	.set _ZL13mul_mat_vec_qIN3c104HalfELi32ELi4E10block_q4_0Li2EXadL_ZL17vec_dot_q4_0_q8_1PKvPK10block_q8_1RKiEEEvS4_S4_PT_iii.has_recursion, 0
	.set _ZL13mul_mat_vec_qIN3c104HalfELi32ELi4E10block_q4_0Li2EXadL_ZL17vec_dot_q4_0_q8_1PKvPK10block_q8_1RKiEEEvS4_S4_PT_iii.has_indirect_call, 0
	.section	.AMDGPU.csdata,"",@progbits
; Kernel info:
; codeLenInByte = 688
; TotalNumSgprs: 22
; NumVgprs: 24
; NumAgprs: 0
; TotalNumVgprs: 24
; ScratchSize: 0
; MemoryBound: 0
; FloatMode: 240
; IeeeMode: 1
; LDSByteSize: 0 bytes/workgroup (compile time only)
; SGPRBlocks: 2
; VGPRBlocks: 2
; NumSGPRsForWavesPerEU: 22
; NumVGPRsForWavesPerEU: 24
; AccumOffset: 24
; Occupancy: 8
; WaveLimiterHint : 0
; COMPUTE_PGM_RSRC2:SCRATCH_EN: 0
; COMPUTE_PGM_RSRC2:USER_SGPR: 2
; COMPUTE_PGM_RSRC2:TRAP_HANDLER: 0
; COMPUTE_PGM_RSRC2:TGID_X_EN: 1
; COMPUTE_PGM_RSRC2:TGID_Y_EN: 1
; COMPUTE_PGM_RSRC2:TGID_Z_EN: 0
; COMPUTE_PGM_RSRC2:TIDIG_COMP_CNT: 1
; COMPUTE_PGM_RSRC3_GFX90A:ACCUM_OFFSET: 5
; COMPUTE_PGM_RSRC3_GFX90A:TG_SPLIT: 0
	.section	.text._ZL13mul_mat_vec_qIN3c104HalfELi32ELi4E10block_q4_1Li2EXadL_ZL17vec_dot_q4_1_q8_1PKvPK10block_q8_1RKiEEEvS4_S4_PT_iii,"axG",@progbits,_ZL13mul_mat_vec_qIN3c104HalfELi32ELi4E10block_q4_1Li2EXadL_ZL17vec_dot_q4_1_q8_1PKvPK10block_q8_1RKiEEEvS4_S4_PT_iii,comdat
	.globl	_ZL13mul_mat_vec_qIN3c104HalfELi32ELi4E10block_q4_1Li2EXadL_ZL17vec_dot_q4_1_q8_1PKvPK10block_q8_1RKiEEEvS4_S4_PT_iii ; -- Begin function _ZL13mul_mat_vec_qIN3c104HalfELi32ELi4E10block_q4_1Li2EXadL_ZL17vec_dot_q4_1_q8_1PKvPK10block_q8_1RKiEEEvS4_S4_PT_iii
	.p2align	8
	.type	_ZL13mul_mat_vec_qIN3c104HalfELi32ELi4E10block_q4_1Li2EXadL_ZL17vec_dot_q4_1_q8_1PKvPK10block_q8_1RKiEEEvS4_S4_PT_iii,@function
_ZL13mul_mat_vec_qIN3c104HalfELi32ELi4E10block_q4_1Li2EXadL_ZL17vec_dot_q4_1_q8_1PKvPK10block_q8_1RKiEEEvS4_S4_PT_iii: ; @_ZL13mul_mat_vec_qIN3c104HalfELi32ELi4E10block_q4_1Li2EXadL_ZL17vec_dot_q4_1_q8_1PKvPK10block_q8_1RKiEEEvS4_S4_PT_iii
; %bb.0:
	s_load_dword s8, s[0:1], 0x34
	s_load_dwordx4 s[4:7], s[0:1], 0x18
	v_bfe_u32 v1, v0, 10, 10
	s_waitcnt lgkmcnt(0)
	s_lshr_b32 s7, s8, 16
	s_mul_i32 s2, s2, s7
	v_add_u32_e32 v4, s2, v1
	s_cmp_lt_u32 s3, s6
	v_cmp_gt_u32_e32 vcc, s5, v4
	s_cselect_b64 s[6:7], -1, 0
	s_and_b64 s[6:7], s[6:7], vcc
	s_and_saveexec_b64 s[8:9], s[6:7]
	s_cbranch_execz .LBB79_7
; %bb.1:
	s_load_dwordx2 s[6:7], s[0:1], 0x10
	s_ashr_i32 s2, s4, 31
	s_lshr_b32 s2, s2, 27
	s_add_i32 s2, s4, s2
	s_ashr_i32 s2, s2, 5
	v_bfe_u32 v7, v0, 1, 9
	v_and_b32_e32 v5, 0x3ff, v0
	v_cmp_gt_u32_e32 vcc, s2, v7
	v_mov_b32_e32 v6, 0
	s_and_saveexec_b64 s[12:13], vcc
	s_cbranch_execz .LBB79_5
; %bb.2:
	s_load_dwordx4 s[8:11], s[0:1], 0x0
	s_add_i32 s0, s4, 0x1ff
	s_ashr_i32 s1, s0, 31
	s_lshr_b32 s1, s1, 23
	s_add_i32 s0, s0, s1
	s_ashr_i32 s0, s0, 9
	s_mul_i32 s0, s3, s0
	v_lshlrev_b32_e32 v0, 3, v5
	v_mov_b32_e32 v1, 0
	v_mul_lo_u32 v8, v4, s2
	s_lshl_b32 s4, s0, 4
	v_and_b32_e32 v0, 8, v0
	s_mov_b64 s[0:1], 0
	v_mov_b32_e32 v3, 0.5
	v_mov_b32_e32 v6, v1
.LBB79_3:                               ; =>This Inner Loop Header: Depth=1
	v_add_u32_e32 v2, v8, v7
	v_add_u32_e32 v9, s4, v7
	s_waitcnt lgkmcnt(0)
	v_mad_i64_i32 v[10:11], s[14:15], v2, 20, s[8:9]
	v_mad_i64_i32 v[12:13], s[14:15], v9, 36, s[10:11]
	v_lshl_add_u64 v[14:15], v[10:11], 0, v[0:1]
	v_lshl_add_u64 v[16:17], v[12:13], 0, v[0:1]
	global_load_dword v2, v[10:11], off
	global_load_dwordx2 v[18:19], v[14:15], off offset:4
	global_load_dwordx2 v[20:21], v[16:17], off offset:4
	;; [unrolled: 1-line block ×3, first 2 shown]
	global_load_dword v9, v[12:13], off
	v_mov_b32_e32 v12, 0
	v_add_u32_e32 v7, 32, v7
	v_cmp_le_u32_e32 vcc, s2, v7
	s_or_b64 s[0:1], vcc, s[0:1]
	s_waitcnt vmcnt(3)
	v_lshrrev_b32_e32 v13, 4, v18
	v_and_b32_e32 v14, 0xf0f0f0f, v19
	v_lshrrev_b32_e32 v15, 4, v19
	s_waitcnt vmcnt(0)
	v_pk_mul_f16 v2, v2, v9
	v_and_b32_e32 v9, 0xf0f0f0f, v18
	v_cvt_f32_f16_e32 v10, v2
	v_cvt_f32_f16_sdwa v11, v2 dst_sel:DWORD dst_unused:UNUSED_PAD src0_sel:WORD_1
	v_and_b32_e32 v2, 0xf0f0f0f, v13
	v_dot4c_i32_i8_e32 v12, v9, v20
	v_dot4c_i32_i8_e32 v12, v2, v22
	v_and_b32_e32 v9, 0xf0f0f0f, v15
	v_dot4c_i32_i8_e32 v12, v14, v21
	v_dot4c_i32_i8_e32 v12, v9, v23
	s_nop 2
	v_cvt_f32_i32_e32 v2, v12
	v_pk_mul_f32 v[10:11], v[2:3], v[10:11]
	s_nop 0
	v_add_f32_e32 v2, v11, v10
	v_add_f32_e32 v6, v6, v2
	s_andn2_b64 exec, exec, s[0:1]
	s_cbranch_execnz .LBB79_3
; %bb.4:
	s_or_b64 exec, exec, s[0:1]
.LBB79_5:
	s_or_b64 exec, exec, s[12:13]
	v_mbcnt_lo_u32_b32 v0, -1, 0
	v_mbcnt_hi_u32_b32 v1, -1, v0
	v_and_b32_e32 v0, 64, v1
	v_add_u32_e32 v2, 64, v0
	v_xor_b32_e32 v0, 32, v1
	v_cmp_lt_i32_e32 vcc, v0, v2
	v_xor_b32_e32 v3, 16, v1
	s_nop 0
	v_cndmask_b32_e32 v0, v1, v0, vcc
	v_lshlrev_b32_e32 v0, 2, v0
	ds_bpermute_b32 v0, v0, v6
	v_cmp_lt_i32_e32 vcc, v3, v2
	s_waitcnt lgkmcnt(0)
	v_add_f32_e32 v0, v6, v0
	v_cndmask_b32_e32 v3, v1, v3, vcc
	v_lshlrev_b32_e32 v3, 2, v3
	ds_bpermute_b32 v3, v3, v0
	v_xor_b32_e32 v6, 8, v1
	v_cmp_lt_i32_e32 vcc, v6, v2
	s_waitcnt lgkmcnt(0)
	v_add_f32_e32 v0, v0, v3
	v_cndmask_b32_e32 v3, v1, v6, vcc
	v_lshlrev_b32_e32 v3, 2, v3
	ds_bpermute_b32 v3, v3, v0
	v_xor_b32_e32 v6, 4, v1
	;; [unrolled: 7-line block ×4, first 2 shown]
	v_cmp_lt_i32_e32 vcc, v6, v2
	s_waitcnt lgkmcnt(0)
	v_add_f32_e32 v0, v0, v3
	v_cndmask_b32_e32 v1, v1, v6, vcc
	v_lshlrev_b32_e32 v1, 2, v1
	ds_bpermute_b32 v1, v1, v0
	v_cmp_eq_u32_e32 vcc, 0, v5
	s_and_b64 exec, exec, vcc
	s_cbranch_execz .LBB79_7
; %bb.6:
	s_waitcnt lgkmcnt(0)
	v_add_f32_e32 v0, v0, v1
	v_cvt_f16_f32_e32 v2, v0
	s_mul_i32 s0, s5, s3
	v_add_u32_e32 v0, s0, v4
	v_mov_b32_e32 v1, 0
	v_lshl_add_u64 v[0:1], v[0:1], 1, s[6:7]
	global_store_short v[0:1], v2, off
.LBB79_7:
	s_endpgm
	.section	.rodata,"a",@progbits
	.p2align	6, 0x0
	.amdhsa_kernel _ZL13mul_mat_vec_qIN3c104HalfELi32ELi4E10block_q4_1Li2EXadL_ZL17vec_dot_q4_1_q8_1PKvPK10block_q8_1RKiEEEvS4_S4_PT_iii
		.amdhsa_group_segment_fixed_size 0
		.amdhsa_private_segment_fixed_size 0
		.amdhsa_kernarg_size 296
		.amdhsa_user_sgpr_count 2
		.amdhsa_user_sgpr_dispatch_ptr 0
		.amdhsa_user_sgpr_queue_ptr 0
		.amdhsa_user_sgpr_kernarg_segment_ptr 1
		.amdhsa_user_sgpr_dispatch_id 0
		.amdhsa_user_sgpr_kernarg_preload_length 0
		.amdhsa_user_sgpr_kernarg_preload_offset 0
		.amdhsa_user_sgpr_private_segment_size 0
		.amdhsa_uses_dynamic_stack 0
		.amdhsa_enable_private_segment 0
		.amdhsa_system_sgpr_workgroup_id_x 1
		.amdhsa_system_sgpr_workgroup_id_y 1
		.amdhsa_system_sgpr_workgroup_id_z 0
		.amdhsa_system_sgpr_workgroup_info 0
		.amdhsa_system_vgpr_workitem_id 1
		.amdhsa_next_free_vgpr 24
		.amdhsa_next_free_sgpr 16
		.amdhsa_accum_offset 24
		.amdhsa_reserve_vcc 1
		.amdhsa_float_round_mode_32 0
		.amdhsa_float_round_mode_16_64 0
		.amdhsa_float_denorm_mode_32 3
		.amdhsa_float_denorm_mode_16_64 3
		.amdhsa_dx10_clamp 1
		.amdhsa_ieee_mode 1
		.amdhsa_fp16_overflow 0
		.amdhsa_tg_split 0
		.amdhsa_exception_fp_ieee_invalid_op 0
		.amdhsa_exception_fp_denorm_src 0
		.amdhsa_exception_fp_ieee_div_zero 0
		.amdhsa_exception_fp_ieee_overflow 0
		.amdhsa_exception_fp_ieee_underflow 0
		.amdhsa_exception_fp_ieee_inexact 0
		.amdhsa_exception_int_div_zero 0
	.end_amdhsa_kernel
	.section	.text._ZL13mul_mat_vec_qIN3c104HalfELi32ELi4E10block_q4_1Li2EXadL_ZL17vec_dot_q4_1_q8_1PKvPK10block_q8_1RKiEEEvS4_S4_PT_iii,"axG",@progbits,_ZL13mul_mat_vec_qIN3c104HalfELi32ELi4E10block_q4_1Li2EXadL_ZL17vec_dot_q4_1_q8_1PKvPK10block_q8_1RKiEEEvS4_S4_PT_iii,comdat
.Lfunc_end79:
	.size	_ZL13mul_mat_vec_qIN3c104HalfELi32ELi4E10block_q4_1Li2EXadL_ZL17vec_dot_q4_1_q8_1PKvPK10block_q8_1RKiEEEvS4_S4_PT_iii, .Lfunc_end79-_ZL13mul_mat_vec_qIN3c104HalfELi32ELi4E10block_q4_1Li2EXadL_ZL17vec_dot_q4_1_q8_1PKvPK10block_q8_1RKiEEEvS4_S4_PT_iii
                                        ; -- End function
	.set _ZL13mul_mat_vec_qIN3c104HalfELi32ELi4E10block_q4_1Li2EXadL_ZL17vec_dot_q4_1_q8_1PKvPK10block_q8_1RKiEEEvS4_S4_PT_iii.num_vgpr, 24
	.set _ZL13mul_mat_vec_qIN3c104HalfELi32ELi4E10block_q4_1Li2EXadL_ZL17vec_dot_q4_1_q8_1PKvPK10block_q8_1RKiEEEvS4_S4_PT_iii.num_agpr, 0
	.set _ZL13mul_mat_vec_qIN3c104HalfELi32ELi4E10block_q4_1Li2EXadL_ZL17vec_dot_q4_1_q8_1PKvPK10block_q8_1RKiEEEvS4_S4_PT_iii.numbered_sgpr, 16
	.set _ZL13mul_mat_vec_qIN3c104HalfELi32ELi4E10block_q4_1Li2EXadL_ZL17vec_dot_q4_1_q8_1PKvPK10block_q8_1RKiEEEvS4_S4_PT_iii.num_named_barrier, 0
	.set _ZL13mul_mat_vec_qIN3c104HalfELi32ELi4E10block_q4_1Li2EXadL_ZL17vec_dot_q4_1_q8_1PKvPK10block_q8_1RKiEEEvS4_S4_PT_iii.private_seg_size, 0
	.set _ZL13mul_mat_vec_qIN3c104HalfELi32ELi4E10block_q4_1Li2EXadL_ZL17vec_dot_q4_1_q8_1PKvPK10block_q8_1RKiEEEvS4_S4_PT_iii.uses_vcc, 1
	.set _ZL13mul_mat_vec_qIN3c104HalfELi32ELi4E10block_q4_1Li2EXadL_ZL17vec_dot_q4_1_q8_1PKvPK10block_q8_1RKiEEEvS4_S4_PT_iii.uses_flat_scratch, 0
	.set _ZL13mul_mat_vec_qIN3c104HalfELi32ELi4E10block_q4_1Li2EXadL_ZL17vec_dot_q4_1_q8_1PKvPK10block_q8_1RKiEEEvS4_S4_PT_iii.has_dyn_sized_stack, 0
	.set _ZL13mul_mat_vec_qIN3c104HalfELi32ELi4E10block_q4_1Li2EXadL_ZL17vec_dot_q4_1_q8_1PKvPK10block_q8_1RKiEEEvS4_S4_PT_iii.has_recursion, 0
	.set _ZL13mul_mat_vec_qIN3c104HalfELi32ELi4E10block_q4_1Li2EXadL_ZL17vec_dot_q4_1_q8_1PKvPK10block_q8_1RKiEEEvS4_S4_PT_iii.has_indirect_call, 0
	.section	.AMDGPU.csdata,"",@progbits
; Kernel info:
; codeLenInByte = 688
; TotalNumSgprs: 22
; NumVgprs: 24
; NumAgprs: 0
; TotalNumVgprs: 24
; ScratchSize: 0
; MemoryBound: 0
; FloatMode: 240
; IeeeMode: 1
; LDSByteSize: 0 bytes/workgroup (compile time only)
; SGPRBlocks: 2
; VGPRBlocks: 2
; NumSGPRsForWavesPerEU: 22
; NumVGPRsForWavesPerEU: 24
; AccumOffset: 24
; Occupancy: 8
; WaveLimiterHint : 0
; COMPUTE_PGM_RSRC2:SCRATCH_EN: 0
; COMPUTE_PGM_RSRC2:USER_SGPR: 2
; COMPUTE_PGM_RSRC2:TRAP_HANDLER: 0
; COMPUTE_PGM_RSRC2:TGID_X_EN: 1
; COMPUTE_PGM_RSRC2:TGID_Y_EN: 1
; COMPUTE_PGM_RSRC2:TGID_Z_EN: 0
; COMPUTE_PGM_RSRC2:TIDIG_COMP_CNT: 1
; COMPUTE_PGM_RSRC3_GFX90A:ACCUM_OFFSET: 5
; COMPUTE_PGM_RSRC3_GFX90A:TG_SPLIT: 0
	.section	.text._ZL13mul_mat_vec_qIN3c104HalfELi32ELi4E10block_q5_0Li2EXadL_ZL17vec_dot_q5_0_q8_1PKvPK10block_q8_1RKiEEEvS4_S4_PT_iii,"axG",@progbits,_ZL13mul_mat_vec_qIN3c104HalfELi32ELi4E10block_q5_0Li2EXadL_ZL17vec_dot_q5_0_q8_1PKvPK10block_q8_1RKiEEEvS4_S4_PT_iii,comdat
	.globl	_ZL13mul_mat_vec_qIN3c104HalfELi32ELi4E10block_q5_0Li2EXadL_ZL17vec_dot_q5_0_q8_1PKvPK10block_q8_1RKiEEEvS4_S4_PT_iii ; -- Begin function _ZL13mul_mat_vec_qIN3c104HalfELi32ELi4E10block_q5_0Li2EXadL_ZL17vec_dot_q5_0_q8_1PKvPK10block_q8_1RKiEEEvS4_S4_PT_iii
	.p2align	8
	.type	_ZL13mul_mat_vec_qIN3c104HalfELi32ELi4E10block_q5_0Li2EXadL_ZL17vec_dot_q5_0_q8_1PKvPK10block_q8_1RKiEEEvS4_S4_PT_iii,@function
_ZL13mul_mat_vec_qIN3c104HalfELi32ELi4E10block_q5_0Li2EXadL_ZL17vec_dot_q5_0_q8_1PKvPK10block_q8_1RKiEEEvS4_S4_PT_iii: ; @_ZL13mul_mat_vec_qIN3c104HalfELi32ELi4E10block_q5_0Li2EXadL_ZL17vec_dot_q5_0_q8_1PKvPK10block_q8_1RKiEEEvS4_S4_PT_iii
; %bb.0:
	s_load_dword s8, s[0:1], 0x34
	s_load_dwordx4 s[4:7], s[0:1], 0x18
	v_bfe_u32 v1, v0, 10, 10
	s_waitcnt lgkmcnt(0)
	s_lshr_b32 s7, s8, 16
	s_mul_i32 s2, s2, s7
	v_add_u32_e32 v4, s2, v1
	s_cmp_lt_u32 s3, s6
	v_cmp_gt_u32_e32 vcc, s5, v4
	s_cselect_b64 s[6:7], -1, 0
	s_and_b64 s[6:7], s[6:7], vcc
	s_and_saveexec_b64 s[8:9], s[6:7]
	s_cbranch_execz .LBB80_7
; %bb.1:
	s_load_dwordx2 s[6:7], s[0:1], 0x10
	s_ashr_i32 s2, s4, 31
	s_lshr_b32 s2, s2, 27
	s_add_i32 s2, s4, s2
	s_ashr_i32 s2, s2, 5
	v_bfe_u32 v6, v0, 1, 9
	v_and_b32_e32 v5, 0x3ff, v0
	v_cmp_gt_u32_e32 vcc, s2, v6
	v_mov_b32_e32 v7, 0
	s_and_saveexec_b64 s[12:13], vcc
	s_cbranch_execz .LBB80_5
; %bb.2:
	s_load_dwordx4 s[8:11], s[0:1], 0x0
	s_add_i32 s0, s4, 0x1ff
	s_ashr_i32 s1, s0, 31
	s_lshr_b32 s1, s1, 23
	s_add_i32 s0, s0, s1
	s_ashr_i32 s0, s0, 9
	v_lshlrev_b32_e32 v0, 3, v5
	s_mul_i32 s0, s3, s0
	v_and_b32_e32 v0, 8, v0
	v_mov_b32_e32 v1, 0
	v_mul_lo_u32 v8, v4, s2
	s_lshl_b32 s4, s0, 4
	v_or_b32_e32 v9, 4, v0
	s_mov_b64 s[0:1], 0
	v_mov_b32_e32 v3, 0x41000000
	v_mov_b32_e32 v7, v1
.LBB80_3:                               ; =>This Inner Loop Header: Depth=1
	v_add_u32_e32 v2, v8, v6
	s_waitcnt lgkmcnt(0)
	v_mad_i64_i32 v[10:11], s[14:15], v2, 22, s[8:9]
	global_load_dword v2, v[10:11], off offset:2
	v_add_u32_e32 v12, s4, v6
	v_mad_i64_i32 v[12:13], s[14:15], v12, 36, s[10:11]
	v_lshl_add_u64 v[14:15], v[10:11], 0, v[0:1]
	v_lshl_add_u64 v[16:17], v[12:13], 0, v[0:1]
	global_load_dwordx2 v[18:19], v[14:15], off offset:6
	global_load_dwordx2 v[20:21], v[16:17], off offset:4
	;; [unrolled: 1-line block ×3, first 2 shown]
	global_load_dword v24, v[12:13], off
	global_load_ushort v25, v[10:11], off
	v_mov_b32_e32 v12, 0
	v_add_u32_e32 v6, 32, v6
	v_cmp_le_u32_e32 vcc, s2, v6
	s_or_b64 s[0:1], vcc, s[0:1]
	s_waitcnt vmcnt(5)
	v_ashrrev_i32_e32 v13, v0, v2
	v_lshlrev_b32_e32 v15, 4, v13
	v_lshlrev_b32_e32 v16, 11, v13
	v_ashrrev_i32_e32 v2, v9, v2
	s_waitcnt vmcnt(4)
	v_and_b32_e32 v14, 0xf0f0f0f, v18
	s_waitcnt vmcnt(1)
	v_cvt_f32_f16_e32 v10, v24
	v_cvt_f32_f16_sdwa v11, v24 dst_sel:DWORD dst_unused:UNUSED_PAD src0_sel:WORD_1
	v_lshlrev_b32_e32 v17, 18, v13
	v_lshlrev_b32_e32 v24, 25, v13
	v_lshrrev_b32_e32 v26, 12, v13
	v_lshrrev_b32_e32 v27, 5, v13
	v_lshlrev_b32_e32 v28, 2, v13
	v_and_b32_e32 v15, 16, v15
	v_and_b32_e32 v16, 0x1000, v16
	v_lshrrev_b32_e32 v18, 4, v18
	v_lshlrev_b32_e32 v13, 9, v13
	v_lshlrev_b32_e32 v30, 4, v2
	;; [unrolled: 1-line block ×4, first 2 shown]
	v_and_b32_e32 v17, 0x100000, v17
	v_and_b32_e32 v24, 0x10000000, v24
	;; [unrolled: 1-line block ×5, first 2 shown]
	v_or3_b32 v14, v15, v14, v16
	v_lshlrev_b32_e32 v33, 25, v2
	v_lshrrev_b32_e32 v34, 12, v2
	v_lshrrev_b32_e32 v35, 5, v2
	v_lshlrev_b32_e32 v36, 2, v2
	v_and_b32_e32 v18, 0xf0f0f0f, v18
	v_and_b32_e32 v13, 0x10000000, v13
	;; [unrolled: 1-line block ×5, first 2 shown]
	v_or3_b32 v15, v27, v26, v28
	v_or3_b32 v14, v14, v17, v24
	v_and_b32_e32 v29, 0xf0f0f0f, v19
	v_lshrrev_b32_e32 v19, 4, v19
	v_lshlrev_b32_e32 v2, 9, v2
	v_and_b32_e32 v33, 0x10000000, v33
	v_and_b32_e32 v34, 16, v34
	;; [unrolled: 1-line block ×4, first 2 shown]
	v_or3_b32 v16, v31, v30, v32
	v_or3_b32 v13, v15, v13, v18
	v_dot4c_i32_i8_e32 v12, v14, v20
	v_and_b32_e32 v19, 0xf0f0f0f, v19
	v_and_b32_e32 v2, 0x10000000, v2
	v_or3_b32 v26, v35, v34, v36
	v_or3_b32 v15, v16, v33, v29
	v_dot4c_i32_i8_e32 v12, v13, v22
	v_or3_b32 v2, v26, v2, v19
	v_dot4c_i32_i8_e32 v12, v15, v21
	v_dot4c_i32_i8_e32 v12, v2, v23
	s_nop 2
	v_cvt_f32_i32_e32 v2, v12
	v_pk_mul_f32 v[10:11], v[2:3], v[10:11]
	s_nop 0
	v_sub_f32_e32 v2, v10, v11
	s_waitcnt vmcnt(0)
	v_fma_mix_f32 v7, v2, v25, v7 op_sel_hi:[0,1,0]
	s_andn2_b64 exec, exec, s[0:1]
	s_cbranch_execnz .LBB80_3
; %bb.4:
	s_or_b64 exec, exec, s[0:1]
.LBB80_5:
	s_or_b64 exec, exec, s[12:13]
	v_mbcnt_lo_u32_b32 v0, -1, 0
	v_mbcnt_hi_u32_b32 v1, -1, v0
	v_and_b32_e32 v0, 64, v1
	v_add_u32_e32 v2, 64, v0
	v_xor_b32_e32 v0, 32, v1
	v_cmp_lt_i32_e32 vcc, v0, v2
	v_xor_b32_e32 v3, 16, v1
	v_xor_b32_e32 v6, 8, v1
	v_cndmask_b32_e32 v0, v1, v0, vcc
	v_lshlrev_b32_e32 v0, 2, v0
	ds_bpermute_b32 v0, v0, v7
	v_cmp_lt_i32_e32 vcc, v3, v2
	s_waitcnt lgkmcnt(0)
	v_add_f32_e32 v0, v7, v0
	v_cndmask_b32_e32 v3, v1, v3, vcc
	v_lshlrev_b32_e32 v3, 2, v3
	ds_bpermute_b32 v3, v3, v0
	v_cmp_lt_i32_e32 vcc, v6, v2
	s_waitcnt lgkmcnt(0)
	v_add_f32_e32 v0, v0, v3
	v_cndmask_b32_e32 v3, v1, v6, vcc
	v_lshlrev_b32_e32 v3, 2, v3
	ds_bpermute_b32 v3, v3, v0
	v_xor_b32_e32 v6, 4, v1
	v_cmp_lt_i32_e32 vcc, v6, v2
	s_waitcnt lgkmcnt(0)
	v_add_f32_e32 v0, v0, v3
	v_cndmask_b32_e32 v3, v1, v6, vcc
	v_lshlrev_b32_e32 v3, 2, v3
	ds_bpermute_b32 v3, v3, v0
	v_xor_b32_e32 v6, 2, v1
	;; [unrolled: 7-line block ×3, first 2 shown]
	v_cmp_lt_i32_e32 vcc, v6, v2
	s_waitcnt lgkmcnt(0)
	v_add_f32_e32 v0, v0, v3
	v_cndmask_b32_e32 v1, v1, v6, vcc
	v_lshlrev_b32_e32 v1, 2, v1
	ds_bpermute_b32 v1, v1, v0
	v_cmp_eq_u32_e32 vcc, 0, v5
	s_and_b64 exec, exec, vcc
	s_cbranch_execz .LBB80_7
; %bb.6:
	s_waitcnt lgkmcnt(0)
	v_add_f32_e32 v0, v0, v1
	v_cvt_f16_f32_e32 v2, v0
	s_mul_i32 s0, s5, s3
	v_add_u32_e32 v0, s0, v4
	v_mov_b32_e32 v1, 0
	v_lshl_add_u64 v[0:1], v[0:1], 1, s[6:7]
	global_store_short v[0:1], v2, off
.LBB80_7:
	s_endpgm
	.section	.rodata,"a",@progbits
	.p2align	6, 0x0
	.amdhsa_kernel _ZL13mul_mat_vec_qIN3c104HalfELi32ELi4E10block_q5_0Li2EXadL_ZL17vec_dot_q5_0_q8_1PKvPK10block_q8_1RKiEEEvS4_S4_PT_iii
		.amdhsa_group_segment_fixed_size 0
		.amdhsa_private_segment_fixed_size 0
		.amdhsa_kernarg_size 296
		.amdhsa_user_sgpr_count 2
		.amdhsa_user_sgpr_dispatch_ptr 0
		.amdhsa_user_sgpr_queue_ptr 0
		.amdhsa_user_sgpr_kernarg_segment_ptr 1
		.amdhsa_user_sgpr_dispatch_id 0
		.amdhsa_user_sgpr_kernarg_preload_length 0
		.amdhsa_user_sgpr_kernarg_preload_offset 0
		.amdhsa_user_sgpr_private_segment_size 0
		.amdhsa_uses_dynamic_stack 0
		.amdhsa_enable_private_segment 0
		.amdhsa_system_sgpr_workgroup_id_x 1
		.amdhsa_system_sgpr_workgroup_id_y 1
		.amdhsa_system_sgpr_workgroup_id_z 0
		.amdhsa_system_sgpr_workgroup_info 0
		.amdhsa_system_vgpr_workitem_id 1
		.amdhsa_next_free_vgpr 37
		.amdhsa_next_free_sgpr 16
		.amdhsa_accum_offset 40
		.amdhsa_reserve_vcc 1
		.amdhsa_float_round_mode_32 0
		.amdhsa_float_round_mode_16_64 0
		.amdhsa_float_denorm_mode_32 3
		.amdhsa_float_denorm_mode_16_64 3
		.amdhsa_dx10_clamp 1
		.amdhsa_ieee_mode 1
		.amdhsa_fp16_overflow 0
		.amdhsa_tg_split 0
		.amdhsa_exception_fp_ieee_invalid_op 0
		.amdhsa_exception_fp_denorm_src 0
		.amdhsa_exception_fp_ieee_div_zero 0
		.amdhsa_exception_fp_ieee_overflow 0
		.amdhsa_exception_fp_ieee_underflow 0
		.amdhsa_exception_fp_ieee_inexact 0
		.amdhsa_exception_int_div_zero 0
	.end_amdhsa_kernel
	.section	.text._ZL13mul_mat_vec_qIN3c104HalfELi32ELi4E10block_q5_0Li2EXadL_ZL17vec_dot_q5_0_q8_1PKvPK10block_q8_1RKiEEEvS4_S4_PT_iii,"axG",@progbits,_ZL13mul_mat_vec_qIN3c104HalfELi32ELi4E10block_q5_0Li2EXadL_ZL17vec_dot_q5_0_q8_1PKvPK10block_q8_1RKiEEEvS4_S4_PT_iii,comdat
.Lfunc_end80:
	.size	_ZL13mul_mat_vec_qIN3c104HalfELi32ELi4E10block_q5_0Li2EXadL_ZL17vec_dot_q5_0_q8_1PKvPK10block_q8_1RKiEEEvS4_S4_PT_iii, .Lfunc_end80-_ZL13mul_mat_vec_qIN3c104HalfELi32ELi4E10block_q5_0Li2EXadL_ZL17vec_dot_q5_0_q8_1PKvPK10block_q8_1RKiEEEvS4_S4_PT_iii
                                        ; -- End function
	.set _ZL13mul_mat_vec_qIN3c104HalfELi32ELi4E10block_q5_0Li2EXadL_ZL17vec_dot_q5_0_q8_1PKvPK10block_q8_1RKiEEEvS4_S4_PT_iii.num_vgpr, 37
	.set _ZL13mul_mat_vec_qIN3c104HalfELi32ELi4E10block_q5_0Li2EXadL_ZL17vec_dot_q5_0_q8_1PKvPK10block_q8_1RKiEEEvS4_S4_PT_iii.num_agpr, 0
	.set _ZL13mul_mat_vec_qIN3c104HalfELi32ELi4E10block_q5_0Li2EXadL_ZL17vec_dot_q5_0_q8_1PKvPK10block_q8_1RKiEEEvS4_S4_PT_iii.numbered_sgpr, 16
	.set _ZL13mul_mat_vec_qIN3c104HalfELi32ELi4E10block_q5_0Li2EXadL_ZL17vec_dot_q5_0_q8_1PKvPK10block_q8_1RKiEEEvS4_S4_PT_iii.num_named_barrier, 0
	.set _ZL13mul_mat_vec_qIN3c104HalfELi32ELi4E10block_q5_0Li2EXadL_ZL17vec_dot_q5_0_q8_1PKvPK10block_q8_1RKiEEEvS4_S4_PT_iii.private_seg_size, 0
	.set _ZL13mul_mat_vec_qIN3c104HalfELi32ELi4E10block_q5_0Li2EXadL_ZL17vec_dot_q5_0_q8_1PKvPK10block_q8_1RKiEEEvS4_S4_PT_iii.uses_vcc, 1
	.set _ZL13mul_mat_vec_qIN3c104HalfELi32ELi4E10block_q5_0Li2EXadL_ZL17vec_dot_q5_0_q8_1PKvPK10block_q8_1RKiEEEvS4_S4_PT_iii.uses_flat_scratch, 0
	.set _ZL13mul_mat_vec_qIN3c104HalfELi32ELi4E10block_q5_0Li2EXadL_ZL17vec_dot_q5_0_q8_1PKvPK10block_q8_1RKiEEEvS4_S4_PT_iii.has_dyn_sized_stack, 0
	.set _ZL13mul_mat_vec_qIN3c104HalfELi32ELi4E10block_q5_0Li2EXadL_ZL17vec_dot_q5_0_q8_1PKvPK10block_q8_1RKiEEEvS4_S4_PT_iii.has_recursion, 0
	.set _ZL13mul_mat_vec_qIN3c104HalfELi32ELi4E10block_q5_0Li2EXadL_ZL17vec_dot_q5_0_q8_1PKvPK10block_q8_1RKiEEEvS4_S4_PT_iii.has_indirect_call, 0
	.section	.AMDGPU.csdata,"",@progbits
; Kernel info:
; codeLenInByte = 952
; TotalNumSgprs: 22
; NumVgprs: 37
; NumAgprs: 0
; TotalNumVgprs: 37
; ScratchSize: 0
; MemoryBound: 0
; FloatMode: 240
; IeeeMode: 1
; LDSByteSize: 0 bytes/workgroup (compile time only)
; SGPRBlocks: 2
; VGPRBlocks: 4
; NumSGPRsForWavesPerEU: 22
; NumVGPRsForWavesPerEU: 37
; AccumOffset: 40
; Occupancy: 8
; WaveLimiterHint : 0
; COMPUTE_PGM_RSRC2:SCRATCH_EN: 0
; COMPUTE_PGM_RSRC2:USER_SGPR: 2
; COMPUTE_PGM_RSRC2:TRAP_HANDLER: 0
; COMPUTE_PGM_RSRC2:TGID_X_EN: 1
; COMPUTE_PGM_RSRC2:TGID_Y_EN: 1
; COMPUTE_PGM_RSRC2:TGID_Z_EN: 0
; COMPUTE_PGM_RSRC2:TIDIG_COMP_CNT: 1
; COMPUTE_PGM_RSRC3_GFX90A:ACCUM_OFFSET: 9
; COMPUTE_PGM_RSRC3_GFX90A:TG_SPLIT: 0
	.section	.text._ZL13mul_mat_vec_qIN3c104HalfELi32ELi4E10block_q5_1Li2EXadL_ZL17vec_dot_q5_1_q8_1PKvPK10block_q8_1RKiEEEvS4_S4_PT_iii,"axG",@progbits,_ZL13mul_mat_vec_qIN3c104HalfELi32ELi4E10block_q5_1Li2EXadL_ZL17vec_dot_q5_1_q8_1PKvPK10block_q8_1RKiEEEvS4_S4_PT_iii,comdat
	.globl	_ZL13mul_mat_vec_qIN3c104HalfELi32ELi4E10block_q5_1Li2EXadL_ZL17vec_dot_q5_1_q8_1PKvPK10block_q8_1RKiEEEvS4_S4_PT_iii ; -- Begin function _ZL13mul_mat_vec_qIN3c104HalfELi32ELi4E10block_q5_1Li2EXadL_ZL17vec_dot_q5_1_q8_1PKvPK10block_q8_1RKiEEEvS4_S4_PT_iii
	.p2align	8
	.type	_ZL13mul_mat_vec_qIN3c104HalfELi32ELi4E10block_q5_1Li2EXadL_ZL17vec_dot_q5_1_q8_1PKvPK10block_q8_1RKiEEEvS4_S4_PT_iii,@function
_ZL13mul_mat_vec_qIN3c104HalfELi32ELi4E10block_q5_1Li2EXadL_ZL17vec_dot_q5_1_q8_1PKvPK10block_q8_1RKiEEEvS4_S4_PT_iii: ; @_ZL13mul_mat_vec_qIN3c104HalfELi32ELi4E10block_q5_1Li2EXadL_ZL17vec_dot_q5_1_q8_1PKvPK10block_q8_1RKiEEEvS4_S4_PT_iii
; %bb.0:
	s_load_dword s8, s[0:1], 0x34
	s_load_dwordx4 s[4:7], s[0:1], 0x18
	v_bfe_u32 v1, v0, 10, 10
	s_waitcnt lgkmcnt(0)
	s_lshr_b32 s7, s8, 16
	s_mul_i32 s2, s2, s7
	v_add_u32_e32 v4, s2, v1
	s_cmp_lt_u32 s3, s6
	v_cmp_gt_u32_e32 vcc, s5, v4
	s_cselect_b64 s[6:7], -1, 0
	s_and_b64 s[6:7], s[6:7], vcc
	s_and_saveexec_b64 s[8:9], s[6:7]
	s_cbranch_execz .LBB81_7
; %bb.1:
	s_load_dwordx2 s[6:7], s[0:1], 0x10
	s_ashr_i32 s2, s4, 31
	s_lshr_b32 s2, s2, 27
	s_add_i32 s2, s4, s2
	s_ashr_i32 s2, s2, 5
	v_bfe_u32 v6, v0, 1, 9
	v_and_b32_e32 v5, 0x3ff, v0
	v_cmp_gt_u32_e32 vcc, s2, v6
	v_mov_b32_e32 v7, 0
	s_and_saveexec_b64 s[12:13], vcc
	s_cbranch_execz .LBB81_5
; %bb.2:
	s_load_dwordx4 s[8:11], s[0:1], 0x0
	s_add_i32 s0, s4, 0x1ff
	s_ashr_i32 s1, s0, 31
	s_lshr_b32 s1, s1, 23
	s_add_i32 s0, s0, s1
	s_ashr_i32 s0, s0, 9
	v_lshlrev_b32_e32 v0, 3, v5
	s_mul_i32 s0, s3, s0
	v_and_b32_e32 v0, 8, v0
	v_mov_b32_e32 v1, 0
	v_mul_lo_u32 v8, v4, s2
	s_lshl_b32 s4, s0, 4
	v_or_b32_e32 v9, 4, v0
	s_mov_b64 s[0:1], 0
	v_mov_b32_e32 v3, 0.5
	v_mov_b32_e32 v7, v1
.LBB81_3:                               ; =>This Inner Loop Header: Depth=1
	v_add_u32_e32 v2, v8, v6
	v_add_u32_e32 v12, s4, v6
	s_waitcnt lgkmcnt(0)
	v_mad_i64_i32 v[10:11], s[14:15], v2, 24, s[8:9]
	v_mad_i64_i32 v[12:13], s[14:15], v12, 36, s[10:11]
	global_load_dwordx2 v[14:15], v[10:11], off
	v_lshl_add_u64 v[10:11], v[10:11], 0, v[0:1]
	v_lshl_add_u64 v[16:17], v[12:13], 0, v[0:1]
	global_load_dwordx2 v[18:19], v[10:11], off offset:8
	global_load_dwordx2 v[20:21], v[16:17], off offset:4
	;; [unrolled: 1-line block ×3, first 2 shown]
	global_load_dword v2, v[12:13], off
	v_mov_b32_e32 v12, 0
	v_add_u32_e32 v6, 32, v6
	v_cmp_le_u32_e32 vcc, s2, v6
	s_or_b64 s[0:1], vcc, s[0:1]
	s_waitcnt vmcnt(3)
	v_and_b32_e32 v13, 0xf0f0f0f, v18
	v_ashrrev_i32_e32 v10, v0, v15
	v_ashrrev_i32_e32 v11, v9, v15
	s_waitcnt vmcnt(0)
	v_pk_mul_f16 v2, v14, v2
	v_lshlrev_b32_e32 v14, 4, v10
	v_lshlrev_b32_e32 v15, 11, v10
	;; [unrolled: 1-line block ×4, first 2 shown]
	v_lshrrev_b32_e32 v18, 4, v18
	v_lshrrev_b32_e32 v24, 12, v10
	v_lshrrev_b32_e32 v25, 5, v10
	v_lshlrev_b32_e32 v26, 2, v10
	v_lshlrev_b32_e32 v27, 9, v10
	;; [unrolled: 1-line block ×6, first 2 shown]
	v_lshrrev_b32_e32 v33, 12, v11
	v_lshrrev_b32_e32 v34, 5, v11
	v_lshlrev_b32_e32 v35, 2, v11
	v_lshlrev_b32_e32 v36, 9, v11
	v_cvt_f32_f16_e32 v10, v2
	v_cvt_f32_f16_sdwa v11, v2 dst_sel:DWORD dst_unused:UNUSED_PAD src0_sel:WORD_1
	v_and_b32_e32 v2, 16, v14
	v_and_b32_e32 v14, 0x1000, v15
	;; [unrolled: 1-line block ×8, first 2 shown]
	v_or3_b32 v2, v2, v13, v14
	v_and_b32_e32 v26, 0x10000000, v27
	v_and_b32_e32 v27, 16, v29
	;; [unrolled: 1-line block ×4, first 2 shown]
	v_or3_b32 v13, v24, v18, v25
	v_or3_b32 v2, v2, v15, v16
	v_and_b32_e32 v28, 0xf0f0f0f, v19
	v_lshrrev_b32_e32 v19, 4, v19
	v_and_b32_e32 v31, 0x10000000, v32
	v_and_b32_e32 v32, 16, v33
	;; [unrolled: 1-line block ×4, first 2 shown]
	v_or3_b32 v14, v29, v27, v30
	v_or3_b32 v13, v13, v26, v17
	v_dot4c_i32_i8_e32 v12, v2, v20
	v_and_b32_e32 v19, 0xf0f0f0f, v19
	v_and_b32_e32 v35, 0x10000000, v36
	v_or3_b32 v18, v33, v32, v34
	v_or3_b32 v14, v14, v31, v28
	v_dot4c_i32_i8_e32 v12, v13, v22
	v_or3_b32 v15, v18, v35, v19
	v_dot4c_i32_i8_e32 v12, v14, v21
	v_dot4c_i32_i8_e32 v12, v15, v23
	s_nop 2
	v_cvt_f32_i32_e32 v2, v12
	v_pk_mul_f32 v[10:11], v[2:3], v[10:11]
	s_nop 0
	v_add_f32_e32 v2, v11, v10
	v_add_f32_e32 v7, v7, v2
	s_andn2_b64 exec, exec, s[0:1]
	s_cbranch_execnz .LBB81_3
; %bb.4:
	s_or_b64 exec, exec, s[0:1]
.LBB81_5:
	s_or_b64 exec, exec, s[12:13]
	v_mbcnt_lo_u32_b32 v0, -1, 0
	v_mbcnt_hi_u32_b32 v1, -1, v0
	v_and_b32_e32 v0, 64, v1
	v_add_u32_e32 v2, 64, v0
	v_xor_b32_e32 v0, 32, v1
	v_cmp_lt_i32_e32 vcc, v0, v2
	v_xor_b32_e32 v3, 16, v1
	v_xor_b32_e32 v6, 8, v1
	v_cndmask_b32_e32 v0, v1, v0, vcc
	v_lshlrev_b32_e32 v0, 2, v0
	ds_bpermute_b32 v0, v0, v7
	v_cmp_lt_i32_e32 vcc, v3, v2
	s_waitcnt lgkmcnt(0)
	v_add_f32_e32 v0, v7, v0
	v_cndmask_b32_e32 v3, v1, v3, vcc
	v_lshlrev_b32_e32 v3, 2, v3
	ds_bpermute_b32 v3, v3, v0
	v_cmp_lt_i32_e32 vcc, v6, v2
	s_waitcnt lgkmcnt(0)
	v_add_f32_e32 v0, v0, v3
	v_cndmask_b32_e32 v3, v1, v6, vcc
	v_lshlrev_b32_e32 v3, 2, v3
	ds_bpermute_b32 v3, v3, v0
	v_xor_b32_e32 v6, 4, v1
	v_cmp_lt_i32_e32 vcc, v6, v2
	s_waitcnt lgkmcnt(0)
	v_add_f32_e32 v0, v0, v3
	v_cndmask_b32_e32 v3, v1, v6, vcc
	v_lshlrev_b32_e32 v3, 2, v3
	ds_bpermute_b32 v3, v3, v0
	v_xor_b32_e32 v6, 2, v1
	;; [unrolled: 7-line block ×3, first 2 shown]
	v_cmp_lt_i32_e32 vcc, v6, v2
	s_waitcnt lgkmcnt(0)
	v_add_f32_e32 v0, v0, v3
	v_cndmask_b32_e32 v1, v1, v6, vcc
	v_lshlrev_b32_e32 v1, 2, v1
	ds_bpermute_b32 v1, v1, v0
	v_cmp_eq_u32_e32 vcc, 0, v5
	s_and_b64 exec, exec, vcc
	s_cbranch_execz .LBB81_7
; %bb.6:
	s_waitcnt lgkmcnt(0)
	v_add_f32_e32 v0, v0, v1
	v_cvt_f16_f32_e32 v2, v0
	s_mul_i32 s0, s5, s3
	v_add_u32_e32 v0, s0, v4
	v_mov_b32_e32 v1, 0
	v_lshl_add_u64 v[0:1], v[0:1], 1, s[6:7]
	global_store_short v[0:1], v2, off
.LBB81_7:
	s_endpgm
	.section	.rodata,"a",@progbits
	.p2align	6, 0x0
	.amdhsa_kernel _ZL13mul_mat_vec_qIN3c104HalfELi32ELi4E10block_q5_1Li2EXadL_ZL17vec_dot_q5_1_q8_1PKvPK10block_q8_1RKiEEEvS4_S4_PT_iii
		.amdhsa_group_segment_fixed_size 0
		.amdhsa_private_segment_fixed_size 0
		.amdhsa_kernarg_size 296
		.amdhsa_user_sgpr_count 2
		.amdhsa_user_sgpr_dispatch_ptr 0
		.amdhsa_user_sgpr_queue_ptr 0
		.amdhsa_user_sgpr_kernarg_segment_ptr 1
		.amdhsa_user_sgpr_dispatch_id 0
		.amdhsa_user_sgpr_kernarg_preload_length 0
		.amdhsa_user_sgpr_kernarg_preload_offset 0
		.amdhsa_user_sgpr_private_segment_size 0
		.amdhsa_uses_dynamic_stack 0
		.amdhsa_enable_private_segment 0
		.amdhsa_system_sgpr_workgroup_id_x 1
		.amdhsa_system_sgpr_workgroup_id_y 1
		.amdhsa_system_sgpr_workgroup_id_z 0
		.amdhsa_system_sgpr_workgroup_info 0
		.amdhsa_system_vgpr_workitem_id 1
		.amdhsa_next_free_vgpr 37
		.amdhsa_next_free_sgpr 16
		.amdhsa_accum_offset 40
		.amdhsa_reserve_vcc 1
		.amdhsa_float_round_mode_32 0
		.amdhsa_float_round_mode_16_64 0
		.amdhsa_float_denorm_mode_32 3
		.amdhsa_float_denorm_mode_16_64 3
		.amdhsa_dx10_clamp 1
		.amdhsa_ieee_mode 1
		.amdhsa_fp16_overflow 0
		.amdhsa_tg_split 0
		.amdhsa_exception_fp_ieee_invalid_op 0
		.amdhsa_exception_fp_denorm_src 0
		.amdhsa_exception_fp_ieee_div_zero 0
		.amdhsa_exception_fp_ieee_overflow 0
		.amdhsa_exception_fp_ieee_underflow 0
		.amdhsa_exception_fp_ieee_inexact 0
		.amdhsa_exception_int_div_zero 0
	.end_amdhsa_kernel
	.section	.text._ZL13mul_mat_vec_qIN3c104HalfELi32ELi4E10block_q5_1Li2EXadL_ZL17vec_dot_q5_1_q8_1PKvPK10block_q8_1RKiEEEvS4_S4_PT_iii,"axG",@progbits,_ZL13mul_mat_vec_qIN3c104HalfELi32ELi4E10block_q5_1Li2EXadL_ZL17vec_dot_q5_1_q8_1PKvPK10block_q8_1RKiEEEvS4_S4_PT_iii,comdat
.Lfunc_end81:
	.size	_ZL13mul_mat_vec_qIN3c104HalfELi32ELi4E10block_q5_1Li2EXadL_ZL17vec_dot_q5_1_q8_1PKvPK10block_q8_1RKiEEEvS4_S4_PT_iii, .Lfunc_end81-_ZL13mul_mat_vec_qIN3c104HalfELi32ELi4E10block_q5_1Li2EXadL_ZL17vec_dot_q5_1_q8_1PKvPK10block_q8_1RKiEEEvS4_S4_PT_iii
                                        ; -- End function
	.set _ZL13mul_mat_vec_qIN3c104HalfELi32ELi4E10block_q5_1Li2EXadL_ZL17vec_dot_q5_1_q8_1PKvPK10block_q8_1RKiEEEvS4_S4_PT_iii.num_vgpr, 37
	.set _ZL13mul_mat_vec_qIN3c104HalfELi32ELi4E10block_q5_1Li2EXadL_ZL17vec_dot_q5_1_q8_1PKvPK10block_q8_1RKiEEEvS4_S4_PT_iii.num_agpr, 0
	.set _ZL13mul_mat_vec_qIN3c104HalfELi32ELi4E10block_q5_1Li2EXadL_ZL17vec_dot_q5_1_q8_1PKvPK10block_q8_1RKiEEEvS4_S4_PT_iii.numbered_sgpr, 16
	.set _ZL13mul_mat_vec_qIN3c104HalfELi32ELi4E10block_q5_1Li2EXadL_ZL17vec_dot_q5_1_q8_1PKvPK10block_q8_1RKiEEEvS4_S4_PT_iii.num_named_barrier, 0
	.set _ZL13mul_mat_vec_qIN3c104HalfELi32ELi4E10block_q5_1Li2EXadL_ZL17vec_dot_q5_1_q8_1PKvPK10block_q8_1RKiEEEvS4_S4_PT_iii.private_seg_size, 0
	.set _ZL13mul_mat_vec_qIN3c104HalfELi32ELi4E10block_q5_1Li2EXadL_ZL17vec_dot_q5_1_q8_1PKvPK10block_q8_1RKiEEEvS4_S4_PT_iii.uses_vcc, 1
	.set _ZL13mul_mat_vec_qIN3c104HalfELi32ELi4E10block_q5_1Li2EXadL_ZL17vec_dot_q5_1_q8_1PKvPK10block_q8_1RKiEEEvS4_S4_PT_iii.uses_flat_scratch, 0
	.set _ZL13mul_mat_vec_qIN3c104HalfELi32ELi4E10block_q5_1Li2EXadL_ZL17vec_dot_q5_1_q8_1PKvPK10block_q8_1RKiEEEvS4_S4_PT_iii.has_dyn_sized_stack, 0
	.set _ZL13mul_mat_vec_qIN3c104HalfELi32ELi4E10block_q5_1Li2EXadL_ZL17vec_dot_q5_1_q8_1PKvPK10block_q8_1RKiEEEvS4_S4_PT_iii.has_recursion, 0
	.set _ZL13mul_mat_vec_qIN3c104HalfELi32ELi4E10block_q5_1Li2EXadL_ZL17vec_dot_q5_1_q8_1PKvPK10block_q8_1RKiEEEvS4_S4_PT_iii.has_indirect_call, 0
	.section	.AMDGPU.csdata,"",@progbits
; Kernel info:
; codeLenInByte = 936
; TotalNumSgprs: 22
; NumVgprs: 37
; NumAgprs: 0
; TotalNumVgprs: 37
; ScratchSize: 0
; MemoryBound: 0
; FloatMode: 240
; IeeeMode: 1
; LDSByteSize: 0 bytes/workgroup (compile time only)
; SGPRBlocks: 2
; VGPRBlocks: 4
; NumSGPRsForWavesPerEU: 22
; NumVGPRsForWavesPerEU: 37
; AccumOffset: 40
; Occupancy: 8
; WaveLimiterHint : 0
; COMPUTE_PGM_RSRC2:SCRATCH_EN: 0
; COMPUTE_PGM_RSRC2:USER_SGPR: 2
; COMPUTE_PGM_RSRC2:TRAP_HANDLER: 0
; COMPUTE_PGM_RSRC2:TGID_X_EN: 1
; COMPUTE_PGM_RSRC2:TGID_Y_EN: 1
; COMPUTE_PGM_RSRC2:TGID_Z_EN: 0
; COMPUTE_PGM_RSRC2:TIDIG_COMP_CNT: 1
; COMPUTE_PGM_RSRC3_GFX90A:ACCUM_OFFSET: 9
; COMPUTE_PGM_RSRC3_GFX90A:TG_SPLIT: 0
	.section	.text._ZL13mul_mat_vec_qIN3c104HalfELi32ELi8E10block_q8_0Li2EXadL_ZL17vec_dot_q8_0_q8_1PKvPK10block_q8_1RKiEEEvS4_S4_PT_iii,"axG",@progbits,_ZL13mul_mat_vec_qIN3c104HalfELi32ELi8E10block_q8_0Li2EXadL_ZL17vec_dot_q8_0_q8_1PKvPK10block_q8_1RKiEEEvS4_S4_PT_iii,comdat
	.globl	_ZL13mul_mat_vec_qIN3c104HalfELi32ELi8E10block_q8_0Li2EXadL_ZL17vec_dot_q8_0_q8_1PKvPK10block_q8_1RKiEEEvS4_S4_PT_iii ; -- Begin function _ZL13mul_mat_vec_qIN3c104HalfELi32ELi8E10block_q8_0Li2EXadL_ZL17vec_dot_q8_0_q8_1PKvPK10block_q8_1RKiEEEvS4_S4_PT_iii
	.p2align	8
	.type	_ZL13mul_mat_vec_qIN3c104HalfELi32ELi8E10block_q8_0Li2EXadL_ZL17vec_dot_q8_0_q8_1PKvPK10block_q8_1RKiEEEvS4_S4_PT_iii,@function
_ZL13mul_mat_vec_qIN3c104HalfELi32ELi8E10block_q8_0Li2EXadL_ZL17vec_dot_q8_0_q8_1PKvPK10block_q8_1RKiEEEvS4_S4_PT_iii: ; @_ZL13mul_mat_vec_qIN3c104HalfELi32ELi8E10block_q8_0Li2EXadL_ZL17vec_dot_q8_0_q8_1PKvPK10block_q8_1RKiEEEvS4_S4_PT_iii
; %bb.0:
	s_load_dword s8, s[0:1], 0x34
	s_load_dwordx4 s[4:7], s[0:1], 0x18
	v_bfe_u32 v1, v0, 10, 10
	s_waitcnt lgkmcnt(0)
	s_lshr_b32 s7, s8, 16
	s_mul_i32 s2, s2, s7
	v_add_u32_e32 v2, s2, v1
	s_cmp_lt_u32 s3, s6
	v_cmp_gt_u32_e32 vcc, s5, v2
	s_cselect_b64 s[6:7], -1, 0
	s_and_b64 s[6:7], s[6:7], vcc
	s_and_saveexec_b64 s[8:9], s[6:7]
	s_cbranch_execz .LBB82_7
; %bb.1:
	s_load_dwordx2 s[6:7], s[0:1], 0x10
	s_ashr_i32 s2, s4, 31
	s_lshr_b32 s2, s2, 27
	s_add_i32 s2, s4, s2
	s_ashr_i32 s2, s2, 5
	v_bfe_u32 v5, v0, 2, 8
	v_and_b32_e32 v3, 0x3ff, v0
	v_cmp_gt_u32_e32 vcc, s2, v5
	v_mov_b32_e32 v4, 0
	s_and_saveexec_b64 s[12:13], vcc
	s_cbranch_execz .LBB82_5
; %bb.2:
	s_load_dwordx4 s[8:11], s[0:1], 0x0
	s_add_i32 s0, s4, 0x1ff
	s_ashr_i32 s1, s0, 31
	s_lshr_b32 s1, s1, 23
	s_add_i32 s0, s0, s1
	s_ashr_i32 s0, s0, 9
	s_mul_i32 s0, s3, s0
	v_lshlrev_b32_e32 v0, 3, v3
	v_mov_b32_e32 v1, 0
	v_mul_lo_u32 v6, v2, s2
	s_lshl_b32 s4, s0, 4
	v_and_b32_e32 v0, 24, v0
	s_mov_b64 s[0:1], 0
	v_mov_b32_e32 v4, v1
.LBB82_3:                               ; =>This Inner Loop Header: Depth=1
	v_add_u32_e32 v7, v6, v5
	v_add_u32_e32 v10, s4, v5
	s_waitcnt lgkmcnt(0)
	v_mad_i64_i32 v[8:9], s[14:15], v7, 34, s[8:9]
	v_mad_i64_i32 v[10:11], s[14:15], v10, 36, s[10:11]
	v_lshl_add_u64 v[12:13], v[8:9], 0, v[0:1]
	v_lshl_add_u64 v[14:15], v[10:11], 0, v[0:1]
	global_load_ushort v7, v[8:9], off
	global_load_dwordx2 v[16:17], v[12:13], off offset:2
	global_load_dwordx2 v[18:19], v[14:15], off offset:4
	global_load_dword v20, v[10:11], off
	v_mov_b32_e32 v8, 0
	v_add_u32_e32 v5, 16, v5
	v_cmp_le_u32_e32 vcc, s2, v5
	s_or_b64 s[0:1], vcc, s[0:1]
	s_waitcnt vmcnt(3)
	v_cvt_f32_f16_e32 v7, v7
	s_waitcnt vmcnt(1)
	v_dot4c_i32_i8_e32 v8, v16, v18
	s_waitcnt vmcnt(0)
	v_cvt_f32_f16_e32 v9, v20
	v_dot4c_i32_i8_e32 v8, v17, v19
	v_mul_f32_e32 v7, v7, v9
	s_nop 1
	v_cvt_f32_i32_e32 v8, v8
	v_fmac_f32_e32 v4, v7, v8
	s_andn2_b64 exec, exec, s[0:1]
	s_cbranch_execnz .LBB82_3
; %bb.4:
	s_or_b64 exec, exec, s[0:1]
.LBB82_5:
	s_or_b64 exec, exec, s[12:13]
	v_mbcnt_lo_u32_b32 v0, -1, 0
	v_mbcnt_hi_u32_b32 v1, -1, v0
	v_and_b32_e32 v0, 64, v1
	v_add_u32_e32 v5, 64, v0
	v_xor_b32_e32 v0, 32, v1
	v_cmp_lt_i32_e32 vcc, v0, v5
	v_xor_b32_e32 v6, 16, v1
	s_nop 0
	v_cndmask_b32_e32 v0, v1, v0, vcc
	v_lshlrev_b32_e32 v0, 2, v0
	ds_bpermute_b32 v0, v0, v4
	v_cmp_lt_i32_e32 vcc, v6, v5
	s_waitcnt lgkmcnt(0)
	v_add_f32_e32 v0, v4, v0
	v_cndmask_b32_e32 v4, v1, v6, vcc
	v_lshlrev_b32_e32 v4, 2, v4
	ds_bpermute_b32 v4, v4, v0
	v_xor_b32_e32 v6, 8, v1
	v_cmp_lt_i32_e32 vcc, v6, v5
	s_waitcnt lgkmcnt(0)
	v_add_f32_e32 v0, v0, v4
	v_cndmask_b32_e32 v4, v1, v6, vcc
	v_lshlrev_b32_e32 v4, 2, v4
	ds_bpermute_b32 v4, v4, v0
	v_xor_b32_e32 v6, 4, v1
	;; [unrolled: 7-line block ×4, first 2 shown]
	v_cmp_lt_i32_e32 vcc, v6, v5
	s_waitcnt lgkmcnt(0)
	v_add_f32_e32 v0, v0, v4
	v_cndmask_b32_e32 v1, v1, v6, vcc
	v_lshlrev_b32_e32 v1, 2, v1
	ds_bpermute_b32 v1, v1, v0
	v_cmp_eq_u32_e32 vcc, 0, v3
	s_and_b64 exec, exec, vcc
	s_cbranch_execz .LBB82_7
; %bb.6:
	s_waitcnt lgkmcnt(0)
	v_add_f32_e32 v0, v0, v1
	v_cvt_f16_f32_e32 v3, v0
	s_mul_i32 s0, s5, s3
	v_add_u32_e32 v0, s0, v2
	v_mov_b32_e32 v1, 0
	v_lshl_add_u64 v[0:1], v[0:1], 1, s[6:7]
	global_store_short v[0:1], v3, off
.LBB82_7:
	s_endpgm
	.section	.rodata,"a",@progbits
	.p2align	6, 0x0
	.amdhsa_kernel _ZL13mul_mat_vec_qIN3c104HalfELi32ELi8E10block_q8_0Li2EXadL_ZL17vec_dot_q8_0_q8_1PKvPK10block_q8_1RKiEEEvS4_S4_PT_iii
		.amdhsa_group_segment_fixed_size 0
		.amdhsa_private_segment_fixed_size 0
		.amdhsa_kernarg_size 296
		.amdhsa_user_sgpr_count 2
		.amdhsa_user_sgpr_dispatch_ptr 0
		.amdhsa_user_sgpr_queue_ptr 0
		.amdhsa_user_sgpr_kernarg_segment_ptr 1
		.amdhsa_user_sgpr_dispatch_id 0
		.amdhsa_user_sgpr_kernarg_preload_length 0
		.amdhsa_user_sgpr_kernarg_preload_offset 0
		.amdhsa_user_sgpr_private_segment_size 0
		.amdhsa_uses_dynamic_stack 0
		.amdhsa_enable_private_segment 0
		.amdhsa_system_sgpr_workgroup_id_x 1
		.amdhsa_system_sgpr_workgroup_id_y 1
		.amdhsa_system_sgpr_workgroup_id_z 0
		.amdhsa_system_sgpr_workgroup_info 0
		.amdhsa_system_vgpr_workitem_id 1
		.amdhsa_next_free_vgpr 21
		.amdhsa_next_free_sgpr 16
		.amdhsa_accum_offset 24
		.amdhsa_reserve_vcc 1
		.amdhsa_float_round_mode_32 0
		.amdhsa_float_round_mode_16_64 0
		.amdhsa_float_denorm_mode_32 3
		.amdhsa_float_denorm_mode_16_64 3
		.amdhsa_dx10_clamp 1
		.amdhsa_ieee_mode 1
		.amdhsa_fp16_overflow 0
		.amdhsa_tg_split 0
		.amdhsa_exception_fp_ieee_invalid_op 0
		.amdhsa_exception_fp_denorm_src 0
		.amdhsa_exception_fp_ieee_div_zero 0
		.amdhsa_exception_fp_ieee_overflow 0
		.amdhsa_exception_fp_ieee_underflow 0
		.amdhsa_exception_fp_ieee_inexact 0
		.amdhsa_exception_int_div_zero 0
	.end_amdhsa_kernel
	.section	.text._ZL13mul_mat_vec_qIN3c104HalfELi32ELi8E10block_q8_0Li2EXadL_ZL17vec_dot_q8_0_q8_1PKvPK10block_q8_1RKiEEEvS4_S4_PT_iii,"axG",@progbits,_ZL13mul_mat_vec_qIN3c104HalfELi32ELi8E10block_q8_0Li2EXadL_ZL17vec_dot_q8_0_q8_1PKvPK10block_q8_1RKiEEEvS4_S4_PT_iii,comdat
.Lfunc_end82:
	.size	_ZL13mul_mat_vec_qIN3c104HalfELi32ELi8E10block_q8_0Li2EXadL_ZL17vec_dot_q8_0_q8_1PKvPK10block_q8_1RKiEEEvS4_S4_PT_iii, .Lfunc_end82-_ZL13mul_mat_vec_qIN3c104HalfELi32ELi8E10block_q8_0Li2EXadL_ZL17vec_dot_q8_0_q8_1PKvPK10block_q8_1RKiEEEvS4_S4_PT_iii
                                        ; -- End function
	.set _ZL13mul_mat_vec_qIN3c104HalfELi32ELi8E10block_q8_0Li2EXadL_ZL17vec_dot_q8_0_q8_1PKvPK10block_q8_1RKiEEEvS4_S4_PT_iii.num_vgpr, 21
	.set _ZL13mul_mat_vec_qIN3c104HalfELi32ELi8E10block_q8_0Li2EXadL_ZL17vec_dot_q8_0_q8_1PKvPK10block_q8_1RKiEEEvS4_S4_PT_iii.num_agpr, 0
	.set _ZL13mul_mat_vec_qIN3c104HalfELi32ELi8E10block_q8_0Li2EXadL_ZL17vec_dot_q8_0_q8_1PKvPK10block_q8_1RKiEEEvS4_S4_PT_iii.numbered_sgpr, 16
	.set _ZL13mul_mat_vec_qIN3c104HalfELi32ELi8E10block_q8_0Li2EXadL_ZL17vec_dot_q8_0_q8_1PKvPK10block_q8_1RKiEEEvS4_S4_PT_iii.num_named_barrier, 0
	.set _ZL13mul_mat_vec_qIN3c104HalfELi32ELi8E10block_q8_0Li2EXadL_ZL17vec_dot_q8_0_q8_1PKvPK10block_q8_1RKiEEEvS4_S4_PT_iii.private_seg_size, 0
	.set _ZL13mul_mat_vec_qIN3c104HalfELi32ELi8E10block_q8_0Li2EXadL_ZL17vec_dot_q8_0_q8_1PKvPK10block_q8_1RKiEEEvS4_S4_PT_iii.uses_vcc, 1
	.set _ZL13mul_mat_vec_qIN3c104HalfELi32ELi8E10block_q8_0Li2EXadL_ZL17vec_dot_q8_0_q8_1PKvPK10block_q8_1RKiEEEvS4_S4_PT_iii.uses_flat_scratch, 0
	.set _ZL13mul_mat_vec_qIN3c104HalfELi32ELi8E10block_q8_0Li2EXadL_ZL17vec_dot_q8_0_q8_1PKvPK10block_q8_1RKiEEEvS4_S4_PT_iii.has_dyn_sized_stack, 0
	.set _ZL13mul_mat_vec_qIN3c104HalfELi32ELi8E10block_q8_0Li2EXadL_ZL17vec_dot_q8_0_q8_1PKvPK10block_q8_1RKiEEEvS4_S4_PT_iii.has_recursion, 0
	.set _ZL13mul_mat_vec_qIN3c104HalfELi32ELi8E10block_q8_0Li2EXadL_ZL17vec_dot_q8_0_q8_1PKvPK10block_q8_1RKiEEEvS4_S4_PT_iii.has_indirect_call, 0
	.section	.AMDGPU.csdata,"",@progbits
; Kernel info:
; codeLenInByte = 608
; TotalNumSgprs: 22
; NumVgprs: 21
; NumAgprs: 0
; TotalNumVgprs: 21
; ScratchSize: 0
; MemoryBound: 0
; FloatMode: 240
; IeeeMode: 1
; LDSByteSize: 0 bytes/workgroup (compile time only)
; SGPRBlocks: 2
; VGPRBlocks: 2
; NumSGPRsForWavesPerEU: 22
; NumVGPRsForWavesPerEU: 21
; AccumOffset: 24
; Occupancy: 8
; WaveLimiterHint : 0
; COMPUTE_PGM_RSRC2:SCRATCH_EN: 0
; COMPUTE_PGM_RSRC2:USER_SGPR: 2
; COMPUTE_PGM_RSRC2:TRAP_HANDLER: 0
; COMPUTE_PGM_RSRC2:TGID_X_EN: 1
; COMPUTE_PGM_RSRC2:TGID_Y_EN: 1
; COMPUTE_PGM_RSRC2:TGID_Z_EN: 0
; COMPUTE_PGM_RSRC2:TIDIG_COMP_CNT: 1
; COMPUTE_PGM_RSRC3_GFX90A:ACCUM_OFFSET: 5
; COMPUTE_PGM_RSRC3_GFX90A:TG_SPLIT: 0
	.section	.text._ZL13mul_mat_vec_qIN3c104HalfELi256ELi16E10block_q2_KLi1EXadL_ZL17vec_dot_q2_K_q8_1PKvPK10block_q8_1RKiEEEvS4_S4_PT_iii,"axG",@progbits,_ZL13mul_mat_vec_qIN3c104HalfELi256ELi16E10block_q2_KLi1EXadL_ZL17vec_dot_q2_K_q8_1PKvPK10block_q8_1RKiEEEvS4_S4_PT_iii,comdat
	.globl	_ZL13mul_mat_vec_qIN3c104HalfELi256ELi16E10block_q2_KLi1EXadL_ZL17vec_dot_q2_K_q8_1PKvPK10block_q8_1RKiEEEvS4_S4_PT_iii ; -- Begin function _ZL13mul_mat_vec_qIN3c104HalfELi256ELi16E10block_q2_KLi1EXadL_ZL17vec_dot_q2_K_q8_1PKvPK10block_q8_1RKiEEEvS4_S4_PT_iii
	.p2align	8
	.type	_ZL13mul_mat_vec_qIN3c104HalfELi256ELi16E10block_q2_KLi1EXadL_ZL17vec_dot_q2_K_q8_1PKvPK10block_q8_1RKiEEEvS4_S4_PT_iii,@function
_ZL13mul_mat_vec_qIN3c104HalfELi256ELi16E10block_q2_KLi1EXadL_ZL17vec_dot_q2_K_q8_1PKvPK10block_q8_1RKiEEEvS4_S4_PT_iii: ; @_ZL13mul_mat_vec_qIN3c104HalfELi256ELi16E10block_q2_KLi1EXadL_ZL17vec_dot_q2_K_q8_1PKvPK10block_q8_1RKiEEEvS4_S4_PT_iii
; %bb.0:
	s_load_dword s8, s[0:1], 0x34
	s_load_dwordx4 s[4:7], s[0:1], 0x18
	v_bfe_u32 v1, v0, 10, 10
	s_waitcnt lgkmcnt(0)
	s_lshr_b32 s7, s8, 16
	s_mul_i32 s2, s2, s7
	v_add_u32_e32 v10, s2, v1
	s_cmp_lt_u32 s3, s6
	v_cmp_gt_u32_e32 vcc, s5, v10
	s_cselect_b64 s[6:7], -1, 0
	s_and_b64 s[6:7], s[6:7], vcc
	s_and_saveexec_b64 s[8:9], s[6:7]
	s_cbranch_execz .LBB83_7
; %bb.1:
	s_load_dwordx2 s[6:7], s[0:1], 0x10
	s_ashr_i32 s2, s4, 31
	s_lshr_b32 s2, s2, 24
	s_add_i32 s2, s4, s2
	s_ashr_i32 s2, s2, 8
	v_bfe_u32 v12, v0, 4, 6
	v_and_b32_e32 v11, 0x3ff, v0
	v_cmp_gt_u32_e32 vcc, s2, v12
	v_mov_b32_e32 v14, 0
	s_and_saveexec_b64 s[8:9], vcc
	s_cbranch_execz .LBB83_5
; %bb.2:
	s_load_dwordx4 s[12:15], s[0:1], 0x0
	s_add_i32 s0, s4, 0x1ff
	s_ashr_i32 s1, s0, 31
	v_and_b32_e32 v8, 15, v11
	s_lshr_b32 s1, s1, 23
	v_mov_b32_e32 v1, 0
	v_subrev_co_u32_e32 v2, vcc, 8, v8
	s_add_i32 s0, s0, s1
	v_lshrrev_b32_e32 v0, 1, v11
	v_cndmask_b32_e32 v6, v2, v8, vcc
	v_mov_b32_e32 v7, v1
	s_ashr_i32 s0, s0, 9
	v_and_b32_e32 v4, 4, v0
	v_lshlrev_b64 v[2:3], 2, v[6:7]
	v_sub_u32_e32 v7, v8, v6
	v_cmp_lt_u32_e32 vcc, 3, v6
	s_mul_i32 s4, s3, s0
	v_lshlrev_b32_e32 v0, 2, v8
	s_waitcnt lgkmcnt(0)
	v_mad_u64_u32 v[4:5], s[0:1], v4, 36, s[14:15]
	v_addc_co_u32_e32 v6, vcc, 0, v7, vcc
	v_lshlrev_b32_e32 v8, 3, v12
	v_mul_lo_u32 v13, v10, s2
	v_ashrrev_i32_e32 v7, 31, v6
	v_lshl_add_u32 v15, s4, 4, v8
	s_mov_b64 s[0:1], 0
	s_movk_i32 s4, 0x54
	v_mov_b64_e32 v[8:9], s[12:13]
	s_mov_b32 s10, 0x1010101
	v_mov_b32_e32 v14, v1
.LBB83_3:                               ; =>This Inner Loop Header: Depth=1
	v_mad_i64_i32 v[16:17], s[12:13], v15, 36, v[4:5]
	v_add_u32_e32 v18, v13, v12
	v_lshl_add_u64 v[20:21], v[16:17], 0, v[2:3]
	v_mad_i64_i32 v[18:19], s[12:13], v18, s4, v[8:9]
	global_load_dword v24, v[16:17], off
	global_load_dword v25, v[16:17], off offset:36
	global_load_dword v26, v[16:17], off offset:72
	;; [unrolled: 1-line block ×7, first 2 shown]
	v_lshl_add_u64 v[22:23], v[18:19], 0, v[0:1]
	v_lshl_add_u64 v[16:17], v[18:19], 0, v[6:7]
	global_load_dword v21, v[22:23], off offset:16
	global_load_ubyte v32, v[16:17], off
	global_load_ubyte v33, v[16:17], off offset:2
	global_load_ubyte v34, v[16:17], off offset:4
	;; [unrolled: 1-line block ×3, first 2 shown]
	global_load_dword v36, v[18:19], off offset:80
	v_mov_b32_e32 v17, 0
	v_mov_b32_e32 v19, 0
	;; [unrolled: 1-line block ×8, first 2 shown]
	v_add_u32_e32 v12, 4, v12
	v_cmp_le_u32_e32 vcc, s2, v12
	v_add_u32_e32 v15, 32, v15
	s_or_b64 s[0:1], vcc, s[0:1]
	s_waitcnt vmcnt(13)
	v_cvt_f32_f16_e32 v16, v24
	s_waitcnt vmcnt(5)
	v_lshrrev_b32_e32 v42, 2, v21
	v_cvt_f32_f16_e32 v20, v26
	v_cvt_f32_f16_e32 v22, v31
	v_and_b32_e32 v26, 0x3030303, v21
	s_waitcnt vmcnt(4)
	v_and_b32_e32 v31, 15, v32
	v_lshrrev_b32_e32 v32, 4, v32
	s_waitcnt vmcnt(3)
	v_and_b32_e32 v43, 15, v33
	v_lshrrev_b32_e32 v33, 4, v33
	v_lshrrev_b32_e32 v44, 4, v21
	;; [unrolled: 1-line block ×3, first 2 shown]
	v_dot4c_i32_i8_e32 v17, v26, v27
	v_mul_lo_u32 v26, v32, s10
	v_and_b32_e32 v32, 0x3030303, v42
	v_cvt_f32_f16_e32 v18, v25
	s_waitcnt vmcnt(2)
	v_and_b32_e32 v45, 15, v34
	v_lshrrev_b32_e32 v34, 4, v34
	s_waitcnt vmcnt(0)
	v_cvt_f32_f16_e32 v24, v36
	v_cvt_f32_f16_sdwa v25, v36 dst_sel:DWORD dst_unused:UNUSED_PAD src0_sel:WORD_1
	v_mul_lo_u32 v33, v33, s10
	v_and_b32_e32 v36, 0x3030303, v44
	v_and_b32_e32 v21, 0x3030303, v21
	v_mul_lo_u32 v17, v31, v17
	v_dot4c_i32_i8_e32 v19, v26, v27
	v_dot4c_i32_i8_e32 v23, v32, v28
	v_and_b32_e32 v46, 15, v35
	v_lshrrev_b32_e32 v35, 4, v35
	v_mul_lo_u32 v34, v34, s10
	v_dot4c_i32_i8_e32 v37, v33, v28
	v_dot4c_i32_i8_e32 v38, v36, v29
	;; [unrolled: 1-line block ×3, first 2 shown]
	v_mul_lo_u32 v21, v43, v23
	v_cvt_f32_i32_e32 v27, v19
	v_cvt_f32_i32_e32 v26, v17
	v_mul_lo_u32 v35, v35, s10
	v_dot4c_i32_i8_e32 v39, v34, v29
	v_mul_lo_u32 v23, v45, v38
	v_cvt_f32_i32_e32 v29, v37
	v_cvt_f32_i32_e32 v28, v21
	v_dot4c_i32_i8_e32 v41, v35, v30
	v_mul_lo_u32 v32, v46, v40
	v_cvt_f32_i32_e32 v31, v39
	v_cvt_f32_i32_e32 v30, v23
	;; [unrolled: 1-line block ×4, first 2 shown]
	v_pk_fma_f32 v[16:17], v[16:17], v[26:27], 0 op_sel_hi:[0,1,0]
	v_pk_fma_f32 v[16:17], v[18:19], v[28:29], v[16:17] op_sel_hi:[0,1,1]
	;; [unrolled: 1-line block ×4, first 2 shown]
	v_pk_mul_f32 v[16:17], v[16:17], v[24:25]
	s_nop 0
	v_sub_f32_e32 v16, v16, v17
	v_add_f32_e32 v14, v14, v16
	s_andn2_b64 exec, exec, s[0:1]
	s_cbranch_execnz .LBB83_3
; %bb.4:
	s_or_b64 exec, exec, s[0:1]
.LBB83_5:
	s_or_b64 exec, exec, s[8:9]
	v_mbcnt_lo_u32_b32 v0, -1, 0
	v_mbcnt_hi_u32_b32 v1, -1, v0
	v_and_b32_e32 v0, 64, v1
	v_add_u32_e32 v2, 64, v0
	v_xor_b32_e32 v0, 32, v1
	v_cmp_lt_i32_e32 vcc, v0, v2
	v_xor_b32_e32 v3, 16, v1
	v_xor_b32_e32 v4, 8, v1
	v_cndmask_b32_e32 v0, v1, v0, vcc
	v_lshlrev_b32_e32 v0, 2, v0
	ds_bpermute_b32 v0, v0, v14
	v_cmp_lt_i32_e32 vcc, v3, v2
	s_waitcnt lgkmcnt(0)
	v_add_f32_e32 v0, v14, v0
	v_cndmask_b32_e32 v3, v1, v3, vcc
	v_lshlrev_b32_e32 v3, 2, v3
	ds_bpermute_b32 v3, v3, v0
	v_cmp_lt_i32_e32 vcc, v4, v2
	s_waitcnt lgkmcnt(0)
	v_add_f32_e32 v0, v0, v3
	v_cndmask_b32_e32 v3, v1, v4, vcc
	v_lshlrev_b32_e32 v3, 2, v3
	ds_bpermute_b32 v3, v3, v0
	v_xor_b32_e32 v4, 4, v1
	v_cmp_lt_i32_e32 vcc, v4, v2
	s_waitcnt lgkmcnt(0)
	v_add_f32_e32 v0, v0, v3
	v_cndmask_b32_e32 v3, v1, v4, vcc
	v_lshlrev_b32_e32 v3, 2, v3
	ds_bpermute_b32 v3, v3, v0
	v_xor_b32_e32 v4, 2, v1
	;; [unrolled: 7-line block ×3, first 2 shown]
	v_cmp_lt_i32_e32 vcc, v4, v2
	s_waitcnt lgkmcnt(0)
	v_add_f32_e32 v0, v0, v3
	v_cndmask_b32_e32 v1, v1, v4, vcc
	v_lshlrev_b32_e32 v1, 2, v1
	ds_bpermute_b32 v1, v1, v0
	v_cmp_eq_u32_e32 vcc, 0, v11
	s_and_b64 exec, exec, vcc
	s_cbranch_execz .LBB83_7
; %bb.6:
	s_waitcnt lgkmcnt(0)
	v_add_f32_e32 v0, v0, v1
	v_cvt_f16_f32_e32 v2, v0
	s_mul_i32 s0, s5, s3
	v_add_u32_e32 v0, s0, v10
	v_mov_b32_e32 v1, 0
	v_lshl_add_u64 v[0:1], v[0:1], 1, s[6:7]
	global_store_short v[0:1], v2, off
.LBB83_7:
	s_endpgm
	.section	.rodata,"a",@progbits
	.p2align	6, 0x0
	.amdhsa_kernel _ZL13mul_mat_vec_qIN3c104HalfELi256ELi16E10block_q2_KLi1EXadL_ZL17vec_dot_q2_K_q8_1PKvPK10block_q8_1RKiEEEvS4_S4_PT_iii
		.amdhsa_group_segment_fixed_size 0
		.amdhsa_private_segment_fixed_size 0
		.amdhsa_kernarg_size 296
		.amdhsa_user_sgpr_count 2
		.amdhsa_user_sgpr_dispatch_ptr 0
		.amdhsa_user_sgpr_queue_ptr 0
		.amdhsa_user_sgpr_kernarg_segment_ptr 1
		.amdhsa_user_sgpr_dispatch_id 0
		.amdhsa_user_sgpr_kernarg_preload_length 0
		.amdhsa_user_sgpr_kernarg_preload_offset 0
		.amdhsa_user_sgpr_private_segment_size 0
		.amdhsa_uses_dynamic_stack 0
		.amdhsa_enable_private_segment 0
		.amdhsa_system_sgpr_workgroup_id_x 1
		.amdhsa_system_sgpr_workgroup_id_y 1
		.amdhsa_system_sgpr_workgroup_id_z 0
		.amdhsa_system_sgpr_workgroup_info 0
		.amdhsa_system_vgpr_workitem_id 1
		.amdhsa_next_free_vgpr 47
		.amdhsa_next_free_sgpr 16
		.amdhsa_accum_offset 48
		.amdhsa_reserve_vcc 1
		.amdhsa_float_round_mode_32 0
		.amdhsa_float_round_mode_16_64 0
		.amdhsa_float_denorm_mode_32 3
		.amdhsa_float_denorm_mode_16_64 3
		.amdhsa_dx10_clamp 1
		.amdhsa_ieee_mode 1
		.amdhsa_fp16_overflow 0
		.amdhsa_tg_split 0
		.amdhsa_exception_fp_ieee_invalid_op 0
		.amdhsa_exception_fp_denorm_src 0
		.amdhsa_exception_fp_ieee_div_zero 0
		.amdhsa_exception_fp_ieee_overflow 0
		.amdhsa_exception_fp_ieee_underflow 0
		.amdhsa_exception_fp_ieee_inexact 0
		.amdhsa_exception_int_div_zero 0
	.end_amdhsa_kernel
	.section	.text._ZL13mul_mat_vec_qIN3c104HalfELi256ELi16E10block_q2_KLi1EXadL_ZL17vec_dot_q2_K_q8_1PKvPK10block_q8_1RKiEEEvS4_S4_PT_iii,"axG",@progbits,_ZL13mul_mat_vec_qIN3c104HalfELi256ELi16E10block_q2_KLi1EXadL_ZL17vec_dot_q2_K_q8_1PKvPK10block_q8_1RKiEEEvS4_S4_PT_iii,comdat
.Lfunc_end83:
	.size	_ZL13mul_mat_vec_qIN3c104HalfELi256ELi16E10block_q2_KLi1EXadL_ZL17vec_dot_q2_K_q8_1PKvPK10block_q8_1RKiEEEvS4_S4_PT_iii, .Lfunc_end83-_ZL13mul_mat_vec_qIN3c104HalfELi256ELi16E10block_q2_KLi1EXadL_ZL17vec_dot_q2_K_q8_1PKvPK10block_q8_1RKiEEEvS4_S4_PT_iii
                                        ; -- End function
	.set _ZL13mul_mat_vec_qIN3c104HalfELi256ELi16E10block_q2_KLi1EXadL_ZL17vec_dot_q2_K_q8_1PKvPK10block_q8_1RKiEEEvS4_S4_PT_iii.num_vgpr, 47
	.set _ZL13mul_mat_vec_qIN3c104HalfELi256ELi16E10block_q2_KLi1EXadL_ZL17vec_dot_q2_K_q8_1PKvPK10block_q8_1RKiEEEvS4_S4_PT_iii.num_agpr, 0
	.set _ZL13mul_mat_vec_qIN3c104HalfELi256ELi16E10block_q2_KLi1EXadL_ZL17vec_dot_q2_K_q8_1PKvPK10block_q8_1RKiEEEvS4_S4_PT_iii.numbered_sgpr, 16
	.set _ZL13mul_mat_vec_qIN3c104HalfELi256ELi16E10block_q2_KLi1EXadL_ZL17vec_dot_q2_K_q8_1PKvPK10block_q8_1RKiEEEvS4_S4_PT_iii.num_named_barrier, 0
	.set _ZL13mul_mat_vec_qIN3c104HalfELi256ELi16E10block_q2_KLi1EXadL_ZL17vec_dot_q2_K_q8_1PKvPK10block_q8_1RKiEEEvS4_S4_PT_iii.private_seg_size, 0
	.set _ZL13mul_mat_vec_qIN3c104HalfELi256ELi16E10block_q2_KLi1EXadL_ZL17vec_dot_q2_K_q8_1PKvPK10block_q8_1RKiEEEvS4_S4_PT_iii.uses_vcc, 1
	.set _ZL13mul_mat_vec_qIN3c104HalfELi256ELi16E10block_q2_KLi1EXadL_ZL17vec_dot_q2_K_q8_1PKvPK10block_q8_1RKiEEEvS4_S4_PT_iii.uses_flat_scratch, 0
	.set _ZL13mul_mat_vec_qIN3c104HalfELi256ELi16E10block_q2_KLi1EXadL_ZL17vec_dot_q2_K_q8_1PKvPK10block_q8_1RKiEEEvS4_S4_PT_iii.has_dyn_sized_stack, 0
	.set _ZL13mul_mat_vec_qIN3c104HalfELi256ELi16E10block_q2_KLi1EXadL_ZL17vec_dot_q2_K_q8_1PKvPK10block_q8_1RKiEEEvS4_S4_PT_iii.has_recursion, 0
	.set _ZL13mul_mat_vec_qIN3c104HalfELi256ELi16E10block_q2_KLi1EXadL_ZL17vec_dot_q2_K_q8_1PKvPK10block_q8_1RKiEEEvS4_S4_PT_iii.has_indirect_call, 0
	.section	.AMDGPU.csdata,"",@progbits
; Kernel info:
; codeLenInByte = 1060
; TotalNumSgprs: 22
; NumVgprs: 47
; NumAgprs: 0
; TotalNumVgprs: 47
; ScratchSize: 0
; MemoryBound: 0
; FloatMode: 240
; IeeeMode: 1
; LDSByteSize: 0 bytes/workgroup (compile time only)
; SGPRBlocks: 2
; VGPRBlocks: 5
; NumSGPRsForWavesPerEU: 22
; NumVGPRsForWavesPerEU: 47
; AccumOffset: 48
; Occupancy: 8
; WaveLimiterHint : 0
; COMPUTE_PGM_RSRC2:SCRATCH_EN: 0
; COMPUTE_PGM_RSRC2:USER_SGPR: 2
; COMPUTE_PGM_RSRC2:TRAP_HANDLER: 0
; COMPUTE_PGM_RSRC2:TGID_X_EN: 1
; COMPUTE_PGM_RSRC2:TGID_Y_EN: 1
; COMPUTE_PGM_RSRC2:TGID_Z_EN: 0
; COMPUTE_PGM_RSRC2:TIDIG_COMP_CNT: 1
; COMPUTE_PGM_RSRC3_GFX90A:ACCUM_OFFSET: 11
; COMPUTE_PGM_RSRC3_GFX90A:TG_SPLIT: 0
	.section	.text._ZL13mul_mat_vec_qIN3c104HalfELi256ELi16E10block_q3_KLi1EXadL_ZL17vec_dot_q3_K_q8_1PKvPK10block_q8_1RKiEEEvS4_S4_PT_iii,"axG",@progbits,_ZL13mul_mat_vec_qIN3c104HalfELi256ELi16E10block_q3_KLi1EXadL_ZL17vec_dot_q3_K_q8_1PKvPK10block_q8_1RKiEEEvS4_S4_PT_iii,comdat
	.globl	_ZL13mul_mat_vec_qIN3c104HalfELi256ELi16E10block_q3_KLi1EXadL_ZL17vec_dot_q3_K_q8_1PKvPK10block_q8_1RKiEEEvS4_S4_PT_iii ; -- Begin function _ZL13mul_mat_vec_qIN3c104HalfELi256ELi16E10block_q3_KLi1EXadL_ZL17vec_dot_q3_K_q8_1PKvPK10block_q8_1RKiEEEvS4_S4_PT_iii
	.p2align	8
	.type	_ZL13mul_mat_vec_qIN3c104HalfELi256ELi16E10block_q3_KLi1EXadL_ZL17vec_dot_q3_K_q8_1PKvPK10block_q8_1RKiEEEvS4_S4_PT_iii,@function
_ZL13mul_mat_vec_qIN3c104HalfELi256ELi16E10block_q3_KLi1EXadL_ZL17vec_dot_q3_K_q8_1PKvPK10block_q8_1RKiEEEvS4_S4_PT_iii: ; @_ZL13mul_mat_vec_qIN3c104HalfELi256ELi16E10block_q3_KLi1EXadL_ZL17vec_dot_q3_K_q8_1PKvPK10block_q8_1RKiEEEvS4_S4_PT_iii
; %bb.0:
	s_load_dword s8, s[0:1], 0x34
	s_load_dwordx4 s[4:7], s[0:1], 0x18
	v_bfe_u32 v1, v0, 10, 10
	s_waitcnt lgkmcnt(0)
	s_lshr_b32 s7, s8, 16
	s_mul_i32 s2, s2, s7
	v_add_u32_e32 v24, s2, v1
	s_cmp_lt_u32 s3, s6
	v_cmp_gt_u32_e32 vcc, s5, v24
	s_cselect_b64 s[6:7], -1, 0
	s_and_b64 s[6:7], s[6:7], vcc
	s_and_saveexec_b64 s[8:9], s[6:7]
	s_cbranch_execz .LBB84_7
; %bb.1:
	s_load_dwordx2 s[6:7], s[0:1], 0x10
	s_ashr_i32 s2, s4, 31
	s_lshr_b32 s2, s2, 24
	s_add_i32 s2, s4, s2
	s_ashr_i32 s2, s2, 8
	v_bfe_u32 v26, v0, 4, 6
	v_and_b32_e32 v25, 0x3ff, v0
	v_cmp_gt_u32_e32 vcc, s2, v26
	v_mov_b32_e32 v35, 0
	s_and_saveexec_b64 s[12:13], vcc
	s_cbranch_execz .LBB84_5
; %bb.2:
	v_and_b32_e32 v8, 15, v25
	v_lshrrev_b32_e32 v0, 1, v25
	v_and_b32_e32 v28, 4, v0
	v_subrev_co_u32_e32 v0, vcc, 8, v8
	v_mov_b32_e32 v1, 0
	s_nop 0
	v_cndmask_b32_e32 v6, v0, v8, vcc
	v_mov_b32_e32 v7, v1
	v_lshlrev_b64 v[2:3], 2, v[6:7]
	v_sub_u32_e32 v7, v8, v6
	v_cmp_lt_u32_e32 vcc, 3, v6
	v_mov_b32_e32 v19, 7
	v_lshlrev_b32_e32 v0, 2, v8
	v_addc_co_u32_e32 v18, vcc, 0, v7, vcc
	v_add_u16_e32 v12, 2, v18
	v_lshrrev_b16_sdwa v8, v19, sext(v18) dst_sel:DWORD dst_unused:UNUSED_PAD src0_sel:DWORD src1_sel:BYTE_0
	v_mov_b32_e32 v20, 5
	v_mov_b32_e32 v23, 6
	v_lshrrev_b16_sdwa v13, v19, sext(v12) dst_sel:DWORD dst_unused:UNUSED_PAD src0_sel:DWORD src1_sel:BYTE_0
	v_lshrrev_b16_sdwa v6, v20, v8 dst_sel:DWORD dst_unused:UNUSED_PAD src0_sel:DWORD src1_sel:BYTE_0
	v_lshrrev_b16_sdwa v8, v23, v8 dst_sel:DWORD dst_unused:UNUSED_PAD src0_sel:DWORD src1_sel:BYTE_0
	;; [unrolled: 1-line block ×4, first 2 shown]
	v_add_u16_e32 v6, v18, v6
	v_mov_b32_e32 v21, 3
	v_mov_b32_e32 v22, 2
	v_add_u16_e32 v8, v18, v8
	v_add_u16_e32 v13, v12, v13
	;; [unrolled: 1-line block ×4, first 2 shown]
	s_load_dwordx4 s[8:11], s[0:1], 0x0
	s_add_i32 s0, s4, 0x1ff
	v_lshrrev_b16_sdwa v7, v21, sext(v6) dst_sel:DWORD dst_unused:UNUSED_PAD src0_sel:DWORD src1_sel:BYTE_0
	v_and_b32_e32 v6, 0xf8, v6
	v_ashrrev_i16_sdwa v9, v22, sext(v8) dst_sel:DWORD dst_unused:UNUSED_PAD src0_sel:DWORD src1_sel:BYTE_0
	v_and_b32_e32 v8, 0xfc, v8
	v_mov_b32_e32 v35, 1
	v_ashrrev_i16_sdwa v14, v22, sext(v13) dst_sel:DWORD dst_unused:UNUSED_PAD src0_sel:DWORD src1_sel:BYTE_0
	v_lshrrev_b16_sdwa v17, v19, sext(v16) dst_sel:DWORD dst_unused:UNUSED_PAD src0_sel:DWORD src1_sel:BYTE_0
	v_lshrrev_b16_sdwa v38, v19, sext(v37) dst_sel:DWORD dst_unused:UNUSED_PAD src0_sel:DWORD src1_sel:BYTE_0
	s_ashr_i32 s1, s0, 31
	v_sub_u16_e32 v6, v18, v6
	v_sub_u16_e32 v8, v18, v8
	v_lshlrev_b32_sdwa v32, v35, sext(v14) dst_sel:DWORD dst_unused:UNUSED_PAD src0_sel:DWORD src1_sel:WORD_0
	v_lshrrev_b16_sdwa v14, v20, v17 dst_sel:DWORD dst_unused:UNUSED_PAD src0_sel:DWORD src1_sel:BYTE_0
	v_lshrrev_b16_sdwa v17, v23, v17 dst_sel:DWORD dst_unused:UNUSED_PAD src0_sel:DWORD src1_sel:BYTE_0
	v_lshrrev_b16_sdwa v18, v20, v38 dst_sel:DWORD dst_unused:UNUSED_PAD src0_sel:DWORD src1_sel:BYTE_0
	v_lshrrev_b16_sdwa v20, v23, v38 dst_sel:DWORD dst_unused:UNUSED_PAD src0_sel:DWORD src1_sel:BYTE_0
	s_lshr_b32 s1, s1, 23
	v_add_u16_e32 v10, v12, v10
	v_add_u16_e32 v14, v16, v14
	;; [unrolled: 1-line block ×5, first 2 shown]
	s_add_i32 s0, s0, s1
	v_lshrrev_b16_sdwa v11, v21, sext(v10) dst_sel:DWORD dst_unused:UNUSED_PAD src0_sel:DWORD src1_sel:BYTE_0
	v_and_b32_e32 v10, 0xf8, v10
	v_and_b32_e32 v13, 0xfc, v13
	v_lshrrev_b16_sdwa v15, v21, sext(v14) dst_sel:DWORD dst_unused:UNUSED_PAD src0_sel:DWORD src1_sel:BYTE_0
	v_and_b32_e32 v14, 0xf8, v14
	v_lshrrev_b16_sdwa v34, v22, sext(v17) dst_sel:DWORD dst_unused:UNUSED_PAD src0_sel:DWORD src1_sel:BYTE_0
	;; [unrolled: 2-line block ×4, first 2 shown]
	v_and_b32_e32 v20, 0xfc, v20
	s_ashr_i32 s0, s0, 9
	v_sub_u16_e32 v10, v12, v10
	v_sub_u16_e32 v12, v12, v13
	;; [unrolled: 1-line block ×6, first 2 shown]
	s_mul_i32 s14, s3, s0
	s_waitcnt lgkmcnt(0)
	v_mad_u64_u32 v[4:5], s[0:1], v28, 36, s[10:11]
	v_lshlrev_b32_sdwa v29, v22, v7 dst_sel:DWORD dst_unused:UNUSED_PAD src0_sel:DWORD src1_sel:BYTE_0
	v_bfe_i32 v6, v6, 0, 8
	v_bfe_i32 v8, v8, 0, 8
	v_lshlrev_b32_sdwa v31, v22, v11 dst_sel:DWORD dst_unused:UNUSED_PAD src0_sel:DWORD src1_sel:BYTE_0
	v_bfe_i32 v10, v10, 0, 8
	v_bfe_i32 v12, v12, 0, 8
	;; [unrolled: 3-line block ×4, first 2 shown]
	v_lshlrev_b32_e32 v22, 3, v26
	v_mul_lo_u32 v27, v24, s2
	s_movk_i32 s4, 0xff
	v_ashrrev_i32_e32 v7, 31, v6
	v_lshlrev_b32_sdwa v30, v35, sext(v9) dst_sel:DWORD dst_unused:UNUSED_PAD src0_sel:DWORD src1_sel:WORD_0
	v_ashrrev_i32_e32 v9, 31, v8
	v_ashrrev_i32_e32 v11, 31, v10
	;; [unrolled: 1-line block ×4, first 2 shown]
	v_lshlrev_b32_sdwa v34, v35, v34 dst_sel:DWORD dst_unused:UNUSED_PAD src0_sel:DWORD src1_sel:BYTE_0
	v_ashrrev_i32_e32 v17, 31, v16
	v_ashrrev_i32_e32 v19, 31, v18
	v_lshlrev_b32_sdwa v37, v35, v21 dst_sel:DWORD dst_unused:UNUSED_PAD src0_sel:DWORD src1_sel:BYTE_0
	v_ashrrev_i32_e32 v21, 31, v20
	v_lshl_add_u32 v38, s14, 4, v22
	s_mov_b64 s[0:1], 0
	s_movk_i32 s10, 0x6e
	s_mov_b32 s11, 0x4040404
	v_mov_b32_e32 v35, v1
.LBB84_3:                               ; =>This Inner Loop Header: Depth=1
	v_add_u32_e32 v39, v27, v26
	v_mov_b64_e32 v[22:23], s[8:9]
	v_mad_i64_i32 v[22:23], s[14:15], v39, s10, v[22:23]
	v_lshl_add_u64 v[40:41], v[22:23], 0, v[0:1]
	global_load_dword v44, v[40:41], off offset:32
	v_lshl_add_u64 v[40:41], v[22:23], 0, v[2:3]
	global_load_ushort v39, v[22:23], off offset:108
	global_load_dword v45, v[40:41], off
	v_mad_i64_i32 v[40:41], s[14:15], v38, 36, v[4:5]
	v_lshl_add_u64 v[42:43], v[40:41], 0, v[2:3]
	global_load_dword v46, v[42:43], off offset:4
	global_load_dword v47, v[40:41], off
	global_load_dword v48, v[42:43], off offset:40
	global_load_dword v49, v[40:41], off offset:36
	;; [unrolled: 1-line block ×6, first 2 shown]
	v_lshl_add_u64 v[40:41], v[22:23], 0, v[6:7]
	global_load_ubyte v40, v[40:41], off offset:96
	v_add_u32_e32 v26, 4, v26
	v_cmp_le_u32_e32 vcc, s2, v26
	v_add_u32_e32 v38, 32, v38
	s_or_b64 s[0:1], vcc, s[0:1]
	s_waitcnt vmcnt(9)
	v_ashrrev_i32_e32 v42, v28, v45
	v_not_b32_e32 v43, v42
	v_lshlrev_b32_e32 v54, 2, v43
	v_and_b32_e32 v54, 0x4040404, v54
	v_bitop3_b32 v42, v42, s11, v42 bitop3:0xc
	s_waitcnt vmcnt(0)
	v_bfe_u32 v45, v40, v29, 4
	v_lshl_add_u64 v[40:41], v[22:23], 0, v[8:9]
	global_load_ubyte v40, v[40:41], off offset:104
	v_bfe_u32 v41, v44, 24, 2
	v_sub_u16_sdwa v41, v41, v54 dst_sel:BYTE_1 dst_unused:UNUSED_PAD src0_sel:DWORD src1_sel:BYTE_3
	s_waitcnt vmcnt(0)
	v_lshrrev_b32_e32 v40, v30, v40
	v_lshlrev_b32_e32 v40, 4, v40
	v_and_or_b32 v40, v40, 48, v45
	v_and_b32_e32 v45, 0x3030303, v44
	v_sub_u16_e32 v55, v45, v54
	v_sub_u16_sdwa v56, v45, v54 dst_sel:BYTE_1 dst_unused:UNUSED_PAD src0_sel:BYTE_1 src1_sel:BYTE_1
	v_sub_u16_sdwa v45, v45, v54 dst_sel:DWORD dst_unused:UNUSED_PAD src0_sel:WORD_1 src1_sel:WORD_1
	v_bitop3_b16 v41, v45, v41, s4 bitop3:0xec
	v_bitop3_b16 v55, v55, v56, s4 bitop3:0xec
	v_lshlrev_b32_e32 v41, 16, v41
	v_or_b32_sdwa v41, v55, v41 dst_sel:DWORD dst_unused:UNUSED_PAD src0_sel:WORD_0 src1_sel:DWORD
	v_mov_b32_e32 v45, 0
	v_subrev_u32_e32 v40, 32, v40
	v_dot4c_i32_i8_e32 v45, v41, v46
	s_nop 2
	v_mul_lo_u32 v40, v40, v45
	v_cvt_f32_i32_e32 v40, v40
	v_fma_mix_f32 v45, v47, v40, 0 op_sel_hi:[1,0,0]
	v_lshl_add_u64 v[40:41], v[22:23], 0, v[10:11]
	global_load_ubyte v40, v[40:41], off offset:96
	v_lshlrev_b32_e32 v47, 1, v43
	v_and_b32_e32 v47, 0x4040404, v47
	s_waitcnt vmcnt(0)
	v_bfe_u32 v46, v40, v31, 4
	v_lshl_add_u64 v[40:41], v[22:23], 0, v[12:13]
	global_load_ubyte v40, v[40:41], off offset:104
	v_lshrrev_b32_e32 v41, 2, v44
	s_waitcnt vmcnt(0)
	v_lshrrev_b32_e32 v40, v32, v40
	v_lshlrev_b32_e32 v40, 4, v40
	v_and_or_b32 v40, v40, 48, v46
	v_bfe_u32 v46, v41, 24, 2
	v_and_b32_e32 v41, 0x3030303, v41
	v_sub_u16_e32 v54, v41, v47
	v_sub_u16_sdwa v55, v41, v47 dst_sel:BYTE_1 dst_unused:UNUSED_PAD src0_sel:BYTE_1 src1_sel:BYTE_1
	v_sub_u16_sdwa v41, v41, v47 dst_sel:DWORD dst_unused:UNUSED_PAD src0_sel:WORD_1 src1_sel:WORD_1
	v_sub_u16_sdwa v46, v46, v47 dst_sel:BYTE_1 dst_unused:UNUSED_PAD src0_sel:DWORD src1_sel:BYTE_3
	v_bitop3_b16 v54, v54, v55, s4 bitop3:0xec
	v_bitop3_b16 v41, v41, v46, s4 bitop3:0xec
	v_lshlrev_b32_e32 v41, 16, v41
	v_or_b32_sdwa v41, v54, v41 dst_sel:DWORD dst_unused:UNUSED_PAD src0_sel:WORD_0 src1_sel:DWORD
	v_mov_b32_e32 v46, 0
	v_subrev_u32_e32 v40, 32, v40
	v_dot4c_i32_i8_e32 v46, v41, v48
	s_nop 2
	v_mul_lo_u32 v40, v40, v46
	v_cvt_f32_i32_e32 v40, v40
	v_fma_mix_f32 v45, v49, v40, v45 op_sel_hi:[1,0,0]
	v_lshl_add_u64 v[40:41], v[22:23], 0, v[14:15]
	global_load_ubyte v40, v[40:41], off offset:96
	s_waitcnt vmcnt(0)
	v_bfe_u32 v46, v40, v33, 4
	v_lshl_add_u64 v[40:41], v[22:23], 0, v[16:17]
	global_load_ubyte v40, v[40:41], off offset:104
	v_lshrrev_b32_e32 v41, 4, v44
	s_waitcnt vmcnt(0)
	v_lshrrev_b32_e32 v40, v34, v40
	v_lshlrev_b32_e32 v40, 4, v40
	v_and_or_b32 v40, v40, 48, v46
	v_bfe_u32 v46, v41, 24, 2
	v_and_b32_e32 v41, 0x3030303, v41
	v_sub_u16_e32 v47, v41, v42
	v_sub_u16_sdwa v48, v41, v42 dst_sel:BYTE_1 dst_unused:UNUSED_PAD src0_sel:BYTE_1 src1_sel:BYTE_1
	v_sub_u16_sdwa v41, v41, v42 dst_sel:DWORD dst_unused:UNUSED_PAD src0_sel:WORD_1 src1_sel:WORD_1
	v_sub_u16_sdwa v42, v46, v42 dst_sel:BYTE_1 dst_unused:UNUSED_PAD src0_sel:DWORD src1_sel:BYTE_3
	v_bitop3_b16 v47, v47, v48, s4 bitop3:0xec
	v_bitop3_b16 v41, v41, v42, s4 bitop3:0xec
	v_lshlrev_b32_e32 v41, 16, v41
	v_or_b32_sdwa v41, v47, v41 dst_sel:DWORD dst_unused:UNUSED_PAD src0_sel:WORD_0 src1_sel:DWORD
	v_mov_b32_e32 v42, 0
	v_subrev_u32_e32 v40, 32, v40
	v_dot4c_i32_i8_e32 v42, v41, v50
	s_nop 2
	v_mul_lo_u32 v40, v40, v42
	v_cvt_f32_i32_e32 v40, v40
	v_fma_mix_f32 v42, v51, v40, v45 op_sel_hi:[1,0,0]
	v_lshl_add_u64 v[40:41], v[22:23], 0, v[18:19]
	v_lshl_add_u64 v[22:23], v[22:23], 0, v[20:21]
	global_load_ubyte v40, v[40:41], off offset:96
	s_nop 0
	global_load_ubyte v22, v[22:23], off offset:104
	v_lshrrev_b32_e32 v23, 6, v44
	v_lshrrev_b32_e32 v41, 1, v43
	v_and_b32_e32 v23, 0x3030303, v23
	v_and_b32_e32 v41, 0x4040404, v41
	v_sub_u16_e32 v43, v23, v41
	s_waitcnt vmcnt(1)
	v_bfe_u32 v40, v40, v36, 4
	s_waitcnt vmcnt(0)
	v_lshrrev_b32_e32 v22, v37, v22
	v_lshlrev_b32_e32 v22, 4, v22
	v_and_or_b32 v22, v22, 48, v40
	v_lshrrev_b32_e32 v40, 30, v44
	v_sub_u16_sdwa v44, v23, v41 dst_sel:BYTE_1 dst_unused:UNUSED_PAD src0_sel:BYTE_1 src1_sel:BYTE_1
	v_sub_u16_sdwa v23, v23, v41 dst_sel:DWORD dst_unused:UNUSED_PAD src0_sel:WORD_1 src1_sel:WORD_1
	v_sub_u16_sdwa v40, v40, v41 dst_sel:BYTE_1 dst_unused:UNUSED_PAD src0_sel:DWORD src1_sel:BYTE_3
	v_bitop3_b16 v43, v43, v44, s4 bitop3:0xec
	v_bitop3_b16 v23, v23, v40, s4 bitop3:0xec
	v_lshlrev_b32_e32 v23, 16, v23
	v_or_b32_sdwa v23, v43, v23 dst_sel:DWORD dst_unused:UNUSED_PAD src0_sel:WORD_0 src1_sel:DWORD
	v_mov_b32_e32 v40, 0
	v_subrev_u32_e32 v22, 32, v22
	v_dot4c_i32_i8_e32 v40, v23, v52
	s_nop 2
	v_mul_lo_u32 v22, v22, v40
	v_cvt_f32_i32_e32 v22, v22
	v_fma_mix_f32 v22, v53, v22, v42 op_sel_hi:[1,0,0]
	s_nop 0
	v_fma_mix_f32 v35, v22, v39, v35 op_sel_hi:[0,1,0]
	s_andn2_b64 exec, exec, s[0:1]
	s_cbranch_execnz .LBB84_3
; %bb.4:
	s_or_b64 exec, exec, s[0:1]
.LBB84_5:
	s_or_b64 exec, exec, s[12:13]
	v_mbcnt_lo_u32_b32 v0, -1, 0
	v_mbcnt_hi_u32_b32 v1, -1, v0
	v_and_b32_e32 v0, 64, v1
	v_add_u32_e32 v2, 64, v0
	v_xor_b32_e32 v0, 32, v1
	v_cmp_lt_i32_e32 vcc, v0, v2
	v_xor_b32_e32 v3, 16, v1
	v_xor_b32_e32 v4, 8, v1
	v_cndmask_b32_e32 v0, v1, v0, vcc
	v_lshlrev_b32_e32 v0, 2, v0
	ds_bpermute_b32 v0, v0, v35
	v_cmp_lt_i32_e32 vcc, v3, v2
	s_waitcnt lgkmcnt(0)
	v_add_f32_e32 v0, v35, v0
	v_cndmask_b32_e32 v3, v1, v3, vcc
	v_lshlrev_b32_e32 v3, 2, v3
	ds_bpermute_b32 v3, v3, v0
	v_cmp_lt_i32_e32 vcc, v4, v2
	s_waitcnt lgkmcnt(0)
	v_add_f32_e32 v0, v0, v3
	v_cndmask_b32_e32 v3, v1, v4, vcc
	v_lshlrev_b32_e32 v3, 2, v3
	ds_bpermute_b32 v3, v3, v0
	v_xor_b32_e32 v4, 4, v1
	v_cmp_lt_i32_e32 vcc, v4, v2
	s_waitcnt lgkmcnt(0)
	v_add_f32_e32 v0, v0, v3
	v_cndmask_b32_e32 v3, v1, v4, vcc
	v_lshlrev_b32_e32 v3, 2, v3
	ds_bpermute_b32 v3, v3, v0
	v_xor_b32_e32 v4, 2, v1
	;; [unrolled: 7-line block ×3, first 2 shown]
	v_cmp_lt_i32_e32 vcc, v4, v2
	s_waitcnt lgkmcnt(0)
	v_add_f32_e32 v0, v0, v3
	v_cndmask_b32_e32 v1, v1, v4, vcc
	v_lshlrev_b32_e32 v1, 2, v1
	ds_bpermute_b32 v1, v1, v0
	v_cmp_eq_u32_e32 vcc, 0, v25
	s_and_b64 exec, exec, vcc
	s_cbranch_execz .LBB84_7
; %bb.6:
	s_waitcnt lgkmcnt(0)
	v_add_f32_e32 v0, v0, v1
	v_cvt_f16_f32_e32 v2, v0
	s_mul_i32 s0, s5, s3
	v_add_u32_e32 v0, s0, v24
	v_mov_b32_e32 v1, 0
	v_lshl_add_u64 v[0:1], v[0:1], 1, s[6:7]
	global_store_short v[0:1], v2, off
.LBB84_7:
	s_endpgm
	.section	.rodata,"a",@progbits
	.p2align	6, 0x0
	.amdhsa_kernel _ZL13mul_mat_vec_qIN3c104HalfELi256ELi16E10block_q3_KLi1EXadL_ZL17vec_dot_q3_K_q8_1PKvPK10block_q8_1RKiEEEvS4_S4_PT_iii
		.amdhsa_group_segment_fixed_size 0
		.amdhsa_private_segment_fixed_size 0
		.amdhsa_kernarg_size 296
		.amdhsa_user_sgpr_count 2
		.amdhsa_user_sgpr_dispatch_ptr 0
		.amdhsa_user_sgpr_queue_ptr 0
		.amdhsa_user_sgpr_kernarg_segment_ptr 1
		.amdhsa_user_sgpr_dispatch_id 0
		.amdhsa_user_sgpr_kernarg_preload_length 0
		.amdhsa_user_sgpr_kernarg_preload_offset 0
		.amdhsa_user_sgpr_private_segment_size 0
		.amdhsa_uses_dynamic_stack 0
		.amdhsa_enable_private_segment 0
		.amdhsa_system_sgpr_workgroup_id_x 1
		.amdhsa_system_sgpr_workgroup_id_y 1
		.amdhsa_system_sgpr_workgroup_id_z 0
		.amdhsa_system_sgpr_workgroup_info 0
		.amdhsa_system_vgpr_workitem_id 1
		.amdhsa_next_free_vgpr 57
		.amdhsa_next_free_sgpr 16
		.amdhsa_accum_offset 60
		.amdhsa_reserve_vcc 1
		.amdhsa_float_round_mode_32 0
		.amdhsa_float_round_mode_16_64 0
		.amdhsa_float_denorm_mode_32 3
		.amdhsa_float_denorm_mode_16_64 3
		.amdhsa_dx10_clamp 1
		.amdhsa_ieee_mode 1
		.amdhsa_fp16_overflow 0
		.amdhsa_tg_split 0
		.amdhsa_exception_fp_ieee_invalid_op 0
		.amdhsa_exception_fp_denorm_src 0
		.amdhsa_exception_fp_ieee_div_zero 0
		.amdhsa_exception_fp_ieee_overflow 0
		.amdhsa_exception_fp_ieee_underflow 0
		.amdhsa_exception_fp_ieee_inexact 0
		.amdhsa_exception_int_div_zero 0
	.end_amdhsa_kernel
	.section	.text._ZL13mul_mat_vec_qIN3c104HalfELi256ELi16E10block_q3_KLi1EXadL_ZL17vec_dot_q3_K_q8_1PKvPK10block_q8_1RKiEEEvS4_S4_PT_iii,"axG",@progbits,_ZL13mul_mat_vec_qIN3c104HalfELi256ELi16E10block_q3_KLi1EXadL_ZL17vec_dot_q3_K_q8_1PKvPK10block_q8_1RKiEEEvS4_S4_PT_iii,comdat
.Lfunc_end84:
	.size	_ZL13mul_mat_vec_qIN3c104HalfELi256ELi16E10block_q3_KLi1EXadL_ZL17vec_dot_q3_K_q8_1PKvPK10block_q8_1RKiEEEvS4_S4_PT_iii, .Lfunc_end84-_ZL13mul_mat_vec_qIN3c104HalfELi256ELi16E10block_q3_KLi1EXadL_ZL17vec_dot_q3_K_q8_1PKvPK10block_q8_1RKiEEEvS4_S4_PT_iii
                                        ; -- End function
	.set _ZL13mul_mat_vec_qIN3c104HalfELi256ELi16E10block_q3_KLi1EXadL_ZL17vec_dot_q3_K_q8_1PKvPK10block_q8_1RKiEEEvS4_S4_PT_iii.num_vgpr, 57
	.set _ZL13mul_mat_vec_qIN3c104HalfELi256ELi16E10block_q3_KLi1EXadL_ZL17vec_dot_q3_K_q8_1PKvPK10block_q8_1RKiEEEvS4_S4_PT_iii.num_agpr, 0
	.set _ZL13mul_mat_vec_qIN3c104HalfELi256ELi16E10block_q3_KLi1EXadL_ZL17vec_dot_q3_K_q8_1PKvPK10block_q8_1RKiEEEvS4_S4_PT_iii.numbered_sgpr, 16
	.set _ZL13mul_mat_vec_qIN3c104HalfELi256ELi16E10block_q3_KLi1EXadL_ZL17vec_dot_q3_K_q8_1PKvPK10block_q8_1RKiEEEvS4_S4_PT_iii.num_named_barrier, 0
	.set _ZL13mul_mat_vec_qIN3c104HalfELi256ELi16E10block_q3_KLi1EXadL_ZL17vec_dot_q3_K_q8_1PKvPK10block_q8_1RKiEEEvS4_S4_PT_iii.private_seg_size, 0
	.set _ZL13mul_mat_vec_qIN3c104HalfELi256ELi16E10block_q3_KLi1EXadL_ZL17vec_dot_q3_K_q8_1PKvPK10block_q8_1RKiEEEvS4_S4_PT_iii.uses_vcc, 1
	.set _ZL13mul_mat_vec_qIN3c104HalfELi256ELi16E10block_q3_KLi1EXadL_ZL17vec_dot_q3_K_q8_1PKvPK10block_q8_1RKiEEEvS4_S4_PT_iii.uses_flat_scratch, 0
	.set _ZL13mul_mat_vec_qIN3c104HalfELi256ELi16E10block_q3_KLi1EXadL_ZL17vec_dot_q3_K_q8_1PKvPK10block_q8_1RKiEEEvS4_S4_PT_iii.has_dyn_sized_stack, 0
	.set _ZL13mul_mat_vec_qIN3c104HalfELi256ELi16E10block_q3_KLi1EXadL_ZL17vec_dot_q3_K_q8_1PKvPK10block_q8_1RKiEEEvS4_S4_PT_iii.has_recursion, 0
	.set _ZL13mul_mat_vec_qIN3c104HalfELi256ELi16E10block_q3_KLi1EXadL_ZL17vec_dot_q3_K_q8_1PKvPK10block_q8_1RKiEEEvS4_S4_PT_iii.has_indirect_call, 0
	.section	.AMDGPU.csdata,"",@progbits
; Kernel info:
; codeLenInByte = 1952
; TotalNumSgprs: 22
; NumVgprs: 57
; NumAgprs: 0
; TotalNumVgprs: 57
; ScratchSize: 0
; MemoryBound: 0
; FloatMode: 240
; IeeeMode: 1
; LDSByteSize: 0 bytes/workgroup (compile time only)
; SGPRBlocks: 2
; VGPRBlocks: 7
; NumSGPRsForWavesPerEU: 22
; NumVGPRsForWavesPerEU: 57
; AccumOffset: 60
; Occupancy: 8
; WaveLimiterHint : 0
; COMPUTE_PGM_RSRC2:SCRATCH_EN: 0
; COMPUTE_PGM_RSRC2:USER_SGPR: 2
; COMPUTE_PGM_RSRC2:TRAP_HANDLER: 0
; COMPUTE_PGM_RSRC2:TGID_X_EN: 1
; COMPUTE_PGM_RSRC2:TGID_Y_EN: 1
; COMPUTE_PGM_RSRC2:TGID_Z_EN: 0
; COMPUTE_PGM_RSRC2:TIDIG_COMP_CNT: 1
; COMPUTE_PGM_RSRC3_GFX90A:ACCUM_OFFSET: 14
; COMPUTE_PGM_RSRC3_GFX90A:TG_SPLIT: 0
	.section	.text._ZL13mul_mat_vec_qIN3c104HalfELi256ELi32E10block_q4_KLi2EXadL_ZL17vec_dot_q4_K_q8_1PKvPK10block_q8_1RKiEEEvS4_S4_PT_iii,"axG",@progbits,_ZL13mul_mat_vec_qIN3c104HalfELi256ELi32E10block_q4_KLi2EXadL_ZL17vec_dot_q4_K_q8_1PKvPK10block_q8_1RKiEEEvS4_S4_PT_iii,comdat
	.globl	_ZL13mul_mat_vec_qIN3c104HalfELi256ELi32E10block_q4_KLi2EXadL_ZL17vec_dot_q4_K_q8_1PKvPK10block_q8_1RKiEEEvS4_S4_PT_iii ; -- Begin function _ZL13mul_mat_vec_qIN3c104HalfELi256ELi32E10block_q4_KLi2EXadL_ZL17vec_dot_q4_K_q8_1PKvPK10block_q8_1RKiEEEvS4_S4_PT_iii
	.p2align	8
	.type	_ZL13mul_mat_vec_qIN3c104HalfELi256ELi32E10block_q4_KLi2EXadL_ZL17vec_dot_q4_K_q8_1PKvPK10block_q8_1RKiEEEvS4_S4_PT_iii,@function
_ZL13mul_mat_vec_qIN3c104HalfELi256ELi32E10block_q4_KLi2EXadL_ZL17vec_dot_q4_K_q8_1PKvPK10block_q8_1RKiEEEvS4_S4_PT_iii: ; @_ZL13mul_mat_vec_qIN3c104HalfELi256ELi32E10block_q4_KLi2EXadL_ZL17vec_dot_q4_K_q8_1PKvPK10block_q8_1RKiEEEvS4_S4_PT_iii
; %bb.0:
	s_load_dword s8, s[0:1], 0x34
	s_load_dwordx4 s[4:7], s[0:1], 0x18
	v_bfe_u32 v1, v0, 10, 10
	s_waitcnt lgkmcnt(0)
	s_lshr_b32 s7, s8, 16
	s_mul_i32 s2, s2, s7
	v_add_u32_e32 v16, s2, v1
	s_cmp_lt_u32 s3, s6
	v_cmp_gt_u32_e32 vcc, s5, v16
	s_cselect_b64 s[6:7], -1, 0
	s_and_b64 s[6:7], s[6:7], vcc
	s_and_saveexec_b64 s[8:9], s[6:7]
	s_cbranch_execz .LBB85_11
; %bb.1:
	s_load_dwordx2 s[6:7], s[0:1], 0x10
	s_ashr_i32 s2, s4, 31
	s_lshr_b32 s2, s2, 24
	s_add_i32 s2, s4, s2
	s_ashr_i32 s2, s2, 8
	v_bfe_u32 v18, v0, 4, 6
	v_and_b32_e32 v17, 0x3ff, v0
	v_cmp_gt_u32_e32 vcc, s2, v18
	v_mov_b32_e32 v20, 0
	s_and_saveexec_b64 s[8:9], vcc
	s_cbranch_execz .LBB85_9
; %bb.2:
	s_load_dwordx4 s[12:15], s[0:1], 0x0
	s_add_i32 s0, s4, 0x1ff
	s_ashr_i32 s1, s0, 31
	s_lshr_b32 s1, s1, 23
	s_add_i32 s0, s0, s1
	v_lshlrev_b32_e32 v0, 1, v17
	s_ashr_i32 s0, s0, 9
	v_and_b32_e32 v4, 30, v0
	v_bfe_u32 v8, v0, 3, 2
	s_mul_i32 s4, s3, s0
	v_mov_b32_e32 v1, 0
	v_and_b32_e32 v10, 3, v17
	v_cmp_lt_u32_e32 vcc, 15, v4
	v_lshlrev_b32_e32 v4, 1, v8
	v_lshlrev_b32_e32 v6, 3, v18
	v_mul_lo_u32 v19, v16, s2
	v_lshlrev_b32_e32 v0, 5, v8
	v_lshlrev_b32_e32 v2, 2, v10
	v_mov_b32_e32 v3, v1
	s_waitcnt lgkmcnt(0)
	v_mad_u64_u32 v[4:5], s[0:1], v4, 36, s[14:15]
	v_lshl_add_u32 v21, s4, 4, v6
	s_mov_b64 s[10:11], 0
	s_movk_i32 s4, 0x90
	v_mov_b64_e32 v[6:7], s[12:13]
	v_lshlrev_b32_e32 v8, 1, v8
	v_mov_b32_e32 v9, v1
	s_mov_b32 s12, 0x5040100
	s_mov_b32 s13, 0x30303030
	v_lshlrev_b32_e32 v10, 2, v10
	v_mov_b32_e32 v11, v1
	s_movk_i32 s14, 0xff
	v_mov_b32_e32 v22, 0xff00ff
	v_mov_b32_e32 v20, v1
	s_branch .LBB85_4
.LBB85_3:                               ;   in Loop: Header=BB85_4 Depth=1
	s_or_b64 exec, exec, s[0:1]
	v_mad_i64_i32 v[14:15], s[0:1], v21, 36, v[4:5]
	v_lshl_add_u64 v[26:27], v[14:15], 0, v[10:11]
	global_load_dword v30, v[12:13], off
	global_load_dword v28, v[14:15], off
	global_load_dword v29, v[26:27], off offset:20
	global_load_dword v31, v[26:27], off offset:40
	;; [unrolled: 1-line block ×5, first 2 shown]
	s_waitcnt vmcnt(8)
	v_and_b32_e32 v15, 0xf0f0f0f, v24
	v_mov_b32_e32 v27, 0
	v_mov_b32_e32 v35, 0
	v_lshrrev_b32_e32 v14, 4, v24
	s_waitcnt vmcnt(7)
	v_and_b32_e32 v26, 0xf0f0f0f, v23
	v_and_b32_e32 v13, 0xff00ff, v25
	v_lshrrev_b32_e32 v23, 4, v23
	v_mov_b32_e32 v36, 0
	v_mov_b32_e32 v37, 0
	v_and_b32_e32 v38, 0xf0f0f0f, v14
	v_pk_lshrrev_b16 v12, 8, v25 op_sel_hi:[0,1]
	v_bitop3_b32 v25, v25, s14, v22 bitop3:0x80
	v_and_b32_e32 v23, 0xf0f0f0f, v23
	v_lshrrev_b32_e32 v40, 16, v13
	v_lshrrev_b32_e32 v39, 16, v12
	v_and_b32_e32 v12, 0xff, v12
	v_add_u32_e32 v18, 4, v18
	v_cmp_le_u32_e64 s[0:1], s2, v18
	s_or_b64 s[10:11], s[0:1], s[10:11]
	v_add_u32_e32 v21, 32, v21
	s_waitcnt vmcnt(6)
	v_cvt_f32_f16_sdwa v13, v30 dst_sel:DWORD dst_unused:UNUSED_PAD src0_sel:WORD_1
	s_waitcnt vmcnt(5)
	v_cvt_f32_f16_e32 v14, v28
	s_waitcnt vmcnt(3)
	v_dot4c_i32_i8_e32 v36, v38, v31
	v_dot4c_i32_i8_e32 v37, 0x1010101, v31
	s_waitcnt vmcnt(2)
	v_dot4c_i32_i8_e32 v36, v23, v32
	s_waitcnt vmcnt(0)
	v_dot4c_i32_i8_e32 v27, v15, v34
	v_dot4c_i32_i8_e32 v35, 0x1010101, v34
	;; [unrolled: 1-line block ×5, first 2 shown]
	v_mul_lo_u32 v12, v36, v12
	v_mul_lo_u32 v15, v27, v25
	;; [unrolled: 1-line block ×4, first 2 shown]
	v_cvt_f32_i32_e32 v27, v23
	v_cvt_f32_i32_e32 v26, v15
	v_cvt_f32_f16_e32 v24, v33
	v_cvt_f32_i32_e32 v29, v25
	v_cvt_f32_i32_e32 v28, v12
	v_cvt_f32_f16_e32 v12, v30
	v_pk_fma_f32 v[14:15], v[14:15], v[26:27], 0 op_sel_hi:[0,1,0]
	v_pk_fma_f32 v[14:15], v[24:25], v[28:29], v[14:15] op_sel_hi:[0,1,1]
	v_pk_mul_f32 v[12:13], v[14:15], v[12:13]
	s_nop 0
	v_sub_f32_e32 v12, v12, v13
	v_add_f32_e32 v20, v20, v12
	s_andn2_b64 exec, exec, s[10:11]
	s_cbranch_execz .LBB85_8
.LBB85_4:                               ; =>This Inner Loop Header: Depth=1
	v_add_u32_e32 v12, v19, v18
	v_mad_i64_i32 v[12:13], s[0:1], v12, s4, v[6:7]
	v_lshl_add_u64 v[14:15], v[12:13], 0, v[0:1]
	v_lshl_add_u64 v[14:15], v[14:15], 0, v[2:3]
	global_load_dword v24, v[14:15], off offset:16
	global_load_dword v23, v[14:15], off offset:32
	v_lshl_add_u64 v[14:15], v[12:13], 0, v[8:9]
                                        ; implicit-def: $vgpr25
	s_and_saveexec_b64 s[0:1], vcc
	s_xor_b64 s[0:1], exec, s[0:1]
	s_cbranch_execz .LBB85_6
; %bb.5:                                ;   in Loop: Header=BB85_4 Depth=1
	global_load_ushort v25, v[14:15], off
	global_load_ushort v26, v[14:15], off offset:8
	global_load_ushort v27, v[14:15], off offset:4
	s_waitcnt vmcnt(1)
	v_pk_lshrrev_b16 v14, 4, v26 op_sel:[1,0] op_sel_hi:[0,0]
	s_waitcnt vmcnt(0)
	v_perm_b32 v15, v27, v25, s12
	v_and_b32_e32 v14, 0xf0f0f0f, v14
	v_pk_lshrrev_b16 v15, 2, v15 op_sel_hi:[0,1]
	v_and_or_b32 v25, v15, s13, v14
                                        ; implicit-def: $vgpr14_vgpr15
.LBB85_6:                               ;   in Loop: Header=BB85_4 Depth=1
	s_andn2_saveexec_b64 s[0:1], s[0:1]
	s_cbranch_execz .LBB85_3
; %bb.7:                                ;   in Loop: Header=BB85_4 Depth=1
	global_load_ushort v25, v[14:15], off offset:4
	global_load_ushort v26, v[14:15], off offset:8
	s_waitcnt vmcnt(0)
	v_perm_b32 v14, v26, v25, s12
	v_and_b32_e32 v25, 0x3f3f3f3f, v14
	s_branch .LBB85_3
.LBB85_8:
	s_or_b64 exec, exec, s[10:11]
.LBB85_9:
	s_or_b64 exec, exec, s[8:9]
	v_mbcnt_lo_u32_b32 v0, -1, 0
	v_mbcnt_hi_u32_b32 v1, -1, v0
	v_and_b32_e32 v0, 64, v1
	v_add_u32_e32 v2, 64, v0
	v_xor_b32_e32 v0, 32, v1
	v_cmp_lt_i32_e32 vcc, v0, v2
	v_xor_b32_e32 v3, 16, v1
	v_xor_b32_e32 v4, 8, v1
	v_cndmask_b32_e32 v0, v1, v0, vcc
	v_lshlrev_b32_e32 v0, 2, v0
	ds_bpermute_b32 v0, v0, v20
	v_cmp_lt_i32_e32 vcc, v3, v2
	s_waitcnt lgkmcnt(0)
	v_add_f32_e32 v0, v20, v0
	v_cndmask_b32_e32 v3, v1, v3, vcc
	v_lshlrev_b32_e32 v3, 2, v3
	ds_bpermute_b32 v3, v3, v0
	v_cmp_lt_i32_e32 vcc, v4, v2
	s_waitcnt lgkmcnt(0)
	v_add_f32_e32 v0, v0, v3
	v_cndmask_b32_e32 v3, v1, v4, vcc
	v_lshlrev_b32_e32 v3, 2, v3
	ds_bpermute_b32 v3, v3, v0
	v_xor_b32_e32 v4, 4, v1
	v_cmp_lt_i32_e32 vcc, v4, v2
	s_waitcnt lgkmcnt(0)
	v_add_f32_e32 v0, v0, v3
	v_cndmask_b32_e32 v3, v1, v4, vcc
	v_lshlrev_b32_e32 v3, 2, v3
	ds_bpermute_b32 v3, v3, v0
	v_xor_b32_e32 v4, 2, v1
	;; [unrolled: 7-line block ×3, first 2 shown]
	v_cmp_lt_i32_e32 vcc, v4, v2
	s_waitcnt lgkmcnt(0)
	v_add_f32_e32 v0, v0, v3
	v_cndmask_b32_e32 v1, v1, v4, vcc
	v_lshlrev_b32_e32 v1, 2, v1
	ds_bpermute_b32 v1, v1, v0
	v_cmp_eq_u32_e32 vcc, 0, v17
	s_and_b64 exec, exec, vcc
	s_cbranch_execz .LBB85_11
; %bb.10:
	s_waitcnt lgkmcnt(0)
	v_add_f32_e32 v0, v0, v1
	v_cvt_f16_f32_e32 v2, v0
	s_mul_i32 s0, s5, s3
	v_add_u32_e32 v0, s0, v16
	v_mov_b32_e32 v1, 0
	v_lshl_add_u64 v[0:1], v[0:1], 1, s[6:7]
	global_store_short v[0:1], v2, off
.LBB85_11:
	s_endpgm
	.section	.rodata,"a",@progbits
	.p2align	6, 0x0
	.amdhsa_kernel _ZL13mul_mat_vec_qIN3c104HalfELi256ELi32E10block_q4_KLi2EXadL_ZL17vec_dot_q4_K_q8_1PKvPK10block_q8_1RKiEEEvS4_S4_PT_iii
		.amdhsa_group_segment_fixed_size 0
		.amdhsa_private_segment_fixed_size 0
		.amdhsa_kernarg_size 296
		.amdhsa_user_sgpr_count 2
		.amdhsa_user_sgpr_dispatch_ptr 0
		.amdhsa_user_sgpr_queue_ptr 0
		.amdhsa_user_sgpr_kernarg_segment_ptr 1
		.amdhsa_user_sgpr_dispatch_id 0
		.amdhsa_user_sgpr_kernarg_preload_length 0
		.amdhsa_user_sgpr_kernarg_preload_offset 0
		.amdhsa_user_sgpr_private_segment_size 0
		.amdhsa_uses_dynamic_stack 0
		.amdhsa_enable_private_segment 0
		.amdhsa_system_sgpr_workgroup_id_x 1
		.amdhsa_system_sgpr_workgroup_id_y 1
		.amdhsa_system_sgpr_workgroup_id_z 0
		.amdhsa_system_sgpr_workgroup_info 0
		.amdhsa_system_vgpr_workitem_id 1
		.amdhsa_next_free_vgpr 41
		.amdhsa_next_free_sgpr 16
		.amdhsa_accum_offset 44
		.amdhsa_reserve_vcc 1
		.amdhsa_float_round_mode_32 0
		.amdhsa_float_round_mode_16_64 0
		.amdhsa_float_denorm_mode_32 3
		.amdhsa_float_denorm_mode_16_64 3
		.amdhsa_dx10_clamp 1
		.amdhsa_ieee_mode 1
		.amdhsa_fp16_overflow 0
		.amdhsa_tg_split 0
		.amdhsa_exception_fp_ieee_invalid_op 0
		.amdhsa_exception_fp_denorm_src 0
		.amdhsa_exception_fp_ieee_div_zero 0
		.amdhsa_exception_fp_ieee_overflow 0
		.amdhsa_exception_fp_ieee_underflow 0
		.amdhsa_exception_fp_ieee_inexact 0
		.amdhsa_exception_int_div_zero 0
	.end_amdhsa_kernel
	.section	.text._ZL13mul_mat_vec_qIN3c104HalfELi256ELi32E10block_q4_KLi2EXadL_ZL17vec_dot_q4_K_q8_1PKvPK10block_q8_1RKiEEEvS4_S4_PT_iii,"axG",@progbits,_ZL13mul_mat_vec_qIN3c104HalfELi256ELi32E10block_q4_KLi2EXadL_ZL17vec_dot_q4_K_q8_1PKvPK10block_q8_1RKiEEEvS4_S4_PT_iii,comdat
.Lfunc_end85:
	.size	_ZL13mul_mat_vec_qIN3c104HalfELi256ELi32E10block_q4_KLi2EXadL_ZL17vec_dot_q4_K_q8_1PKvPK10block_q8_1RKiEEEvS4_S4_PT_iii, .Lfunc_end85-_ZL13mul_mat_vec_qIN3c104HalfELi256ELi32E10block_q4_KLi2EXadL_ZL17vec_dot_q4_K_q8_1PKvPK10block_q8_1RKiEEEvS4_S4_PT_iii
                                        ; -- End function
	.set _ZL13mul_mat_vec_qIN3c104HalfELi256ELi32E10block_q4_KLi2EXadL_ZL17vec_dot_q4_K_q8_1PKvPK10block_q8_1RKiEEEvS4_S4_PT_iii.num_vgpr, 41
	.set _ZL13mul_mat_vec_qIN3c104HalfELi256ELi32E10block_q4_KLi2EXadL_ZL17vec_dot_q4_K_q8_1PKvPK10block_q8_1RKiEEEvS4_S4_PT_iii.num_agpr, 0
	.set _ZL13mul_mat_vec_qIN3c104HalfELi256ELi32E10block_q4_KLi2EXadL_ZL17vec_dot_q4_K_q8_1PKvPK10block_q8_1RKiEEEvS4_S4_PT_iii.numbered_sgpr, 16
	.set _ZL13mul_mat_vec_qIN3c104HalfELi256ELi32E10block_q4_KLi2EXadL_ZL17vec_dot_q4_K_q8_1PKvPK10block_q8_1RKiEEEvS4_S4_PT_iii.num_named_barrier, 0
	.set _ZL13mul_mat_vec_qIN3c104HalfELi256ELi32E10block_q4_KLi2EXadL_ZL17vec_dot_q4_K_q8_1PKvPK10block_q8_1RKiEEEvS4_S4_PT_iii.private_seg_size, 0
	.set _ZL13mul_mat_vec_qIN3c104HalfELi256ELi32E10block_q4_KLi2EXadL_ZL17vec_dot_q4_K_q8_1PKvPK10block_q8_1RKiEEEvS4_S4_PT_iii.uses_vcc, 1
	.set _ZL13mul_mat_vec_qIN3c104HalfELi256ELi32E10block_q4_KLi2EXadL_ZL17vec_dot_q4_K_q8_1PKvPK10block_q8_1RKiEEEvS4_S4_PT_iii.uses_flat_scratch, 0
	.set _ZL13mul_mat_vec_qIN3c104HalfELi256ELi32E10block_q4_KLi2EXadL_ZL17vec_dot_q4_K_q8_1PKvPK10block_q8_1RKiEEEvS4_S4_PT_iii.has_dyn_sized_stack, 0
	.set _ZL13mul_mat_vec_qIN3c104HalfELi256ELi32E10block_q4_KLi2EXadL_ZL17vec_dot_q4_K_q8_1PKvPK10block_q8_1RKiEEEvS4_S4_PT_iii.has_recursion, 0
	.set _ZL13mul_mat_vec_qIN3c104HalfELi256ELi32E10block_q4_KLi2EXadL_ZL17vec_dot_q4_K_q8_1PKvPK10block_q8_1RKiEEEvS4_S4_PT_iii.has_indirect_call, 0
	.section	.AMDGPU.csdata,"",@progbits
; Kernel info:
; codeLenInByte = 1132
; TotalNumSgprs: 22
; NumVgprs: 41
; NumAgprs: 0
; TotalNumVgprs: 41
; ScratchSize: 0
; MemoryBound: 0
; FloatMode: 240
; IeeeMode: 1
; LDSByteSize: 0 bytes/workgroup (compile time only)
; SGPRBlocks: 2
; VGPRBlocks: 5
; NumSGPRsForWavesPerEU: 22
; NumVGPRsForWavesPerEU: 41
; AccumOffset: 44
; Occupancy: 8
; WaveLimiterHint : 0
; COMPUTE_PGM_RSRC2:SCRATCH_EN: 0
; COMPUTE_PGM_RSRC2:USER_SGPR: 2
; COMPUTE_PGM_RSRC2:TRAP_HANDLER: 0
; COMPUTE_PGM_RSRC2:TGID_X_EN: 1
; COMPUTE_PGM_RSRC2:TGID_Y_EN: 1
; COMPUTE_PGM_RSRC2:TGID_Z_EN: 0
; COMPUTE_PGM_RSRC2:TIDIG_COMP_CNT: 1
; COMPUTE_PGM_RSRC3_GFX90A:ACCUM_OFFSET: 10
; COMPUTE_PGM_RSRC3_GFX90A:TG_SPLIT: 0
	.section	.text._ZL13mul_mat_vec_qIN3c104HalfELi256ELi32E10block_q5_KLi2EXadL_ZL17vec_dot_q5_K_q8_1PKvPK10block_q8_1RKiEEEvS4_S4_PT_iii,"axG",@progbits,_ZL13mul_mat_vec_qIN3c104HalfELi256ELi32E10block_q5_KLi2EXadL_ZL17vec_dot_q5_K_q8_1PKvPK10block_q8_1RKiEEEvS4_S4_PT_iii,comdat
	.globl	_ZL13mul_mat_vec_qIN3c104HalfELi256ELi32E10block_q5_KLi2EXadL_ZL17vec_dot_q5_K_q8_1PKvPK10block_q8_1RKiEEEvS4_S4_PT_iii ; -- Begin function _ZL13mul_mat_vec_qIN3c104HalfELi256ELi32E10block_q5_KLi2EXadL_ZL17vec_dot_q5_K_q8_1PKvPK10block_q8_1RKiEEEvS4_S4_PT_iii
	.p2align	8
	.type	_ZL13mul_mat_vec_qIN3c104HalfELi256ELi32E10block_q5_KLi2EXadL_ZL17vec_dot_q5_K_q8_1PKvPK10block_q8_1RKiEEEvS4_S4_PT_iii,@function
_ZL13mul_mat_vec_qIN3c104HalfELi256ELi32E10block_q5_KLi2EXadL_ZL17vec_dot_q5_K_q8_1PKvPK10block_q8_1RKiEEEvS4_S4_PT_iii: ; @_ZL13mul_mat_vec_qIN3c104HalfELi256ELi32E10block_q5_KLi2EXadL_ZL17vec_dot_q5_K_q8_1PKvPK10block_q8_1RKiEEEvS4_S4_PT_iii
; %bb.0:
	s_load_dword s8, s[0:1], 0x34
	s_load_dwordx4 s[4:7], s[0:1], 0x18
	v_bfe_u32 v1, v0, 10, 10
	s_waitcnt lgkmcnt(0)
	s_lshr_b32 s7, s8, 16
	s_mul_i32 s2, s2, s7
	v_add_u32_e32 v16, s2, v1
	s_cmp_lt_u32 s3, s6
	v_cmp_gt_u32_e32 vcc, s5, v16
	s_cselect_b64 s[6:7], -1, 0
	s_and_b64 s[6:7], s[6:7], vcc
	s_and_saveexec_b64 s[8:9], s[6:7]
	s_cbranch_execz .LBB86_11
; %bb.1:
	s_load_dwordx2 s[6:7], s[0:1], 0x10
	s_ashr_i32 s2, s4, 31
	s_lshr_b32 s2, s2, 24
	s_add_i32 s2, s4, s2
	s_ashr_i32 s2, s2, 8
	v_bfe_u32 v18, v0, 4, 6
	v_and_b32_e32 v17, 0x3ff, v0
	v_cmp_gt_u32_e32 vcc, s2, v18
	v_mov_b32_e32 v20, 0
	s_and_saveexec_b64 s[8:9], vcc
	s_cbranch_execz .LBB86_9
; %bb.2:
	s_load_dwordx4 s[12:15], s[0:1], 0x0
	s_add_i32 s0, s4, 0x1ff
	s_ashr_i32 s1, s0, 31
	s_lshr_b32 s1, s1, 23
	s_add_i32 s0, s0, s1
	v_lshlrev_b32_e32 v0, 1, v17
	s_ashr_i32 s0, s0, 9
	v_bfe_u32 v8, v0, 3, 2
	s_mul_i32 s4, s3, s0
	v_and_b32_e32 v4, 30, v0
	v_mov_b32_e32 v1, 0
	v_and_b32_e32 v10, 3, v17
	v_lshlrev_b32_e32 v21, 1, v8
	v_lshlrev_b32_e32 v6, 3, v18
	v_mul_lo_u32 v19, v16, s2
	v_lshlrev_b32_e32 v0, 5, v8
	v_lshlrev_b32_e32 v2, 2, v10
	v_mov_b32_e32 v3, v1
	v_cmp_lt_u32_e32 vcc, 15, v4
	s_waitcnt lgkmcnt(0)
	v_mad_u64_u32 v[4:5], s[0:1], v21, 36, s[14:15]
	v_lshl_add_u32 v22, s4, 4, v6
	s_mov_b64 s[10:11], 0
	s_movk_i32 s4, 0xb0
	v_mov_b64_e32 v[6:7], s[12:13]
	v_lshlrev_b32_e32 v8, 1, v8
	v_mov_b32_e32 v9, v1
	s_mov_b32 s12, 0x5040100
	s_mov_b32 s13, 0x30303030
	v_lshlrev_b32_e32 v10, 2, v10
	v_mov_b32_e32 v11, v1
	s_mov_b32 s14, 0x10101010
	s_movk_i32 s15, 0xff
	v_mov_b32_e32 v23, 0xff00ff
	v_mov_b32_e32 v20, v1
	s_branch .LBB86_4
.LBB86_3:                               ;   in Loop: Header=BB86_4 Depth=1
	s_or_b64 exec, exec, s[0:1]
	v_mad_i64_i32 v[14:15], s[0:1], v22, 36, v[4:5]
	v_lshl_add_u64 v[30:31], v[14:15], 0, v[10:11]
	global_load_dword v32, v[12:13], off
	global_load_dword v29, v[14:15], off
	global_load_dword v33, v[30:31], off offset:20
	global_load_dword v34, v[30:31], off offset:40
	;; [unrolled: 1-line block ×5, first 2 shown]
	s_waitcnt vmcnt(7)
	v_ashrrev_i32_e32 v13, v21, v28
	v_ashrrev_i32_e32 v14, v21, v27
	v_and_b32_e32 v27, 0xf0f0f0f, v24
	v_lshrrev_b32_e32 v24, 4, v24
	v_lshlrev_b32_e32 v41, 4, v13
	v_and_b32_e32 v15, 0xf0f0f0f, v25
	v_mov_b32_e32 v28, 0
	v_mov_b32_e32 v30, 0
	v_lshrrev_b32_e32 v25, 4, v25
	v_lshlrev_b32_e32 v40, 4, v14
	v_and_b32_e32 v24, 0xf0f0f0f, v24
	v_lshlrev_b32_e32 v13, 3, v13
	v_and_or_b32 v27, v41, s14, v27
	v_and_b32_e32 v31, 0xff00ff, v26
	v_mov_b32_e32 v38, 0
	v_mov_b32_e32 v39, 0
	v_and_b32_e32 v25, 0xf0f0f0f, v25
	v_lshlrev_b32_e32 v14, 3, v14
	v_and_or_b32 v15, v40, s14, v15
	v_and_or_b32 v40, v13, s14, v24
	v_pk_lshrrev_b16 v12, 8, v26 op_sel_hi:[0,1]
	v_bitop3_b32 v26, v26, s15, v23 bitop3:0x80
	v_lshrrev_b32_e32 v31, 16, v31
	v_and_or_b32 v25, v14, s14, v25
	v_lshrrev_b32_e32 v42, 16, v12
	v_and_b32_e32 v12, 0xff, v12
	v_add_u32_e32 v18, 4, v18
	v_cmp_le_u32_e64 s[0:1], s2, v18
	s_or_b64 s[10:11], s[0:1], s[10:11]
	v_add_u32_e32 v22, 32, v22
	s_waitcnt vmcnt(6)
	v_cvt_f32_f16_sdwa v13, v32 dst_sel:DWORD dst_unused:UNUSED_PAD src0_sel:WORD_1
	s_waitcnt vmcnt(5)
	v_cvt_f32_f16_e32 v14, v29
	s_waitcnt vmcnt(4)
	v_dot4c_i32_i8_e32 v28, v27, v33
	v_dot4c_i32_i8_e32 v30, 0x1010101, v33
	s_waitcnt vmcnt(2)
	v_dot4c_i32_i8_e32 v38, v40, v35
	v_dot4c_i32_i8_e32 v39, 0x1010101, v35
	;; [unrolled: 3-line block ×3, first 2 shown]
	v_dot4c_i32_i8_e32 v38, v25, v34
	v_dot4c_i32_i8_e32 v39, 0x1010101, v34
	v_mul_lo_u32 v15, v28, v26
	v_mul_lo_u32 v25, v30, v31
	;; [unrolled: 1-line block ×4, first 2 shown]
	v_cvt_f32_i32_e32 v27, v25
	v_cvt_f32_i32_e32 v26, v15
	v_cvt_f32_f16_e32 v24, v36
	v_cvt_f32_i32_e32 v29, v28
	v_cvt_f32_i32_e32 v28, v12
	v_cvt_f32_f16_e32 v12, v32
	v_pk_fma_f32 v[14:15], v[14:15], v[26:27], 0 op_sel_hi:[0,1,0]
	v_pk_fma_f32 v[14:15], v[24:25], v[28:29], v[14:15] op_sel_hi:[0,1,1]
	v_pk_mul_f32 v[12:13], v[14:15], v[12:13]
	s_nop 0
	v_sub_f32_e32 v12, v12, v13
	v_add_f32_e32 v20, v20, v12
	s_andn2_b64 exec, exec, s[10:11]
	s_cbranch_execz .LBB86_8
.LBB86_4:                               ; =>This Inner Loop Header: Depth=1
	v_add_u32_e32 v12, v19, v18
	v_mad_i64_i32 v[12:13], s[0:1], v12, s4, v[6:7]
	v_lshl_add_u64 v[14:15], v[12:13], 0, v[0:1]
	v_lshl_add_u64 v[14:15], v[14:15], 0, v[2:3]
	;; [unrolled: 1-line block ×3, first 2 shown]
	global_load_dword v25, v[14:15], off offset:48
	global_load_dword v24, v[14:15], off offset:64
	;; [unrolled: 1-line block ×4, first 2 shown]
	v_lshl_add_u64 v[14:15], v[12:13], 0, v[8:9]
                                        ; implicit-def: $vgpr26
	s_and_saveexec_b64 s[0:1], vcc
	s_xor_b64 s[0:1], exec, s[0:1]
	s_cbranch_execz .LBB86_6
; %bb.5:                                ;   in Loop: Header=BB86_4 Depth=1
	global_load_ushort v26, v[14:15], off
	global_load_ushort v29, v[14:15], off offset:8
	global_load_ushort v30, v[14:15], off offset:4
	s_waitcnt vmcnt(1)
	v_pk_lshrrev_b16 v14, 4, v29 op_sel:[1,0] op_sel_hi:[0,0]
	s_waitcnt vmcnt(0)
	v_perm_b32 v15, v30, v26, s12
	v_and_b32_e32 v14, 0xf0f0f0f, v14
	v_pk_lshrrev_b16 v15, 2, v15 op_sel_hi:[0,1]
	v_and_or_b32 v26, v15, s13, v14
                                        ; implicit-def: $vgpr14_vgpr15
.LBB86_6:                               ;   in Loop: Header=BB86_4 Depth=1
	s_andn2_saveexec_b64 s[0:1], s[0:1]
	s_cbranch_execz .LBB86_3
; %bb.7:                                ;   in Loop: Header=BB86_4 Depth=1
	global_load_ushort v26, v[14:15], off offset:4
	global_load_ushort v29, v[14:15], off offset:8
	s_waitcnt vmcnt(0)
	v_perm_b32 v14, v29, v26, s12
	v_and_b32_e32 v26, 0x3f3f3f3f, v14
	s_branch .LBB86_3
.LBB86_8:
	s_or_b64 exec, exec, s[10:11]
.LBB86_9:
	s_or_b64 exec, exec, s[8:9]
	v_mbcnt_lo_u32_b32 v0, -1, 0
	v_mbcnt_hi_u32_b32 v1, -1, v0
	v_and_b32_e32 v0, 64, v1
	v_add_u32_e32 v2, 64, v0
	v_xor_b32_e32 v0, 32, v1
	v_cmp_lt_i32_e32 vcc, v0, v2
	v_xor_b32_e32 v3, 16, v1
	v_xor_b32_e32 v4, 8, v1
	v_cndmask_b32_e32 v0, v1, v0, vcc
	v_lshlrev_b32_e32 v0, 2, v0
	ds_bpermute_b32 v0, v0, v20
	v_cmp_lt_i32_e32 vcc, v3, v2
	s_waitcnt lgkmcnt(0)
	v_add_f32_e32 v0, v20, v0
	v_cndmask_b32_e32 v3, v1, v3, vcc
	v_lshlrev_b32_e32 v3, 2, v3
	ds_bpermute_b32 v3, v3, v0
	v_cmp_lt_i32_e32 vcc, v4, v2
	s_waitcnt lgkmcnt(0)
	v_add_f32_e32 v0, v0, v3
	v_cndmask_b32_e32 v3, v1, v4, vcc
	v_lshlrev_b32_e32 v3, 2, v3
	ds_bpermute_b32 v3, v3, v0
	v_xor_b32_e32 v4, 4, v1
	v_cmp_lt_i32_e32 vcc, v4, v2
	s_waitcnt lgkmcnt(0)
	v_add_f32_e32 v0, v0, v3
	v_cndmask_b32_e32 v3, v1, v4, vcc
	v_lshlrev_b32_e32 v3, 2, v3
	ds_bpermute_b32 v3, v3, v0
	v_xor_b32_e32 v4, 2, v1
	;; [unrolled: 7-line block ×3, first 2 shown]
	v_cmp_lt_i32_e32 vcc, v4, v2
	s_waitcnt lgkmcnt(0)
	v_add_f32_e32 v0, v0, v3
	v_cndmask_b32_e32 v1, v1, v4, vcc
	v_lshlrev_b32_e32 v1, 2, v1
	ds_bpermute_b32 v1, v1, v0
	v_cmp_eq_u32_e32 vcc, 0, v17
	s_and_b64 exec, exec, vcc
	s_cbranch_execz .LBB86_11
; %bb.10:
	s_waitcnt lgkmcnt(0)
	v_add_f32_e32 v0, v0, v1
	v_cvt_f16_f32_e32 v2, v0
	s_mul_i32 s0, s5, s3
	v_add_u32_e32 v0, s0, v16
	v_mov_b32_e32 v1, 0
	v_lshl_add_u64 v[0:1], v[0:1], 1, s[6:7]
	global_store_short v[0:1], v2, off
.LBB86_11:
	s_endpgm
	.section	.rodata,"a",@progbits
	.p2align	6, 0x0
	.amdhsa_kernel _ZL13mul_mat_vec_qIN3c104HalfELi256ELi32E10block_q5_KLi2EXadL_ZL17vec_dot_q5_K_q8_1PKvPK10block_q8_1RKiEEEvS4_S4_PT_iii
		.amdhsa_group_segment_fixed_size 0
		.amdhsa_private_segment_fixed_size 0
		.amdhsa_kernarg_size 296
		.amdhsa_user_sgpr_count 2
		.amdhsa_user_sgpr_dispatch_ptr 0
		.amdhsa_user_sgpr_queue_ptr 0
		.amdhsa_user_sgpr_kernarg_segment_ptr 1
		.amdhsa_user_sgpr_dispatch_id 0
		.amdhsa_user_sgpr_kernarg_preload_length 0
		.amdhsa_user_sgpr_kernarg_preload_offset 0
		.amdhsa_user_sgpr_private_segment_size 0
		.amdhsa_uses_dynamic_stack 0
		.amdhsa_enable_private_segment 0
		.amdhsa_system_sgpr_workgroup_id_x 1
		.amdhsa_system_sgpr_workgroup_id_y 1
		.amdhsa_system_sgpr_workgroup_id_z 0
		.amdhsa_system_sgpr_workgroup_info 0
		.amdhsa_system_vgpr_workitem_id 1
		.amdhsa_next_free_vgpr 43
		.amdhsa_next_free_sgpr 16
		.amdhsa_accum_offset 44
		.amdhsa_reserve_vcc 1
		.amdhsa_float_round_mode_32 0
		.amdhsa_float_round_mode_16_64 0
		.amdhsa_float_denorm_mode_32 3
		.amdhsa_float_denorm_mode_16_64 3
		.amdhsa_dx10_clamp 1
		.amdhsa_ieee_mode 1
		.amdhsa_fp16_overflow 0
		.amdhsa_tg_split 0
		.amdhsa_exception_fp_ieee_invalid_op 0
		.amdhsa_exception_fp_denorm_src 0
		.amdhsa_exception_fp_ieee_div_zero 0
		.amdhsa_exception_fp_ieee_overflow 0
		.amdhsa_exception_fp_ieee_underflow 0
		.amdhsa_exception_fp_ieee_inexact 0
		.amdhsa_exception_int_div_zero 0
	.end_amdhsa_kernel
	.section	.text._ZL13mul_mat_vec_qIN3c104HalfELi256ELi32E10block_q5_KLi2EXadL_ZL17vec_dot_q5_K_q8_1PKvPK10block_q8_1RKiEEEvS4_S4_PT_iii,"axG",@progbits,_ZL13mul_mat_vec_qIN3c104HalfELi256ELi32E10block_q5_KLi2EXadL_ZL17vec_dot_q5_K_q8_1PKvPK10block_q8_1RKiEEEvS4_S4_PT_iii,comdat
.Lfunc_end86:
	.size	_ZL13mul_mat_vec_qIN3c104HalfELi256ELi32E10block_q5_KLi2EXadL_ZL17vec_dot_q5_K_q8_1PKvPK10block_q8_1RKiEEEvS4_S4_PT_iii, .Lfunc_end86-_ZL13mul_mat_vec_qIN3c104HalfELi256ELi32E10block_q5_KLi2EXadL_ZL17vec_dot_q5_K_q8_1PKvPK10block_q8_1RKiEEEvS4_S4_PT_iii
                                        ; -- End function
	.set _ZL13mul_mat_vec_qIN3c104HalfELi256ELi32E10block_q5_KLi2EXadL_ZL17vec_dot_q5_K_q8_1PKvPK10block_q8_1RKiEEEvS4_S4_PT_iii.num_vgpr, 43
	.set _ZL13mul_mat_vec_qIN3c104HalfELi256ELi32E10block_q5_KLi2EXadL_ZL17vec_dot_q5_K_q8_1PKvPK10block_q8_1RKiEEEvS4_S4_PT_iii.num_agpr, 0
	.set _ZL13mul_mat_vec_qIN3c104HalfELi256ELi32E10block_q5_KLi2EXadL_ZL17vec_dot_q5_K_q8_1PKvPK10block_q8_1RKiEEEvS4_S4_PT_iii.numbered_sgpr, 16
	.set _ZL13mul_mat_vec_qIN3c104HalfELi256ELi32E10block_q5_KLi2EXadL_ZL17vec_dot_q5_K_q8_1PKvPK10block_q8_1RKiEEEvS4_S4_PT_iii.num_named_barrier, 0
	.set _ZL13mul_mat_vec_qIN3c104HalfELi256ELi32E10block_q5_KLi2EXadL_ZL17vec_dot_q5_K_q8_1PKvPK10block_q8_1RKiEEEvS4_S4_PT_iii.private_seg_size, 0
	.set _ZL13mul_mat_vec_qIN3c104HalfELi256ELi32E10block_q5_KLi2EXadL_ZL17vec_dot_q5_K_q8_1PKvPK10block_q8_1RKiEEEvS4_S4_PT_iii.uses_vcc, 1
	.set _ZL13mul_mat_vec_qIN3c104HalfELi256ELi32E10block_q5_KLi2EXadL_ZL17vec_dot_q5_K_q8_1PKvPK10block_q8_1RKiEEEvS4_S4_PT_iii.uses_flat_scratch, 0
	.set _ZL13mul_mat_vec_qIN3c104HalfELi256ELi32E10block_q5_KLi2EXadL_ZL17vec_dot_q5_K_q8_1PKvPK10block_q8_1RKiEEEvS4_S4_PT_iii.has_dyn_sized_stack, 0
	.set _ZL13mul_mat_vec_qIN3c104HalfELi256ELi32E10block_q5_KLi2EXadL_ZL17vec_dot_q5_K_q8_1PKvPK10block_q8_1RKiEEEvS4_S4_PT_iii.has_recursion, 0
	.set _ZL13mul_mat_vec_qIN3c104HalfELi256ELi32E10block_q5_KLi2EXadL_ZL17vec_dot_q5_K_q8_1PKvPK10block_q8_1RKiEEEvS4_S4_PT_iii.has_indirect_call, 0
	.section	.AMDGPU.csdata,"",@progbits
; Kernel info:
; codeLenInByte = 1216
; TotalNumSgprs: 22
; NumVgprs: 43
; NumAgprs: 0
; TotalNumVgprs: 43
; ScratchSize: 0
; MemoryBound: 0
; FloatMode: 240
; IeeeMode: 1
; LDSByteSize: 0 bytes/workgroup (compile time only)
; SGPRBlocks: 2
; VGPRBlocks: 5
; NumSGPRsForWavesPerEU: 22
; NumVGPRsForWavesPerEU: 43
; AccumOffset: 44
; Occupancy: 8
; WaveLimiterHint : 0
; COMPUTE_PGM_RSRC2:SCRATCH_EN: 0
; COMPUTE_PGM_RSRC2:USER_SGPR: 2
; COMPUTE_PGM_RSRC2:TRAP_HANDLER: 0
; COMPUTE_PGM_RSRC2:TGID_X_EN: 1
; COMPUTE_PGM_RSRC2:TGID_Y_EN: 1
; COMPUTE_PGM_RSRC2:TGID_Z_EN: 0
; COMPUTE_PGM_RSRC2:TIDIG_COMP_CNT: 1
; COMPUTE_PGM_RSRC3_GFX90A:ACCUM_OFFSET: 10
; COMPUTE_PGM_RSRC3_GFX90A:TG_SPLIT: 0
	.section	.text._ZL13mul_mat_vec_qIN3c104HalfELi256ELi32E10block_q6_KLi1EXadL_ZL17vec_dot_q6_K_q8_1PKvPK10block_q8_1RKiEEEvS4_S4_PT_iii,"axG",@progbits,_ZL13mul_mat_vec_qIN3c104HalfELi256ELi32E10block_q6_KLi1EXadL_ZL17vec_dot_q6_K_q8_1PKvPK10block_q8_1RKiEEEvS4_S4_PT_iii,comdat
	.globl	_ZL13mul_mat_vec_qIN3c104HalfELi256ELi32E10block_q6_KLi1EXadL_ZL17vec_dot_q6_K_q8_1PKvPK10block_q8_1RKiEEEvS4_S4_PT_iii ; -- Begin function _ZL13mul_mat_vec_qIN3c104HalfELi256ELi32E10block_q6_KLi1EXadL_ZL17vec_dot_q6_K_q8_1PKvPK10block_q8_1RKiEEEvS4_S4_PT_iii
	.p2align	8
	.type	_ZL13mul_mat_vec_qIN3c104HalfELi256ELi32E10block_q6_KLi1EXadL_ZL17vec_dot_q6_K_q8_1PKvPK10block_q8_1RKiEEEvS4_S4_PT_iii,@function
_ZL13mul_mat_vec_qIN3c104HalfELi256ELi32E10block_q6_KLi1EXadL_ZL17vec_dot_q6_K_q8_1PKvPK10block_q8_1RKiEEEvS4_S4_PT_iii: ; @_ZL13mul_mat_vec_qIN3c104HalfELi256ELi32E10block_q6_KLi1EXadL_ZL17vec_dot_q6_K_q8_1PKvPK10block_q8_1RKiEEEvS4_S4_PT_iii
; %bb.0:
	s_load_dword s8, s[0:1], 0x34
	s_load_dwordx4 s[4:7], s[0:1], 0x18
	v_bfe_u32 v1, v0, 10, 10
	s_waitcnt lgkmcnt(0)
	s_lshr_b32 s7, s8, 16
	s_mul_i32 s2, s2, s7
	v_add_u32_e32 v12, s2, v1
	s_cmp_lt_u32 s3, s6
	v_cmp_gt_u32_e32 vcc, s5, v12
	s_cselect_b64 s[6:7], -1, 0
	s_and_b64 s[6:7], s[6:7], vcc
	s_and_saveexec_b64 s[8:9], s[6:7]
	s_cbranch_execz .LBB87_7
; %bb.1:
	s_load_dwordx2 s[6:7], s[0:1], 0x10
	s_ashr_i32 s2, s4, 31
	s_lshr_b32 s2, s2, 24
	s_add_i32 s2, s4, s2
	s_ashr_i32 s2, s2, 8
	v_bfe_u32 v14, v0, 5, 5
	v_and_b32_e32 v13, 0x3ff, v0
	v_cmp_gt_u32_e32 vcc, s2, v14
	v_mov_b32_e32 v16, 0
	s_and_saveexec_b64 s[8:9], vcc
	s_cbranch_execz .LBB87_5
; %bb.2:
	s_load_dwordx4 s[12:15], s[0:1], 0x0
	s_add_i32 s0, s4, 0x1ff
	v_and_b32_e32 v2, 31, v13
	s_ashr_i32 s1, s0, 31
	v_add_u32_e32 v0, 0xf0, v2
	v_cmp_gt_u32_e32 vcc, 16, v2
	s_lshr_b32 s1, s1, 23
	s_add_i32 s0, s0, s1
	v_cndmask_b32_e32 v8, v0, v2, vcc
	v_and_b32_e32 v9, 0xf8, v8
	v_cmp_lt_u32_e32 vcc, 15, v2
	s_ashr_i32 s0, s0, 9
	s_mul_i32 s4, s3, s0
	v_cndmask_b32_e64 v10, 0, 8, vcc
	v_cndmask_b32_e64 v6, 0, 4, vcc
	v_cmp_ne_u32_e32 vcc, 0, v9
	v_and_b32_e32 v4, 7, v13
	s_waitcnt lgkmcnt(0)
	v_mad_u64_u32 v[6:7], s[0:1], v6, 36, s[14:15]
	v_cndmask_b32_e64 v9, 0, 1, vcc
	v_bfe_u32 v8, v8, 2, 6
	v_lshlrev_b32_e32 v0, 2, v2
	v_mov_b32_e32 v1, 0
	v_or_b32_e32 v2, v10, v4
	v_mad_u64_u32 v[6:7], s[0:1], v9, 36, v[6:7]
	v_add_u32_e32 v8, v8, v10
	v_lshlrev_b32_e32 v10, 3, v14
	v_mul_lo_u32 v15, v12, s2
	v_lshlrev_b32_e32 v2, 2, v2
	v_mov_b32_e32 v3, v1
	v_lshlrev_b32_e32 v4, 2, v4
	v_mov_b32_e32 v5, v1
	v_cndmask_b32_e64 v17, 0, 2, vcc
	v_mov_b32_e32 v9, v1
	v_lshl_add_u32 v18, s4, 4, v10
	s_mov_b64 s[0:1], 0
	s_movk_i32 s4, 0xd2
	v_mov_b64_e32 v[10:11], s[12:13]
	s_mov_b32 s10, 0x30303030
	s_movk_i32 s11, 0xe000
	s_movk_i32 s12, 0x3f00
	v_mov_b32_e32 v16, v1
.LBB87_3:                               ; =>This Inner Loop Header: Depth=1
	v_add_u32_e32 v19, v15, v14
	v_mad_i64_i32 v[20:21], s[14:15], v19, s4, v[10:11]
	v_lshl_add_u64 v[24:25], v[20:21], 0, v[2:3]
	v_lshl_add_u64 v[22:23], v[20:21], 0, v[0:1]
	global_load_dword v19, v[24:25], off offset:128
	global_load_dword v26, v[22:23], off
	v_mad_i64_i32 v[22:23], s[14:15], v18, 36, v[6:7]
	v_lshl_add_u64 v[24:25], v[22:23], 0, v[4:5]
	global_load_dword v27, v[24:25], off offset:4
	global_load_dword v28, v[24:25], off offset:76
	v_lshl_add_u64 v[24:25], v[20:21], 0, v[8:9]
	global_load_sbyte v29, v[24:25], off offset:192
	global_load_sbyte v30, v[24:25], off offset:196
	global_load_dword v31, v[22:23], off
	global_load_dword v32, v[22:23], off offset:72
	global_load_ushort v33, v[20:21], off offset:208
	v_mov_b32_e32 v20, 0
	v_mov_b32_e32 v21, 0
	v_add_u32_e32 v14, 2, v14
	v_cmp_le_u32_e32 vcc, s2, v14
	v_add_u32_e32 v18, 16, v18
	s_or_b64 s[0:1], vcc, s[0:1]
	s_waitcnt vmcnt(8)
	v_ashrrev_i32_e32 v19, v17, v19
	s_waitcnt vmcnt(7)
	v_and_b32_e32 v22, 0xf0f0f0f, v26
	v_lshrrev_b32_e32 v23, 4, v26
	v_lshlrev_b32_e32 v24, 4, v19
	v_and_b32_e32 v23, 0xf0f0f0f, v23
	v_and_or_b32 v22, v24, s10, v22
	v_and_or_b32 v19, v19, s10, v23
	v_lshrrev_b32_e32 v23, 16, v22
	v_lshlrev_b16_e32 v24, 8, v22
	v_lshrrev_b32_e32 v25, 16, v19
	v_lshlrev_b16_e32 v26, 8, v19
	v_add_u16_e32 v24, 0xe000, v24
	v_lshlrev_b16_e32 v34, 8, v23
	v_add_u16_e32 v26, 0xe000, v26
	v_lshlrev_b16_e32 v35, 8, v25
	v_lshrrev_b16_e32 v24, 8, v24
	v_add_u16_e32 v34, 0xe000, v34
	v_lshrrev_b16_e32 v26, 8, v26
	v_add_u16_e32 v35, 0xe000, v35
	v_bitop3_b16 v22, v22, v24, s12 bitop3:0xec
	v_lshrrev_b16_e32 v24, 8, v34
	v_bitop3_b16 v19, v19, v26, s12 bitop3:0xec
	v_lshrrev_b16_e32 v26, 8, v35
	v_bitop3_b16 v23, v23, v24, s12 bitop3:0xec
	v_add_u16_e32 v22, 0xe000, v22
	v_bitop3_b16 v24, v25, v26, s12 bitop3:0xec
	v_add_u16_sdwa v23, v23, s11 dst_sel:WORD_1 dst_unused:UNUSED_PAD src0_sel:DWORD src1_sel:DWORD
	v_add_u16_e32 v19, 0xe000, v19
	v_add_u16_sdwa v24, v24, s11 dst_sel:WORD_1 dst_unused:UNUSED_PAD src0_sel:DWORD src1_sel:DWORD
	v_or_b32_e32 v22, v22, v23
	v_or_b32_e32 v19, v19, v24
	s_waitcnt vmcnt(6)
	v_dot4c_i32_i8_e32 v20, v22, v27
	s_waitcnt vmcnt(5)
	v_dot4c_i32_i8_e32 v21, v19, v28
	s_waitcnt vmcnt(4)
	v_mul_lo_u32 v19, v20, v29
	s_waitcnt vmcnt(3)
	v_mul_lo_u32 v20, v21, v30
	v_cvt_f32_i32_e32 v19, v19
	v_cvt_f32_i32_e32 v20, v20
	s_waitcnt vmcnt(2)
	v_fma_mix_f32 v19, v31, v19, 0 op_sel_hi:[1,0,0]
	s_waitcnt vmcnt(1)
	v_fma_mix_f32 v19, v32, v20, v19 op_sel_hi:[1,0,0]
	s_waitcnt vmcnt(0)
	v_fma_mix_f32 v16, v19, v33, v16 op_sel_hi:[0,1,0]
	s_andn2_b64 exec, exec, s[0:1]
	s_cbranch_execnz .LBB87_3
; %bb.4:
	s_or_b64 exec, exec, s[0:1]
.LBB87_5:
	s_or_b64 exec, exec, s[8:9]
	v_mbcnt_lo_u32_b32 v0, -1, 0
	v_mbcnt_hi_u32_b32 v1, -1, v0
	v_and_b32_e32 v0, 64, v1
	v_add_u32_e32 v2, 64, v0
	v_xor_b32_e32 v0, 32, v1
	v_cmp_lt_i32_e32 vcc, v0, v2
	v_xor_b32_e32 v3, 16, v1
	v_xor_b32_e32 v4, 8, v1
	v_cndmask_b32_e32 v0, v1, v0, vcc
	v_lshlrev_b32_e32 v0, 2, v0
	ds_bpermute_b32 v0, v0, v16
	v_cmp_lt_i32_e32 vcc, v3, v2
	s_waitcnt lgkmcnt(0)
	v_add_f32_e32 v0, v16, v0
	v_cndmask_b32_e32 v3, v1, v3, vcc
	v_lshlrev_b32_e32 v3, 2, v3
	ds_bpermute_b32 v3, v3, v0
	v_cmp_lt_i32_e32 vcc, v4, v2
	s_waitcnt lgkmcnt(0)
	v_add_f32_e32 v0, v0, v3
	v_cndmask_b32_e32 v3, v1, v4, vcc
	v_lshlrev_b32_e32 v3, 2, v3
	ds_bpermute_b32 v3, v3, v0
	v_xor_b32_e32 v4, 4, v1
	v_cmp_lt_i32_e32 vcc, v4, v2
	s_waitcnt lgkmcnt(0)
	v_add_f32_e32 v0, v0, v3
	v_cndmask_b32_e32 v3, v1, v4, vcc
	v_lshlrev_b32_e32 v3, 2, v3
	ds_bpermute_b32 v3, v3, v0
	v_xor_b32_e32 v4, 2, v1
	;; [unrolled: 7-line block ×3, first 2 shown]
	v_cmp_lt_i32_e32 vcc, v4, v2
	s_waitcnt lgkmcnt(0)
	v_add_f32_e32 v0, v0, v3
	v_cndmask_b32_e32 v1, v1, v4, vcc
	v_lshlrev_b32_e32 v1, 2, v1
	ds_bpermute_b32 v1, v1, v0
	v_cmp_eq_u32_e32 vcc, 0, v13
	s_and_b64 exec, exec, vcc
	s_cbranch_execz .LBB87_7
; %bb.6:
	s_waitcnt lgkmcnt(0)
	v_add_f32_e32 v0, v0, v1
	v_cvt_f16_f32_e32 v2, v0
	s_mul_i32 s0, s5, s3
	v_add_u32_e32 v0, s0, v12
	v_mov_b32_e32 v1, 0
	v_lshl_add_u64 v[0:1], v[0:1], 1, s[6:7]
	global_store_short v[0:1], v2, off
.LBB87_7:
	s_endpgm
	.section	.rodata,"a",@progbits
	.p2align	6, 0x0
	.amdhsa_kernel _ZL13mul_mat_vec_qIN3c104HalfELi256ELi32E10block_q6_KLi1EXadL_ZL17vec_dot_q6_K_q8_1PKvPK10block_q8_1RKiEEEvS4_S4_PT_iii
		.amdhsa_group_segment_fixed_size 0
		.amdhsa_private_segment_fixed_size 0
		.amdhsa_kernarg_size 296
		.amdhsa_user_sgpr_count 2
		.amdhsa_user_sgpr_dispatch_ptr 0
		.amdhsa_user_sgpr_queue_ptr 0
		.amdhsa_user_sgpr_kernarg_segment_ptr 1
		.amdhsa_user_sgpr_dispatch_id 0
		.amdhsa_user_sgpr_kernarg_preload_length 0
		.amdhsa_user_sgpr_kernarg_preload_offset 0
		.amdhsa_user_sgpr_private_segment_size 0
		.amdhsa_uses_dynamic_stack 0
		.amdhsa_enable_private_segment 0
		.amdhsa_system_sgpr_workgroup_id_x 1
		.amdhsa_system_sgpr_workgroup_id_y 1
		.amdhsa_system_sgpr_workgroup_id_z 0
		.amdhsa_system_sgpr_workgroup_info 0
		.amdhsa_system_vgpr_workitem_id 1
		.amdhsa_next_free_vgpr 36
		.amdhsa_next_free_sgpr 16
		.amdhsa_accum_offset 36
		.amdhsa_reserve_vcc 1
		.amdhsa_float_round_mode_32 0
		.amdhsa_float_round_mode_16_64 0
		.amdhsa_float_denorm_mode_32 3
		.amdhsa_float_denorm_mode_16_64 3
		.amdhsa_dx10_clamp 1
		.amdhsa_ieee_mode 1
		.amdhsa_fp16_overflow 0
		.amdhsa_tg_split 0
		.amdhsa_exception_fp_ieee_invalid_op 0
		.amdhsa_exception_fp_denorm_src 0
		.amdhsa_exception_fp_ieee_div_zero 0
		.amdhsa_exception_fp_ieee_overflow 0
		.amdhsa_exception_fp_ieee_underflow 0
		.amdhsa_exception_fp_ieee_inexact 0
		.amdhsa_exception_int_div_zero 0
	.end_amdhsa_kernel
	.section	.text._ZL13mul_mat_vec_qIN3c104HalfELi256ELi32E10block_q6_KLi1EXadL_ZL17vec_dot_q6_K_q8_1PKvPK10block_q8_1RKiEEEvS4_S4_PT_iii,"axG",@progbits,_ZL13mul_mat_vec_qIN3c104HalfELi256ELi32E10block_q6_KLi1EXadL_ZL17vec_dot_q6_K_q8_1PKvPK10block_q8_1RKiEEEvS4_S4_PT_iii,comdat
.Lfunc_end87:
	.size	_ZL13mul_mat_vec_qIN3c104HalfELi256ELi32E10block_q6_KLi1EXadL_ZL17vec_dot_q6_K_q8_1PKvPK10block_q8_1RKiEEEvS4_S4_PT_iii, .Lfunc_end87-_ZL13mul_mat_vec_qIN3c104HalfELi256ELi32E10block_q6_KLi1EXadL_ZL17vec_dot_q6_K_q8_1PKvPK10block_q8_1RKiEEEvS4_S4_PT_iii
                                        ; -- End function
	.set _ZL13mul_mat_vec_qIN3c104HalfELi256ELi32E10block_q6_KLi1EXadL_ZL17vec_dot_q6_K_q8_1PKvPK10block_q8_1RKiEEEvS4_S4_PT_iii.num_vgpr, 36
	.set _ZL13mul_mat_vec_qIN3c104HalfELi256ELi32E10block_q6_KLi1EXadL_ZL17vec_dot_q6_K_q8_1PKvPK10block_q8_1RKiEEEvS4_S4_PT_iii.num_agpr, 0
	.set _ZL13mul_mat_vec_qIN3c104HalfELi256ELi32E10block_q6_KLi1EXadL_ZL17vec_dot_q6_K_q8_1PKvPK10block_q8_1RKiEEEvS4_S4_PT_iii.numbered_sgpr, 16
	.set _ZL13mul_mat_vec_qIN3c104HalfELi256ELi32E10block_q6_KLi1EXadL_ZL17vec_dot_q6_K_q8_1PKvPK10block_q8_1RKiEEEvS4_S4_PT_iii.num_named_barrier, 0
	.set _ZL13mul_mat_vec_qIN3c104HalfELi256ELi32E10block_q6_KLi1EXadL_ZL17vec_dot_q6_K_q8_1PKvPK10block_q8_1RKiEEEvS4_S4_PT_iii.private_seg_size, 0
	.set _ZL13mul_mat_vec_qIN3c104HalfELi256ELi32E10block_q6_KLi1EXadL_ZL17vec_dot_q6_K_q8_1PKvPK10block_q8_1RKiEEEvS4_S4_PT_iii.uses_vcc, 1
	.set _ZL13mul_mat_vec_qIN3c104HalfELi256ELi32E10block_q6_KLi1EXadL_ZL17vec_dot_q6_K_q8_1PKvPK10block_q8_1RKiEEEvS4_S4_PT_iii.uses_flat_scratch, 0
	.set _ZL13mul_mat_vec_qIN3c104HalfELi256ELi32E10block_q6_KLi1EXadL_ZL17vec_dot_q6_K_q8_1PKvPK10block_q8_1RKiEEEvS4_S4_PT_iii.has_dyn_sized_stack, 0
	.set _ZL13mul_mat_vec_qIN3c104HalfELi256ELi32E10block_q6_KLi1EXadL_ZL17vec_dot_q6_K_q8_1PKvPK10block_q8_1RKiEEEvS4_S4_PT_iii.has_recursion, 0
	.set _ZL13mul_mat_vec_qIN3c104HalfELi256ELi32E10block_q6_KLi1EXadL_ZL17vec_dot_q6_K_q8_1PKvPK10block_q8_1RKiEEEvS4_S4_PT_iii.has_indirect_call, 0
	.section	.AMDGPU.csdata,"",@progbits
; Kernel info:
; codeLenInByte = 1052
; TotalNumSgprs: 22
; NumVgprs: 36
; NumAgprs: 0
; TotalNumVgprs: 36
; ScratchSize: 0
; MemoryBound: 0
; FloatMode: 240
; IeeeMode: 1
; LDSByteSize: 0 bytes/workgroup (compile time only)
; SGPRBlocks: 2
; VGPRBlocks: 4
; NumSGPRsForWavesPerEU: 22
; NumVGPRsForWavesPerEU: 36
; AccumOffset: 36
; Occupancy: 8
; WaveLimiterHint : 0
; COMPUTE_PGM_RSRC2:SCRATCH_EN: 0
; COMPUTE_PGM_RSRC2:USER_SGPR: 2
; COMPUTE_PGM_RSRC2:TRAP_HANDLER: 0
; COMPUTE_PGM_RSRC2:TGID_X_EN: 1
; COMPUTE_PGM_RSRC2:TGID_Y_EN: 1
; COMPUTE_PGM_RSRC2:TGID_Z_EN: 0
; COMPUTE_PGM_RSRC2:TIDIG_COMP_CNT: 1
; COMPUTE_PGM_RSRC3_GFX90A:ACCUM_OFFSET: 8
; COMPUTE_PGM_RSRC3_GFX90A:TG_SPLIT: 0
	.section	.text._ZL13mul_mat_vec_qIN3c104HalfELi256ELi8E13block_iq2_xxsLi1EXadL_ZL20vec_dot_iq2_xxs_q8_1PKvPK10block_q8_1RKiEEEvS4_S4_PT_iii,"axG",@progbits,_ZL13mul_mat_vec_qIN3c104HalfELi256ELi8E13block_iq2_xxsLi1EXadL_ZL20vec_dot_iq2_xxs_q8_1PKvPK10block_q8_1RKiEEEvS4_S4_PT_iii,comdat
	.globl	_ZL13mul_mat_vec_qIN3c104HalfELi256ELi8E13block_iq2_xxsLi1EXadL_ZL20vec_dot_iq2_xxs_q8_1PKvPK10block_q8_1RKiEEEvS4_S4_PT_iii ; -- Begin function _ZL13mul_mat_vec_qIN3c104HalfELi256ELi8E13block_iq2_xxsLi1EXadL_ZL20vec_dot_iq2_xxs_q8_1PKvPK10block_q8_1RKiEEEvS4_S4_PT_iii
	.p2align	8
	.type	_ZL13mul_mat_vec_qIN3c104HalfELi256ELi8E13block_iq2_xxsLi1EXadL_ZL20vec_dot_iq2_xxs_q8_1PKvPK10block_q8_1RKiEEEvS4_S4_PT_iii,@function
_ZL13mul_mat_vec_qIN3c104HalfELi256ELi8E13block_iq2_xxsLi1EXadL_ZL20vec_dot_iq2_xxs_q8_1PKvPK10block_q8_1RKiEEEvS4_S4_PT_iii: ; @_ZL13mul_mat_vec_qIN3c104HalfELi256ELi8E13block_iq2_xxsLi1EXadL_ZL20vec_dot_iq2_xxs_q8_1PKvPK10block_q8_1RKiEEEvS4_S4_PT_iii
; %bb.0:
	s_load_dword s8, s[0:1], 0x34
	s_load_dwordx4 s[4:7], s[0:1], 0x18
	v_bfe_u32 v1, v0, 10, 10
	s_waitcnt lgkmcnt(0)
	s_lshr_b32 s7, s8, 16
	s_mul_i32 s2, s2, s7
	v_add_u32_e32 v10, s2, v1
	s_cmp_lt_u32 s3, s6
	v_cmp_gt_u32_e32 vcc, s5, v10
	s_cselect_b64 s[6:7], -1, 0
	s_and_b64 s[6:7], s[6:7], vcc
	s_and_saveexec_b64 s[8:9], s[6:7]
	s_cbranch_execz .LBB88_7
; %bb.1:
	s_load_dwordx2 s[6:7], s[0:1], 0x10
	s_ashr_i32 s2, s4, 31
	s_lshr_b32 s2, s2, 24
	s_add_i32 s2, s4, s2
	s_ashr_i32 s2, s2, 8
	v_bfe_u32 v12, v0, 3, 7
	v_and_b32_e32 v11, 0x3ff, v0
	v_cmp_gt_u32_e32 vcc, s2, v12
	v_mov_b32_e32 v13, 0
	s_and_saveexec_b64 s[8:9], vcc
	s_cbranch_execz .LBB88_5
; %bb.2:
	s_load_dwordx4 s[12:15], s[0:1], 0x0
	s_add_i32 s0, s4, 0x1ff
	s_ashr_i32 s1, s0, 31
	s_lshr_b32 s1, s1, 23
	s_add_i32 s0, s0, s1
	s_ashr_i32 s0, s0, 9
	v_and_b32_e32 v2, 7, v11
	s_mul_i32 s4, s3, s0
	v_lshlrev_b32_e32 v0, 2, v2
	v_mov_b32_e32 v1, 0
	s_waitcnt lgkmcnt(0)
	v_mad_u64_u32 v[2:3], s[0:1], v2, 36, s[14:15]
	v_lshlrev_b32_e32 v4, 3, v12
	v_mul_lo_u32 v14, v10, s2
	v_lshl_add_u32 v15, s4, 4, v4
	s_mov_b64 s[0:1], 0
	s_movk_i32 s4, 0x42
	v_mov_b64_e32 v[4:5], s[12:13]
	v_lshlrev_b32_e32 v0, 1, v0
	v_mov_b32_e32 v16, 3
	v_mov_b32_e32 v13, v1
.LBB88_3:                               ; =>This Inner Loop Header: Depth=1
	v_add_u32_e32 v6, v14, v12
	v_mad_i64_i32 v[8:9], s[10:11], v6, s4, v[4:5]
	v_lshl_add_u64 v[18:19], v[8:9], 0, v[0:1]
	global_load_dword v17, v[18:19], off offset:6
	global_load_dword v24, v[18:19], off offset:2
	v_mad_i64_i32 v[6:7], s[10:11], v15, 36, v[2:3]
	s_getpc_b64 s[10:11]
	s_add_u32 s10, s10, _ZL11iq2xxs_grid@rel32@lo+4
	s_addc_u32 s11, s11, _ZL11iq2xxs_grid@rel32@hi+12
	s_getpc_b64 s[12:13]
	s_add_u32 s12, s12, _ZL12ksigns_iq2xs@rel32@lo+4
	s_addc_u32 s13, s13, _ZL12ksigns_iq2xs@rel32@hi+12
	v_add_u32_e32 v12, 8, v12
	v_add_u32_e32 v15, 64, v15
	s_waitcnt vmcnt(1)
	v_and_b32_e32 v26, 0x7f, v17
	s_waitcnt vmcnt(0)
	v_lshlrev_b32_sdwa v25, v16, v24 dst_sel:DWORD dst_unused:UNUSED_PAD src0_sel:DWORD src1_sel:BYTE_0
	global_load_sbyte v27, v26, s[12:13]
	global_load_dwordx4 v[18:21], v[6:7], off offset:4
	global_load_dwordx2 v[22:23], v25, s[10:11]
	s_waitcnt vmcnt(2)
	v_and_b32_e32 v28, 1, v27
	v_cmp_eq_u16_e32 vcc, 0, v28
	s_waitcnt vmcnt(0)
	v_mul_i32_i24_sdwa v25, v22, sext(v18) dst_sel:DWORD dst_unused:UNUSED_PAD src0_sel:BYTE_0 src1_sel:BYTE_0
	v_sub_u32_e32 v28, 0, v25
	v_cndmask_b32_e32 v25, v28, v25, vcc
	v_mul_i32_i24_sdwa v28, v22, sext(v18) dst_sel:DWORD dst_unused:UNUSED_PAD src0_sel:BYTE_1 src1_sel:BYTE_1
	v_and_b32_e32 v29, 2, v27
	v_cmp_eq_u16_e32 vcc, 0, v29
	v_sub_u32_e32 v29, 0, v28
	s_nop 0
	v_cndmask_b32_e32 v28, v29, v28, vcc
	v_add_u32_e32 v25, v28, v25
	v_mul_i32_i24_sdwa v28, v22, sext(v18) dst_sel:DWORD dst_unused:UNUSED_PAD src0_sel:BYTE_2 src1_sel:BYTE_2
	v_and_b32_e32 v29, 4, v27
	v_cmp_eq_u16_e32 vcc, 0, v29
	v_sub_u32_e32 v29, 0, v28
	v_mul_i32_i24_sdwa v18, v22, sext(v18) dst_sel:DWORD dst_unused:UNUSED_PAD src0_sel:BYTE_3 src1_sel:BYTE_3
	v_and_b32_e32 v22, 8, v27
	v_cndmask_b32_e32 v28, v29, v28, vcc
	v_cmp_eq_u16_e32 vcc, 0, v22
	v_sub_u32_e32 v22, 0, v18
	s_nop 0
	v_cndmask_b32_e32 v18, v22, v18, vcc
	v_add3_u32 v18, v25, v28, v18
	v_mul_i32_i24_sdwa v22, v23, sext(v19) dst_sel:DWORD dst_unused:UNUSED_PAD src0_sel:BYTE_0 src1_sel:BYTE_0
	v_and_b32_e32 v25, 16, v27
	v_cmp_eq_u16_e32 vcc, 0, v25
	v_sub_u32_e32 v25, 0, v22
	v_and_b32_e32 v28, 32, v27
	v_cndmask_b32_e32 v22, v25, v22, vcc
	v_mul_i32_i24_sdwa v25, v23, sext(v19) dst_sel:DWORD dst_unused:UNUSED_PAD src0_sel:BYTE_1 src1_sel:BYTE_1
	v_cmp_eq_u16_e32 vcc, 0, v28
	v_sub_u32_e32 v28, 0, v25
	s_nop 0
	v_cndmask_b32_e32 v25, v28, v25, vcc
	v_add3_u32 v18, v18, v22, v25
	v_mul_i32_i24_sdwa v22, v23, sext(v19) dst_sel:DWORD dst_unused:UNUSED_PAD src0_sel:BYTE_2 src1_sel:BYTE_2
	v_cmp_gt_u32_e32 vcc, 64, v26
	v_sub_u32_e32 v25, 0, v22
	v_mul_i32_i24_sdwa v19, v23, sext(v19) dst_sel:DWORD dst_unused:UNUSED_PAD src0_sel:BYTE_3 src1_sel:BYTE_3
	v_cndmask_b32_e32 v22, v25, v22, vcc
	v_sub_u32_e32 v23, 0, v19
	v_cmp_gt_i16_e32 vcc, 0, v27
	v_bfe_u32 v25, v17, 7, 7
	s_nop 0
	v_cndmask_b32_e32 v19, v19, v23, vcc
	v_add3_u32 v22, v18, v22, v19
	v_lshlrev_b32_sdwa v23, v16, v24 dst_sel:DWORD dst_unused:UNUSED_PAD src0_sel:DWORD src1_sel:BYTE_1
	global_load_sbyte v26, v25, s[12:13]
	global_load_dwordx2 v[18:19], v23, s[10:11]
	s_waitcnt vmcnt(1)
	v_and_b32_e32 v27, 1, v26
	s_waitcnt vmcnt(0)
	v_mul_i32_i24_sdwa v23, v18, sext(v20) dst_sel:DWORD dst_unused:UNUSED_PAD src0_sel:BYTE_0 src1_sel:BYTE_0
	v_cmp_eq_u16_e32 vcc, 0, v27
	v_sub_u32_e32 v27, 0, v23
	v_and_b32_e32 v28, 2, v26
	v_cndmask_b32_e32 v23, v27, v23, vcc
	v_mul_i32_i24_sdwa v27, v18, sext(v20) dst_sel:DWORD dst_unused:UNUSED_PAD src0_sel:BYTE_1 src1_sel:BYTE_1
	v_cmp_eq_u16_e32 vcc, 0, v28
	v_sub_u32_e32 v28, 0, v27
	s_nop 0
	v_cndmask_b32_e32 v27, v28, v27, vcc
	v_add3_u32 v22, v22, v23, v27
	v_mul_i32_i24_sdwa v23, v18, sext(v20) dst_sel:DWORD dst_unused:UNUSED_PAD src0_sel:BYTE_2 src1_sel:BYTE_2
	v_and_b32_e32 v27, 4, v26
	v_cmp_eq_u16_e32 vcc, 0, v27
	v_sub_u32_e32 v27, 0, v23
	v_mul_i32_i24_sdwa v18, v18, sext(v20) dst_sel:DWORD dst_unused:UNUSED_PAD src0_sel:BYTE_3 src1_sel:BYTE_3
	v_and_b32_e32 v20, 8, v26
	v_cndmask_b32_e32 v23, v27, v23, vcc
	v_cmp_eq_u16_e32 vcc, 0, v20
	v_sub_u32_e32 v20, 0, v18
	v_bfe_u32 v27, v17, 14, 7
	v_cndmask_b32_e32 v18, v20, v18, vcc
	v_add3_u32 v18, v22, v23, v18
	v_mul_i32_i24_sdwa v20, v19, sext(v21) dst_sel:DWORD dst_unused:UNUSED_PAD src0_sel:BYTE_0 src1_sel:BYTE_0
	v_and_b32_e32 v22, 16, v26
	v_cmp_eq_u16_e32 vcc, 0, v22
	v_sub_u32_e32 v22, 0, v20
	v_and_b32_e32 v23, 32, v26
	v_cndmask_b32_e32 v20, v22, v20, vcc
	v_mul_i32_i24_sdwa v22, v19, sext(v21) dst_sel:DWORD dst_unused:UNUSED_PAD src0_sel:BYTE_1 src1_sel:BYTE_1
	v_cmp_eq_u16_e32 vcc, 0, v23
	v_sub_u32_e32 v23, 0, v22
	s_nop 0
	v_cndmask_b32_e32 v22, v23, v22, vcc
	v_add3_u32 v18, v18, v20, v22
	v_mul_i32_i24_sdwa v20, v19, sext(v21) dst_sel:DWORD dst_unused:UNUSED_PAD src0_sel:BYTE_2 src1_sel:BYTE_2
	v_cmp_gt_u32_e32 vcc, 64, v25
	v_sub_u32_e32 v22, 0, v20
	v_mul_i32_i24_sdwa v19, v19, sext(v21) dst_sel:DWORD dst_unused:UNUSED_PAD src0_sel:BYTE_3 src1_sel:BYTE_3
	v_cndmask_b32_e32 v20, v22, v20, vcc
	v_sub_u32_e32 v21, 0, v19
	v_cmp_gt_i16_e32 vcc, 0, v26
	v_lshlrev_b32_sdwa v26, v16, v24 dst_sel:DWORD dst_unused:UNUSED_PAD src0_sel:DWORD src1_sel:BYTE_2
	s_nop 0
	v_cndmask_b32_e32 v19, v19, v21, vcc
	v_add3_u32 v25, v18, v20, v19
	global_load_sbyte v28, v27, s[12:13]
	global_load_dwordx4 v[18:21], v[6:7], off offset:20
	global_load_dwordx2 v[22:23], v26, s[10:11]
	s_waitcnt vmcnt(2)
	v_and_b32_e32 v29, 1, v28
	v_cmp_eq_u16_e32 vcc, 0, v29
	s_waitcnt vmcnt(0)
	v_mul_i32_i24_sdwa v26, v22, sext(v18) dst_sel:DWORD dst_unused:UNUSED_PAD src0_sel:BYTE_0 src1_sel:BYTE_0
	v_sub_u32_e32 v29, 0, v26
	v_cndmask_b32_e32 v26, v29, v26, vcc
	v_mul_i32_i24_sdwa v29, v22, sext(v18) dst_sel:DWORD dst_unused:UNUSED_PAD src0_sel:BYTE_1 src1_sel:BYTE_1
	v_and_b32_e32 v30, 2, v28
	v_cmp_eq_u16_e32 vcc, 0, v30
	v_sub_u32_e32 v30, 0, v29
	s_nop 0
	v_cndmask_b32_e32 v29, v30, v29, vcc
	v_add3_u32 v25, v25, v26, v29
	v_mul_i32_i24_sdwa v26, v22, sext(v18) dst_sel:DWORD dst_unused:UNUSED_PAD src0_sel:BYTE_2 src1_sel:BYTE_2
	v_and_b32_e32 v29, 4, v28
	v_cmp_eq_u16_e32 vcc, 0, v29
	v_sub_u32_e32 v29, 0, v26
	v_mul_i32_i24_sdwa v18, v22, sext(v18) dst_sel:DWORD dst_unused:UNUSED_PAD src0_sel:BYTE_3 src1_sel:BYTE_3
	v_and_b32_e32 v22, 8, v28
	v_cndmask_b32_e32 v26, v29, v26, vcc
	v_cmp_eq_u16_e32 vcc, 0, v22
	v_sub_u32_e32 v22, 0, v18
	s_nop 0
	v_cndmask_b32_e32 v18, v22, v18, vcc
	v_add3_u32 v18, v25, v26, v18
	v_mul_i32_i24_sdwa v22, v23, sext(v19) dst_sel:DWORD dst_unused:UNUSED_PAD src0_sel:BYTE_0 src1_sel:BYTE_0
	v_and_b32_e32 v25, 16, v28
	v_cmp_eq_u16_e32 vcc, 0, v25
	v_sub_u32_e32 v25, 0, v22
	v_and_b32_e32 v26, 32, v28
	v_cndmask_b32_e32 v22, v25, v22, vcc
	v_mul_i32_i24_sdwa v25, v23, sext(v19) dst_sel:DWORD dst_unused:UNUSED_PAD src0_sel:BYTE_1 src1_sel:BYTE_1
	v_cmp_eq_u16_e32 vcc, 0, v26
	v_sub_u32_e32 v26, 0, v25
	s_nop 0
	v_cndmask_b32_e32 v25, v26, v25, vcc
	v_add3_u32 v18, v18, v22, v25
	v_mul_i32_i24_sdwa v22, v23, sext(v19) dst_sel:DWORD dst_unused:UNUSED_PAD src0_sel:BYTE_2 src1_sel:BYTE_2
	v_cmp_gt_u32_e32 vcc, 64, v27
	v_sub_u32_e32 v25, 0, v22
	v_mul_i32_i24_sdwa v19, v23, sext(v19) dst_sel:DWORD dst_unused:UNUSED_PAD src0_sel:BYTE_3 src1_sel:BYTE_3
	v_cndmask_b32_e32 v22, v25, v22, vcc
	v_sub_u32_e32 v23, 0, v19
	v_cmp_gt_i16_e32 vcc, 0, v28
	s_nop 1
	v_cndmask_b32_e32 v19, v19, v23, vcc
	v_lshlrev_b32_sdwa v23, v16, v24 dst_sel:DWORD dst_unused:UNUSED_PAD src0_sel:DWORD src1_sel:BYTE_3
	v_bfe_u32 v24, v17, 21, 7
	v_add3_u32 v22, v18, v22, v19
	global_load_sbyte v25, v24, s[12:13]
	global_load_dwordx2 v[18:19], v23, s[10:11]
	v_lshrrev_b32_e32 v17, 28, v17
	global_load_ushort v8, v[8:9], off
	v_cvt_f32_ubyte0_e32 v9, v17
	global_load_ushort v6, v[6:7], off
	v_add_f32_e32 v9, 0.5, v9
	s_waitcnt vmcnt(3)
	v_and_b32_e32 v26, 1, v25
	s_waitcnt vmcnt(2)
	v_mul_i32_i24_sdwa v23, v18, sext(v20) dst_sel:DWORD dst_unused:UNUSED_PAD src0_sel:BYTE_0 src1_sel:BYTE_0
	v_cmp_eq_u16_e32 vcc, 0, v26
	v_sub_u32_e32 v26, 0, v23
	v_and_b32_e32 v27, 2, v25
	v_cndmask_b32_e32 v23, v26, v23, vcc
	v_mul_i32_i24_sdwa v26, v18, sext(v20) dst_sel:DWORD dst_unused:UNUSED_PAD src0_sel:BYTE_1 src1_sel:BYTE_1
	v_cmp_eq_u16_e32 vcc, 0, v27
	v_sub_u32_e32 v27, 0, v26
	s_waitcnt vmcnt(1)
	v_cvt_f32_f16_e32 v8, v8
	v_cndmask_b32_e32 v26, v27, v26, vcc
	v_add3_u32 v22, v22, v23, v26
	v_mul_i32_i24_sdwa v23, v18, sext(v20) dst_sel:DWORD dst_unused:UNUSED_PAD src0_sel:BYTE_2 src1_sel:BYTE_2
	v_and_b32_e32 v26, 4, v25
	v_cmp_eq_u16_e32 vcc, 0, v26
	v_sub_u32_e32 v26, 0, v23
	v_mul_i32_i24_sdwa v18, v18, sext(v20) dst_sel:DWORD dst_unused:UNUSED_PAD src0_sel:BYTE_3 src1_sel:BYTE_3
	v_and_b32_e32 v20, 8, v25
	v_cndmask_b32_e32 v23, v26, v23, vcc
	v_cmp_eq_u16_e32 vcc, 0, v20
	v_sub_u32_e32 v20, 0, v18
	s_waitcnt vmcnt(0)
	v_cvt_f32_f16_e32 v6, v6
	v_cndmask_b32_e32 v18, v20, v18, vcc
	v_add3_u32 v18, v22, v23, v18
	v_mul_i32_i24_sdwa v20, v19, sext(v21) dst_sel:DWORD dst_unused:UNUSED_PAD src0_sel:BYTE_0 src1_sel:BYTE_0
	v_and_b32_e32 v22, 16, v25
	v_cmp_eq_u16_e32 vcc, 0, v22
	v_sub_u32_e32 v22, 0, v20
	v_and_b32_e32 v23, 32, v25
	v_cndmask_b32_e32 v20, v22, v20, vcc
	v_mul_i32_i24_sdwa v22, v19, sext(v21) dst_sel:DWORD dst_unused:UNUSED_PAD src0_sel:BYTE_1 src1_sel:BYTE_1
	v_cmp_eq_u16_e32 vcc, 0, v23
	v_sub_u32_e32 v23, 0, v22
	v_mul_f32_e32 v8, v9, v8
	v_cndmask_b32_e32 v22, v23, v22, vcc
	v_add3_u32 v18, v18, v20, v22
	v_mul_i32_i24_sdwa v20, v19, sext(v21) dst_sel:DWORD dst_unused:UNUSED_PAD src0_sel:BYTE_2 src1_sel:BYTE_2
	v_cmp_gt_u32_e32 vcc, 64, v24
	v_sub_u32_e32 v22, 0, v20
	v_mul_i32_i24_sdwa v19, v19, sext(v21) dst_sel:DWORD dst_unused:UNUSED_PAD src0_sel:BYTE_3 src1_sel:BYTE_3
	v_cndmask_b32_e32 v20, v22, v20, vcc
	v_sub_u32_e32 v21, 0, v19
	v_cmp_gt_i16_e32 vcc, 0, v25
	v_mul_f32_e32 v6, v8, v6
	v_mul_f32_e32 v6, 0x3e800000, v6
	v_cndmask_b32_e32 v19, v19, v21, vcc
	v_add3_u32 v18, v18, v20, v19
	v_cvt_f32_i32_e32 v7, v18
	v_cmp_le_u32_e32 vcc, s2, v12
	s_or_b64 s[0:1], vcc, s[0:1]
	v_fmac_f32_e32 v13, v6, v7
	s_andn2_b64 exec, exec, s[0:1]
	s_cbranch_execnz .LBB88_3
; %bb.4:
	s_or_b64 exec, exec, s[0:1]
.LBB88_5:
	s_or_b64 exec, exec, s[8:9]
	v_mbcnt_lo_u32_b32 v0, -1, 0
	v_mbcnt_hi_u32_b32 v1, -1, v0
	v_and_b32_e32 v0, 64, v1
	v_add_u32_e32 v2, 64, v0
	v_xor_b32_e32 v0, 32, v1
	v_cmp_lt_i32_e32 vcc, v0, v2
	v_xor_b32_e32 v3, 16, v1
	v_xor_b32_e32 v4, 8, v1
	v_cndmask_b32_e32 v0, v1, v0, vcc
	v_lshlrev_b32_e32 v0, 2, v0
	ds_bpermute_b32 v0, v0, v13
	v_cmp_lt_i32_e32 vcc, v3, v2
	s_waitcnt lgkmcnt(0)
	v_add_f32_e32 v0, v13, v0
	v_cndmask_b32_e32 v3, v1, v3, vcc
	v_lshlrev_b32_e32 v3, 2, v3
	ds_bpermute_b32 v3, v3, v0
	v_cmp_lt_i32_e32 vcc, v4, v2
	s_waitcnt lgkmcnt(0)
	v_add_f32_e32 v0, v0, v3
	v_cndmask_b32_e32 v3, v1, v4, vcc
	v_lshlrev_b32_e32 v3, 2, v3
	ds_bpermute_b32 v3, v3, v0
	v_xor_b32_e32 v4, 4, v1
	v_cmp_lt_i32_e32 vcc, v4, v2
	s_waitcnt lgkmcnt(0)
	v_add_f32_e32 v0, v0, v3
	v_cndmask_b32_e32 v3, v1, v4, vcc
	v_lshlrev_b32_e32 v3, 2, v3
	ds_bpermute_b32 v3, v3, v0
	v_xor_b32_e32 v4, 2, v1
	;; [unrolled: 7-line block ×3, first 2 shown]
	v_cmp_lt_i32_e32 vcc, v4, v2
	s_waitcnt lgkmcnt(0)
	v_add_f32_e32 v0, v0, v3
	v_cndmask_b32_e32 v1, v1, v4, vcc
	v_lshlrev_b32_e32 v1, 2, v1
	ds_bpermute_b32 v1, v1, v0
	v_cmp_eq_u32_e32 vcc, 0, v11
	s_and_b64 exec, exec, vcc
	s_cbranch_execz .LBB88_7
; %bb.6:
	s_waitcnt lgkmcnt(0)
	v_add_f32_e32 v0, v0, v1
	v_cvt_f16_f32_e32 v2, v0
	s_mul_i32 s0, s5, s3
	v_add_u32_e32 v0, s0, v10
	v_mov_b32_e32 v1, 0
	v_lshl_add_u64 v[0:1], v[0:1], 1, s[6:7]
	global_store_short v[0:1], v2, off
.LBB88_7:
	s_endpgm
	.section	.rodata,"a",@progbits
	.p2align	6, 0x0
	.amdhsa_kernel _ZL13mul_mat_vec_qIN3c104HalfELi256ELi8E13block_iq2_xxsLi1EXadL_ZL20vec_dot_iq2_xxs_q8_1PKvPK10block_q8_1RKiEEEvS4_S4_PT_iii
		.amdhsa_group_segment_fixed_size 0
		.amdhsa_private_segment_fixed_size 0
		.amdhsa_kernarg_size 296
		.amdhsa_user_sgpr_count 2
		.amdhsa_user_sgpr_dispatch_ptr 0
		.amdhsa_user_sgpr_queue_ptr 0
		.amdhsa_user_sgpr_kernarg_segment_ptr 1
		.amdhsa_user_sgpr_dispatch_id 0
		.amdhsa_user_sgpr_kernarg_preload_length 0
		.amdhsa_user_sgpr_kernarg_preload_offset 0
		.amdhsa_user_sgpr_private_segment_size 0
		.amdhsa_uses_dynamic_stack 0
		.amdhsa_enable_private_segment 0
		.amdhsa_system_sgpr_workgroup_id_x 1
		.amdhsa_system_sgpr_workgroup_id_y 1
		.amdhsa_system_sgpr_workgroup_id_z 0
		.amdhsa_system_sgpr_workgroup_info 0
		.amdhsa_system_vgpr_workitem_id 1
		.amdhsa_next_free_vgpr 31
		.amdhsa_next_free_sgpr 16
		.amdhsa_accum_offset 32
		.amdhsa_reserve_vcc 1
		.amdhsa_float_round_mode_32 0
		.amdhsa_float_round_mode_16_64 0
		.amdhsa_float_denorm_mode_32 3
		.amdhsa_float_denorm_mode_16_64 3
		.amdhsa_dx10_clamp 1
		.amdhsa_ieee_mode 1
		.amdhsa_fp16_overflow 0
		.amdhsa_tg_split 0
		.amdhsa_exception_fp_ieee_invalid_op 0
		.amdhsa_exception_fp_denorm_src 0
		.amdhsa_exception_fp_ieee_div_zero 0
		.amdhsa_exception_fp_ieee_overflow 0
		.amdhsa_exception_fp_ieee_underflow 0
		.amdhsa_exception_fp_ieee_inexact 0
		.amdhsa_exception_int_div_zero 0
	.end_amdhsa_kernel
	.section	.text._ZL13mul_mat_vec_qIN3c104HalfELi256ELi8E13block_iq2_xxsLi1EXadL_ZL20vec_dot_iq2_xxs_q8_1PKvPK10block_q8_1RKiEEEvS4_S4_PT_iii,"axG",@progbits,_ZL13mul_mat_vec_qIN3c104HalfELi256ELi8E13block_iq2_xxsLi1EXadL_ZL20vec_dot_iq2_xxs_q8_1PKvPK10block_q8_1RKiEEEvS4_S4_PT_iii,comdat
.Lfunc_end88:
	.size	_ZL13mul_mat_vec_qIN3c104HalfELi256ELi8E13block_iq2_xxsLi1EXadL_ZL20vec_dot_iq2_xxs_q8_1PKvPK10block_q8_1RKiEEEvS4_S4_PT_iii, .Lfunc_end88-_ZL13mul_mat_vec_qIN3c104HalfELi256ELi8E13block_iq2_xxsLi1EXadL_ZL20vec_dot_iq2_xxs_q8_1PKvPK10block_q8_1RKiEEEvS4_S4_PT_iii
                                        ; -- End function
	.set _ZL13mul_mat_vec_qIN3c104HalfELi256ELi8E13block_iq2_xxsLi1EXadL_ZL20vec_dot_iq2_xxs_q8_1PKvPK10block_q8_1RKiEEEvS4_S4_PT_iii.num_vgpr, 31
	.set _ZL13mul_mat_vec_qIN3c104HalfELi256ELi8E13block_iq2_xxsLi1EXadL_ZL20vec_dot_iq2_xxs_q8_1PKvPK10block_q8_1RKiEEEvS4_S4_PT_iii.num_agpr, 0
	.set _ZL13mul_mat_vec_qIN3c104HalfELi256ELi8E13block_iq2_xxsLi1EXadL_ZL20vec_dot_iq2_xxs_q8_1PKvPK10block_q8_1RKiEEEvS4_S4_PT_iii.numbered_sgpr, 16
	.set _ZL13mul_mat_vec_qIN3c104HalfELi256ELi8E13block_iq2_xxsLi1EXadL_ZL20vec_dot_iq2_xxs_q8_1PKvPK10block_q8_1RKiEEEvS4_S4_PT_iii.num_named_barrier, 0
	.set _ZL13mul_mat_vec_qIN3c104HalfELi256ELi8E13block_iq2_xxsLi1EXadL_ZL20vec_dot_iq2_xxs_q8_1PKvPK10block_q8_1RKiEEEvS4_S4_PT_iii.private_seg_size, 0
	.set _ZL13mul_mat_vec_qIN3c104HalfELi256ELi8E13block_iq2_xxsLi1EXadL_ZL20vec_dot_iq2_xxs_q8_1PKvPK10block_q8_1RKiEEEvS4_S4_PT_iii.uses_vcc, 1
	.set _ZL13mul_mat_vec_qIN3c104HalfELi256ELi8E13block_iq2_xxsLi1EXadL_ZL20vec_dot_iq2_xxs_q8_1PKvPK10block_q8_1RKiEEEvS4_S4_PT_iii.uses_flat_scratch, 0
	.set _ZL13mul_mat_vec_qIN3c104HalfELi256ELi8E13block_iq2_xxsLi1EXadL_ZL20vec_dot_iq2_xxs_q8_1PKvPK10block_q8_1RKiEEEvS4_S4_PT_iii.has_dyn_sized_stack, 0
	.set _ZL13mul_mat_vec_qIN3c104HalfELi256ELi8E13block_iq2_xxsLi1EXadL_ZL20vec_dot_iq2_xxs_q8_1PKvPK10block_q8_1RKiEEEvS4_S4_PT_iii.has_recursion, 0
	.set _ZL13mul_mat_vec_qIN3c104HalfELi256ELi8E13block_iq2_xxsLi1EXadL_ZL20vec_dot_iq2_xxs_q8_1PKvPK10block_q8_1RKiEEEvS4_S4_PT_iii.has_indirect_call, 0
	.section	.AMDGPU.csdata,"",@progbits
; Kernel info:
; codeLenInByte = 1760
; TotalNumSgprs: 22
; NumVgprs: 31
; NumAgprs: 0
; TotalNumVgprs: 31
; ScratchSize: 0
; MemoryBound: 0
; FloatMode: 240
; IeeeMode: 1
; LDSByteSize: 0 bytes/workgroup (compile time only)
; SGPRBlocks: 2
; VGPRBlocks: 3
; NumSGPRsForWavesPerEU: 22
; NumVGPRsForWavesPerEU: 31
; AccumOffset: 32
; Occupancy: 8
; WaveLimiterHint : 0
; COMPUTE_PGM_RSRC2:SCRATCH_EN: 0
; COMPUTE_PGM_RSRC2:USER_SGPR: 2
; COMPUTE_PGM_RSRC2:TRAP_HANDLER: 0
; COMPUTE_PGM_RSRC2:TGID_X_EN: 1
; COMPUTE_PGM_RSRC2:TGID_Y_EN: 1
; COMPUTE_PGM_RSRC2:TGID_Z_EN: 0
; COMPUTE_PGM_RSRC2:TIDIG_COMP_CNT: 1
; COMPUTE_PGM_RSRC3_GFX90A:ACCUM_OFFSET: 7
; COMPUTE_PGM_RSRC3_GFX90A:TG_SPLIT: 0
	.section	.text._ZL13mul_mat_vec_qIN3c104HalfELi256ELi8E12block_iq2_xsLi1EXadL_ZL19vec_dot_iq2_xs_q8_1PKvPK10block_q8_1RKiEEEvS4_S4_PT_iii,"axG",@progbits,_ZL13mul_mat_vec_qIN3c104HalfELi256ELi8E12block_iq2_xsLi1EXadL_ZL19vec_dot_iq2_xs_q8_1PKvPK10block_q8_1RKiEEEvS4_S4_PT_iii,comdat
	.globl	_ZL13mul_mat_vec_qIN3c104HalfELi256ELi8E12block_iq2_xsLi1EXadL_ZL19vec_dot_iq2_xs_q8_1PKvPK10block_q8_1RKiEEEvS4_S4_PT_iii ; -- Begin function _ZL13mul_mat_vec_qIN3c104HalfELi256ELi8E12block_iq2_xsLi1EXadL_ZL19vec_dot_iq2_xs_q8_1PKvPK10block_q8_1RKiEEEvS4_S4_PT_iii
	.p2align	8
	.type	_ZL13mul_mat_vec_qIN3c104HalfELi256ELi8E12block_iq2_xsLi1EXadL_ZL19vec_dot_iq2_xs_q8_1PKvPK10block_q8_1RKiEEEvS4_S4_PT_iii,@function
_ZL13mul_mat_vec_qIN3c104HalfELi256ELi8E12block_iq2_xsLi1EXadL_ZL19vec_dot_iq2_xs_q8_1PKvPK10block_q8_1RKiEEEvS4_S4_PT_iii: ; @_ZL13mul_mat_vec_qIN3c104HalfELi256ELi8E12block_iq2_xsLi1EXadL_ZL19vec_dot_iq2_xs_q8_1PKvPK10block_q8_1RKiEEEvS4_S4_PT_iii
; %bb.0:
	s_load_dword s8, s[0:1], 0x34
	s_load_dwordx4 s[4:7], s[0:1], 0x18
	v_bfe_u32 v1, v0, 10, 10
	s_waitcnt lgkmcnt(0)
	s_lshr_b32 s7, s8, 16
	s_mul_i32 s2, s2, s7
	v_add_u32_e32 v14, s2, v1
	s_cmp_lt_u32 s3, s6
	v_cmp_gt_u32_e32 vcc, s5, v14
	s_cselect_b64 s[6:7], -1, 0
	s_and_b64 s[6:7], s[6:7], vcc
	s_and_saveexec_b64 s[8:9], s[6:7]
	s_cbranch_execz .LBB89_7
; %bb.1:
	s_load_dwordx2 s[6:7], s[0:1], 0x10
	s_ashr_i32 s2, s4, 31
	s_lshr_b32 s2, s2, 24
	s_add_i32 s2, s4, s2
	s_ashr_i32 s2, s2, 8
	v_bfe_u32 v16, v0, 3, 7
	v_and_b32_e32 v15, 0x3ff, v0
	v_cmp_gt_u32_e32 vcc, s2, v16
	v_mov_b32_e32 v17, 0
	s_and_saveexec_b64 s[8:9], vcc
	s_cbranch_execz .LBB89_5
; %bb.2:
	s_load_dwordx4 s[12:15], s[0:1], 0x0
	s_add_i32 s0, s4, 0x1ff
	s_ashr_i32 s1, s0, 31
	s_lshr_b32 s1, s1, 23
	s_add_i32 s0, s0, s1
	s_ashr_i32 s0, s0, 9
	v_and_b32_e32 v0, 7, v15
	s_mul_i32 s4, s3, s0
	v_lshlrev_b32_e32 v6, 2, v0
	v_mov_b32_e32 v1, 0
	s_waitcnt lgkmcnt(0)
	v_mad_u64_u32 v[2:3], s[0:1], v0, 36, s[14:15]
	v_lshlrev_b32_e32 v4, 3, v16
	v_mul_lo_u32 v18, v14, s2
	v_lshl_add_u32 v19, s4, 4, v4
	s_mov_b64 s[0:1], 0
	s_movk_i32 s4, 0x4a
	v_mov_b64_e32 v[4:5], s[12:13]
	v_lshlrev_b32_e32 v6, 1, v6
	v_mov_b32_e32 v7, v1
	v_mov_b32_e32 v17, v1
.LBB89_3:                               ; =>This Inner Loop Header: Depth=1
	v_add_u32_e32 v8, v18, v16
	v_mad_i64_i32 v[10:11], s[10:11], v8, s4, v[4:5]
	v_lshl_add_u64 v[24:25], v[10:11], 0, v[0:1]
	v_lshl_add_u64 v[22:23], v[10:11], 0, v[6:7]
	global_load_ubyte v20, v[24:25], off offset:66
	global_load_dwordx2 v[12:13], v[22:23], off offset:2
	v_mad_i64_i32 v[8:9], s[10:11], v19, 36, v[2:3]
	s_getpc_b64 s[10:11]
	s_add_u32 s10, s10, _ZL10iq2xs_grid@rel32@lo+4
	s_addc_u32 s11, s11, _ZL10iq2xs_grid@rel32@hi+12
	s_getpc_b64 s[12:13]
	s_add_u32 s12, s12, _ZL12ksigns_iq2xs@rel32@lo+4
	s_addc_u32 s13, s13, _ZL12ksigns_iq2xs@rel32@hi+12
	v_add_u32_e32 v16, 8, v16
	v_add_u32_e32 v19, 64, v19
	s_waitcnt vmcnt(0)
	v_and_b32_e32 v21, 0x1ff, v12
	v_bfe_u32 v28, v12, 9, 7
	v_lshlrev_b32_e32 v21, 3, v21
	global_load_sbyte v29, v28, s[12:13]
	global_load_dwordx4 v[22:25], v[8:9], off offset:4
	global_load_dwordx2 v[26:27], v21, s[10:11]
	v_bfe_u32 v36, v13, 9, 7
	s_waitcnt vmcnt(2)
	v_and_b32_e32 v28, 1, v29
	v_cmp_eq_u16_e32 vcc, 0, v28
	s_waitcnt vmcnt(0)
	v_mul_i32_i24_sdwa v21, v26, sext(v22) dst_sel:DWORD dst_unused:UNUSED_PAD src0_sel:BYTE_0 src1_sel:BYTE_0
	v_sub_u32_e32 v28, 0, v21
	v_cndmask_b32_e32 v21, v28, v21, vcc
	v_mul_i32_i24_sdwa v28, v26, sext(v22) dst_sel:DWORD dst_unused:UNUSED_PAD src0_sel:BYTE_1 src1_sel:BYTE_1
	v_and_b32_e32 v30, 2, v29
	v_cmp_eq_u16_e32 vcc, 0, v30
	v_sub_u32_e32 v30, 0, v28
	s_nop 0
	v_cndmask_b32_e32 v28, v30, v28, vcc
	v_add_u32_e32 v21, v28, v21
	v_mul_i32_i24_sdwa v28, v26, sext(v22) dst_sel:DWORD dst_unused:UNUSED_PAD src0_sel:BYTE_2 src1_sel:BYTE_2
	v_and_b32_e32 v30, 4, v29
	v_cmp_eq_u16_e32 vcc, 0, v30
	v_sub_u32_e32 v30, 0, v28
	v_mul_i32_i24_sdwa v22, v26, sext(v22) dst_sel:DWORD dst_unused:UNUSED_PAD src0_sel:BYTE_3 src1_sel:BYTE_3
	v_and_b32_e32 v26, 8, v29
	v_cndmask_b32_e32 v28, v30, v28, vcc
	v_cmp_eq_u16_e32 vcc, 0, v26
	v_sub_u32_e32 v26, 0, v22
	s_nop 0
	v_cndmask_b32_e32 v22, v26, v22, vcc
	v_add3_u32 v21, v21, v28, v22
	v_mul_i32_i24_sdwa v22, v27, sext(v23) dst_sel:DWORD dst_unused:UNUSED_PAD src0_sel:BYTE_0 src1_sel:BYTE_0
	v_and_b32_e32 v26, 16, v29
	v_cmp_eq_u16_e32 vcc, 0, v26
	v_sub_u32_e32 v26, 0, v22
	v_and_b32_e32 v28, 32, v29
	v_cndmask_b32_e32 v22, v26, v22, vcc
	v_mul_i32_i24_sdwa v26, v27, sext(v23) dst_sel:DWORD dst_unused:UNUSED_PAD src0_sel:BYTE_1 src1_sel:BYTE_1
	v_cmp_eq_u16_e32 vcc, 0, v28
	v_sub_u32_e32 v28, 0, v26
	s_nop 0
	v_cndmask_b32_e32 v26, v28, v26, vcc
	v_add3_u32 v21, v21, v22, v26
	v_mul_i32_i24_sdwa v22, v27, sext(v23) dst_sel:DWORD dst_unused:UNUSED_PAD src0_sel:BYTE_2 src1_sel:BYTE_2
	v_sub_u32_e32 v26, 0, v22
	v_cmp_gt_i16_e32 vcc, 0, v12
	v_mul_i32_i24_sdwa v23, v27, sext(v23) dst_sel:DWORD dst_unused:UNUSED_PAD src0_sel:BYTE_3 src1_sel:BYTE_3
	v_lshrrev_b32_e32 v27, 25, v12
	v_cndmask_b32_e32 v22, v22, v26, vcc
	v_sub_u32_e32 v26, 0, v23
	v_cmp_gt_i16_e32 vcc, 0, v29
	s_nop 1
	v_cndmask_b32_e32 v23, v23, v26, vcc
	v_add3_u32 v21, v21, v22, v23
	v_lshrrev_b32_e32 v22, 13, v12
	v_and_b32_e32 v26, 0xff8, v22
	global_load_sbyte v28, v27, s[12:13]
	global_load_dwordx2 v[22:23], v26, s[10:11]
	s_waitcnt vmcnt(1)
	v_and_b32_e32 v27, 1, v28
	s_waitcnt vmcnt(0)
	v_mul_i32_i24_sdwa v26, v22, sext(v24) dst_sel:DWORD dst_unused:UNUSED_PAD src0_sel:BYTE_0 src1_sel:BYTE_0
	v_cmp_eq_u16_e32 vcc, 0, v27
	v_sub_u32_e32 v27, 0, v26
	s_nop 0
	v_cndmask_b32_e32 v29, v27, v26, vcc
	v_mul_i32_i24_sdwa v26, v22, sext(v24) dst_sel:DWORD dst_unused:UNUSED_PAD src0_sel:BYTE_1 src1_sel:BYTE_1
	v_and_b32_e32 v27, 2, v28
	v_cmp_eq_u16_e32 vcc, 0, v27
	v_sub_u32_e32 v27, 0, v26
	s_nop 0
	v_cndmask_b32_e32 v30, v27, v26, vcc
	v_mul_i32_i24_sdwa v26, v22, sext(v24) dst_sel:DWORD dst_unused:UNUSED_PAD src0_sel:BYTE_2 src1_sel:BYTE_2
	v_and_b32_e32 v27, 4, v28
	v_cmp_eq_u16_e32 vcc, 0, v27
	v_sub_u32_e32 v27, 0, v26
	v_mul_i32_i24_sdwa v22, v22, sext(v24) dst_sel:DWORD dst_unused:UNUSED_PAD src0_sel:BYTE_3 src1_sel:BYTE_3
	v_and_b32_e32 v24, 8, v28
	v_cndmask_b32_e32 v31, v27, v26, vcc
	v_cmp_eq_u16_e32 vcc, 0, v24
	v_sub_u32_e32 v24, 0, v22
	v_add3_u32 v21, v21, v29, v30
	v_cndmask_b32_e32 v32, v24, v22, vcc
	v_mul_i32_i24_sdwa v22, v23, sext(v25) dst_sel:DWORD dst_unused:UNUSED_PAD src0_sel:BYTE_0 src1_sel:BYTE_0
	v_and_b32_e32 v24, 16, v28
	v_cmp_eq_u16_e32 vcc, 0, v24
	v_sub_u32_e32 v24, 0, v22
	v_add3_u32 v21, v21, v31, v32
	v_cndmask_b32_e32 v33, v24, v22, vcc
	v_mul_i32_i24_sdwa v22, v23, sext(v25) dst_sel:DWORD dst_unused:UNUSED_PAD src0_sel:BYTE_1 src1_sel:BYTE_1
	v_and_b32_e32 v24, 32, v28
	v_cmp_eq_u16_e32 vcc, 0, v24
	v_sub_u32_e32 v24, 0, v22
	s_nop 0
	v_cndmask_b32_e32 v34, v24, v22, vcc
	v_mul_i32_i24_sdwa v22, v23, sext(v25) dst_sel:DWORD dst_unused:UNUSED_PAD src0_sel:BYTE_2 src1_sel:BYTE_2
	v_sub_u32_e32 v24, 0, v22
	v_cmp_lt_i16_sdwa vcc, v12, v1 src0_sel:WORD_1 src1_sel:DWORD
	v_add3_u32 v21, v21, v33, v34
	s_nop 0
	v_cndmask_b32_e32 v12, v22, v24, vcc
	v_mul_i32_i24_sdwa v22, v23, sext(v25) dst_sel:DWORD dst_unused:UNUSED_PAD src0_sel:BYTE_3 src1_sel:BYTE_3
	v_sub_u32_e32 v23, 0, v22
	v_cmp_gt_i16_e32 vcc, 0, v28
	s_nop 1
	v_cndmask_b32_e32 v28, v22, v23, vcc
	v_and_b32_e32 v22, 0x1ff, v13
	v_lshlrev_b32_e32 v35, 3, v22
	global_load_sbyte v37, v36, s[12:13]
	global_load_dwordx4 v[22:25], v[8:9], off offset:20
	global_load_dwordx2 v[26:27], v35, s[10:11]
	v_add3_u32 v12, v21, v12, v28
	v_lshrrev_b16_e32 v21, 4, v20
	v_and_b32_e32 v20, 15, v20
	s_waitcnt vmcnt(2)
	v_and_b32_e32 v36, 1, v37
	v_cmp_eq_u16_e32 vcc, 0, v36
	s_waitcnt vmcnt(0)
	v_mul_i32_i24_sdwa v35, v26, sext(v22) dst_sel:DWORD dst_unused:UNUSED_PAD src0_sel:BYTE_0 src1_sel:BYTE_0
	v_sub_u32_e32 v36, 0, v35
	v_cndmask_b32_e32 v35, v36, v35, vcc
	v_mul_i32_i24_sdwa v36, v26, sext(v22) dst_sel:DWORD dst_unused:UNUSED_PAD src0_sel:BYTE_1 src1_sel:BYTE_1
	v_and_b32_e32 v38, 2, v37
	v_cmp_eq_u16_e32 vcc, 0, v38
	v_sub_u32_e32 v38, 0, v36
	s_nop 0
	v_cndmask_b32_e32 v36, v38, v36, vcc
	v_add_u32_e32 v35, v36, v35
	v_mul_i32_i24_sdwa v36, v26, sext(v22) dst_sel:DWORD dst_unused:UNUSED_PAD src0_sel:BYTE_2 src1_sel:BYTE_2
	v_and_b32_e32 v38, 4, v37
	v_cmp_eq_u16_e32 vcc, 0, v38
	v_sub_u32_e32 v38, 0, v36
	v_mul_i32_i24_sdwa v22, v26, sext(v22) dst_sel:DWORD dst_unused:UNUSED_PAD src0_sel:BYTE_3 src1_sel:BYTE_3
	v_and_b32_e32 v26, 8, v37
	v_cndmask_b32_e32 v36, v38, v36, vcc
	v_cmp_eq_u16_e32 vcc, 0, v26
	v_sub_u32_e32 v26, 0, v22
	s_nop 0
	v_cndmask_b32_e32 v22, v26, v22, vcc
	v_add3_u32 v22, v35, v36, v22
	v_mul_i32_i24_sdwa v26, v27, sext(v23) dst_sel:DWORD dst_unused:UNUSED_PAD src0_sel:BYTE_0 src1_sel:BYTE_0
	v_and_b32_e32 v35, 16, v37
	v_cmp_eq_u16_e32 vcc, 0, v35
	v_sub_u32_e32 v35, 0, v26
	v_and_b32_e32 v36, 32, v37
	v_cndmask_b32_e32 v26, v35, v26, vcc
	v_mul_i32_i24_sdwa v35, v27, sext(v23) dst_sel:DWORD dst_unused:UNUSED_PAD src0_sel:BYTE_1 src1_sel:BYTE_1
	v_cmp_eq_u16_e32 vcc, 0, v36
	v_sub_u32_e32 v36, 0, v35
	s_nop 0
	v_cndmask_b32_e32 v35, v36, v35, vcc
	v_add3_u32 v22, v22, v26, v35
	v_mul_i32_i24_sdwa v26, v27, sext(v23) dst_sel:DWORD dst_unused:UNUSED_PAD src0_sel:BYTE_2 src1_sel:BYTE_2
	v_sub_u32_e32 v35, 0, v26
	v_cmp_gt_i16_e32 vcc, 0, v13
	v_mul_i32_i24_sdwa v23, v27, sext(v23) dst_sel:DWORD dst_unused:UNUSED_PAD src0_sel:BYTE_3 src1_sel:BYTE_3
	v_sub_u32_e32 v27, 0, v23
	v_cndmask_b32_e32 v26, v26, v35, vcc
	v_cmp_gt_i16_e32 vcc, 0, v37
	v_lshrrev_b32_e32 v35, 25, v13
	s_nop 0
	v_cndmask_b32_e32 v23, v23, v27, vcc
	v_add3_u32 v26, v22, v26, v23
	v_lshrrev_b32_e32 v22, 13, v13
	v_and_b32_e32 v27, 0xff8, v22
	global_load_sbyte v36, v35, s[12:13]
	global_load_dwordx2 v[22:23], v27, s[10:11]
	s_waitcnt vmcnt(1)
	v_and_b32_e32 v35, 1, v36
	global_load_ushort v10, v[10:11], off
	s_waitcnt vmcnt(1)
	v_mul_i32_i24_sdwa v27, v22, sext(v24) dst_sel:DWORD dst_unused:UNUSED_PAD src0_sel:BYTE_0 src1_sel:BYTE_0
	global_load_ushort v8, v[8:9], off
	v_cmp_eq_u16_e32 vcc, 0, v35
	v_sub_u32_e32 v35, 0, v27
	v_and_b32_e32 v37, 2, v36
	v_cndmask_b32_e32 v27, v35, v27, vcc
	v_mul_i32_i24_sdwa v35, v22, sext(v24) dst_sel:DWORD dst_unused:UNUSED_PAD src0_sel:BYTE_1 src1_sel:BYTE_1
	v_cmp_eq_u16_e32 vcc, 0, v37
	v_sub_u32_e32 v37, 0, v35
	v_cvt_f32_ubyte0_e32 v11, v21
	v_cndmask_b32_e32 v35, v37, v35, vcc
	v_add3_u32 v26, v26, v27, v35
	v_mul_i32_i24_sdwa v27, v22, sext(v24) dst_sel:DWORD dst_unused:UNUSED_PAD src0_sel:BYTE_2 src1_sel:BYTE_2
	v_and_b32_e32 v35, 4, v36
	v_cmp_eq_u16_e32 vcc, 0, v35
	v_sub_u32_e32 v35, 0, v27
	v_mul_i32_i24_sdwa v22, v22, sext(v24) dst_sel:DWORD dst_unused:UNUSED_PAD src0_sel:BYTE_3 src1_sel:BYTE_3
	v_and_b32_e32 v24, 8, v36
	v_cndmask_b32_e32 v27, v35, v27, vcc
	v_cmp_eq_u16_e32 vcc, 0, v24
	v_sub_u32_e32 v24, 0, v22
	v_cvt_f32_ubyte0_e32 v9, v20
	v_cndmask_b32_e32 v22, v24, v22, vcc
	v_add3_u32 v22, v26, v27, v22
	v_mul_i32_i24_sdwa v24, v23, sext(v25) dst_sel:DWORD dst_unused:UNUSED_PAD src0_sel:BYTE_0 src1_sel:BYTE_0
	v_and_b32_e32 v26, 16, v36
	v_cmp_eq_u16_e32 vcc, 0, v26
	v_sub_u32_e32 v26, 0, v24
	v_and_b32_e32 v27, 32, v36
	v_cndmask_b32_e32 v24, v26, v24, vcc
	v_mul_i32_i24_sdwa v26, v23, sext(v25) dst_sel:DWORD dst_unused:UNUSED_PAD src0_sel:BYTE_1 src1_sel:BYTE_1
	v_cmp_eq_u16_e32 vcc, 0, v27
	v_sub_u32_e32 v27, 0, v26
	v_add_f32_e32 v11, 0.5, v11
	v_cndmask_b32_e32 v26, v27, v26, vcc
	v_add3_u32 v22, v22, v24, v26
	v_mul_i32_i24_sdwa v24, v23, sext(v25) dst_sel:DWORD dst_unused:UNUSED_PAD src0_sel:BYTE_2 src1_sel:BYTE_2
	v_sub_u32_e32 v26, 0, v24
	v_cmp_lt_i16_sdwa vcc, v13, v1 src0_sel:WORD_1 src1_sel:DWORD
	v_mul_i32_i24_sdwa v23, v23, sext(v25) dst_sel:DWORD dst_unused:UNUSED_PAD src0_sel:BYTE_3 src1_sel:BYTE_3
	v_add_f32_e32 v9, 0.5, v9
	v_cndmask_b32_e32 v13, v24, v26, vcc
	v_sub_u32_e32 v24, 0, v23
	v_cmp_gt_i16_e32 vcc, 0, v36
	s_waitcnt vmcnt(1)
	v_cvt_f32_f16_e32 v10, v10
	v_cndmask_b32_e32 v23, v23, v24, vcc
	s_waitcnt vmcnt(0)
	v_cvt_f32_f16_e32 v8, v8
	v_add3_u32 v13, v22, v13, v23
	v_cmp_le_u32_e32 vcc, s2, v16
	s_or_b64 s[0:1], vcc, s[0:1]
	v_mul_f32_e32 v8, v10, v8
	v_cvt_f32_i32_e32 v10, v12
	v_cvt_f32_i32_e32 v12, v13
	v_mul_f32_e32 v8, 0x3e800000, v8
	v_mul_f32_e32 v11, v11, v12
	v_fmac_f32_e32 v11, v9, v10
	v_fmac_f32_e32 v17, v8, v11
	s_andn2_b64 exec, exec, s[0:1]
	s_cbranch_execnz .LBB89_3
; %bb.4:
	s_or_b64 exec, exec, s[0:1]
.LBB89_5:
	s_or_b64 exec, exec, s[8:9]
	v_mbcnt_lo_u32_b32 v0, -1, 0
	v_mbcnt_hi_u32_b32 v1, -1, v0
	v_and_b32_e32 v0, 64, v1
	v_add_u32_e32 v2, 64, v0
	v_xor_b32_e32 v0, 32, v1
	v_cmp_lt_i32_e32 vcc, v0, v2
	v_xor_b32_e32 v3, 16, v1
	v_xor_b32_e32 v4, 8, v1
	v_cndmask_b32_e32 v0, v1, v0, vcc
	v_lshlrev_b32_e32 v0, 2, v0
	ds_bpermute_b32 v0, v0, v17
	v_cmp_lt_i32_e32 vcc, v3, v2
	s_waitcnt lgkmcnt(0)
	v_add_f32_e32 v0, v17, v0
	v_cndmask_b32_e32 v3, v1, v3, vcc
	v_lshlrev_b32_e32 v3, 2, v3
	ds_bpermute_b32 v3, v3, v0
	v_cmp_lt_i32_e32 vcc, v4, v2
	s_waitcnt lgkmcnt(0)
	v_add_f32_e32 v0, v0, v3
	v_cndmask_b32_e32 v3, v1, v4, vcc
	v_lshlrev_b32_e32 v3, 2, v3
	ds_bpermute_b32 v3, v3, v0
	v_xor_b32_e32 v4, 4, v1
	v_cmp_lt_i32_e32 vcc, v4, v2
	s_waitcnt lgkmcnt(0)
	v_add_f32_e32 v0, v0, v3
	v_cndmask_b32_e32 v3, v1, v4, vcc
	v_lshlrev_b32_e32 v3, 2, v3
	ds_bpermute_b32 v3, v3, v0
	v_xor_b32_e32 v4, 2, v1
	;; [unrolled: 7-line block ×3, first 2 shown]
	v_cmp_lt_i32_e32 vcc, v4, v2
	s_waitcnt lgkmcnt(0)
	v_add_f32_e32 v0, v0, v3
	v_cndmask_b32_e32 v1, v1, v4, vcc
	v_lshlrev_b32_e32 v1, 2, v1
	ds_bpermute_b32 v1, v1, v0
	v_cmp_eq_u32_e32 vcc, 0, v15
	s_and_b64 exec, exec, vcc
	s_cbranch_execz .LBB89_7
; %bb.6:
	s_waitcnt lgkmcnt(0)
	v_add_f32_e32 v0, v0, v1
	v_cvt_f16_f32_e32 v2, v0
	s_mul_i32 s0, s5, s3
	v_add_u32_e32 v0, s0, v14
	v_mov_b32_e32 v1, 0
	v_lshl_add_u64 v[0:1], v[0:1], 1, s[6:7]
	global_store_short v[0:1], v2, off
.LBB89_7:
	s_endpgm
	.section	.rodata,"a",@progbits
	.p2align	6, 0x0
	.amdhsa_kernel _ZL13mul_mat_vec_qIN3c104HalfELi256ELi8E12block_iq2_xsLi1EXadL_ZL19vec_dot_iq2_xs_q8_1PKvPK10block_q8_1RKiEEEvS4_S4_PT_iii
		.amdhsa_group_segment_fixed_size 0
		.amdhsa_private_segment_fixed_size 0
		.amdhsa_kernarg_size 296
		.amdhsa_user_sgpr_count 2
		.amdhsa_user_sgpr_dispatch_ptr 0
		.amdhsa_user_sgpr_queue_ptr 0
		.amdhsa_user_sgpr_kernarg_segment_ptr 1
		.amdhsa_user_sgpr_dispatch_id 0
		.amdhsa_user_sgpr_kernarg_preload_length 0
		.amdhsa_user_sgpr_kernarg_preload_offset 0
		.amdhsa_user_sgpr_private_segment_size 0
		.amdhsa_uses_dynamic_stack 0
		.amdhsa_enable_private_segment 0
		.amdhsa_system_sgpr_workgroup_id_x 1
		.amdhsa_system_sgpr_workgroup_id_y 1
		.amdhsa_system_sgpr_workgroup_id_z 0
		.amdhsa_system_sgpr_workgroup_info 0
		.amdhsa_system_vgpr_workitem_id 1
		.amdhsa_next_free_vgpr 39
		.amdhsa_next_free_sgpr 16
		.amdhsa_accum_offset 40
		.amdhsa_reserve_vcc 1
		.amdhsa_float_round_mode_32 0
		.amdhsa_float_round_mode_16_64 0
		.amdhsa_float_denorm_mode_32 3
		.amdhsa_float_denorm_mode_16_64 3
		.amdhsa_dx10_clamp 1
		.amdhsa_ieee_mode 1
		.amdhsa_fp16_overflow 0
		.amdhsa_tg_split 0
		.amdhsa_exception_fp_ieee_invalid_op 0
		.amdhsa_exception_fp_denorm_src 0
		.amdhsa_exception_fp_ieee_div_zero 0
		.amdhsa_exception_fp_ieee_overflow 0
		.amdhsa_exception_fp_ieee_underflow 0
		.amdhsa_exception_fp_ieee_inexact 0
		.amdhsa_exception_int_div_zero 0
	.end_amdhsa_kernel
	.section	.text._ZL13mul_mat_vec_qIN3c104HalfELi256ELi8E12block_iq2_xsLi1EXadL_ZL19vec_dot_iq2_xs_q8_1PKvPK10block_q8_1RKiEEEvS4_S4_PT_iii,"axG",@progbits,_ZL13mul_mat_vec_qIN3c104HalfELi256ELi8E12block_iq2_xsLi1EXadL_ZL19vec_dot_iq2_xs_q8_1PKvPK10block_q8_1RKiEEEvS4_S4_PT_iii,comdat
.Lfunc_end89:
	.size	_ZL13mul_mat_vec_qIN3c104HalfELi256ELi8E12block_iq2_xsLi1EXadL_ZL19vec_dot_iq2_xs_q8_1PKvPK10block_q8_1RKiEEEvS4_S4_PT_iii, .Lfunc_end89-_ZL13mul_mat_vec_qIN3c104HalfELi256ELi8E12block_iq2_xsLi1EXadL_ZL19vec_dot_iq2_xs_q8_1PKvPK10block_q8_1RKiEEEvS4_S4_PT_iii
                                        ; -- End function
	.set _ZL13mul_mat_vec_qIN3c104HalfELi256ELi8E12block_iq2_xsLi1EXadL_ZL19vec_dot_iq2_xs_q8_1PKvPK10block_q8_1RKiEEEvS4_S4_PT_iii.num_vgpr, 39
	.set _ZL13mul_mat_vec_qIN3c104HalfELi256ELi8E12block_iq2_xsLi1EXadL_ZL19vec_dot_iq2_xs_q8_1PKvPK10block_q8_1RKiEEEvS4_S4_PT_iii.num_agpr, 0
	.set _ZL13mul_mat_vec_qIN3c104HalfELi256ELi8E12block_iq2_xsLi1EXadL_ZL19vec_dot_iq2_xs_q8_1PKvPK10block_q8_1RKiEEEvS4_S4_PT_iii.numbered_sgpr, 16
	.set _ZL13mul_mat_vec_qIN3c104HalfELi256ELi8E12block_iq2_xsLi1EXadL_ZL19vec_dot_iq2_xs_q8_1PKvPK10block_q8_1RKiEEEvS4_S4_PT_iii.num_named_barrier, 0
	.set _ZL13mul_mat_vec_qIN3c104HalfELi256ELi8E12block_iq2_xsLi1EXadL_ZL19vec_dot_iq2_xs_q8_1PKvPK10block_q8_1RKiEEEvS4_S4_PT_iii.private_seg_size, 0
	.set _ZL13mul_mat_vec_qIN3c104HalfELi256ELi8E12block_iq2_xsLi1EXadL_ZL19vec_dot_iq2_xs_q8_1PKvPK10block_q8_1RKiEEEvS4_S4_PT_iii.uses_vcc, 1
	.set _ZL13mul_mat_vec_qIN3c104HalfELi256ELi8E12block_iq2_xsLi1EXadL_ZL19vec_dot_iq2_xs_q8_1PKvPK10block_q8_1RKiEEEvS4_S4_PT_iii.uses_flat_scratch, 0
	.set _ZL13mul_mat_vec_qIN3c104HalfELi256ELi8E12block_iq2_xsLi1EXadL_ZL19vec_dot_iq2_xs_q8_1PKvPK10block_q8_1RKiEEEvS4_S4_PT_iii.has_dyn_sized_stack, 0
	.set _ZL13mul_mat_vec_qIN3c104HalfELi256ELi8E12block_iq2_xsLi1EXadL_ZL19vec_dot_iq2_xs_q8_1PKvPK10block_q8_1RKiEEEvS4_S4_PT_iii.has_recursion, 0
	.set _ZL13mul_mat_vec_qIN3c104HalfELi256ELi8E12block_iq2_xsLi1EXadL_ZL19vec_dot_iq2_xs_q8_1PKvPK10block_q8_1RKiEEEvS4_S4_PT_iii.has_indirect_call, 0
	.section	.AMDGPU.csdata,"",@progbits
; Kernel info:
; codeLenInByte = 1804
; TotalNumSgprs: 22
; NumVgprs: 39
; NumAgprs: 0
; TotalNumVgprs: 39
; ScratchSize: 0
; MemoryBound: 0
; FloatMode: 240
; IeeeMode: 1
; LDSByteSize: 0 bytes/workgroup (compile time only)
; SGPRBlocks: 2
; VGPRBlocks: 4
; NumSGPRsForWavesPerEU: 22
; NumVGPRsForWavesPerEU: 39
; AccumOffset: 40
; Occupancy: 8
; WaveLimiterHint : 0
; COMPUTE_PGM_RSRC2:SCRATCH_EN: 0
; COMPUTE_PGM_RSRC2:USER_SGPR: 2
; COMPUTE_PGM_RSRC2:TRAP_HANDLER: 0
; COMPUTE_PGM_RSRC2:TGID_X_EN: 1
; COMPUTE_PGM_RSRC2:TGID_Y_EN: 1
; COMPUTE_PGM_RSRC2:TGID_Z_EN: 0
; COMPUTE_PGM_RSRC2:TIDIG_COMP_CNT: 1
; COMPUTE_PGM_RSRC3_GFX90A:ACCUM_OFFSET: 9
; COMPUTE_PGM_RSRC3_GFX90A:TG_SPLIT: 0
	.section	.text._ZL13mul_mat_vec_qIN3c104HalfELi256ELi8E13block_iq3_xxsLi1EXadL_ZL20vec_dot_iq3_xxs_q8_1PKvPK10block_q8_1RKiEEEvS4_S4_PT_iii,"axG",@progbits,_ZL13mul_mat_vec_qIN3c104HalfELi256ELi8E13block_iq3_xxsLi1EXadL_ZL20vec_dot_iq3_xxs_q8_1PKvPK10block_q8_1RKiEEEvS4_S4_PT_iii,comdat
	.globl	_ZL13mul_mat_vec_qIN3c104HalfELi256ELi8E13block_iq3_xxsLi1EXadL_ZL20vec_dot_iq3_xxs_q8_1PKvPK10block_q8_1RKiEEEvS4_S4_PT_iii ; -- Begin function _ZL13mul_mat_vec_qIN3c104HalfELi256ELi8E13block_iq3_xxsLi1EXadL_ZL20vec_dot_iq3_xxs_q8_1PKvPK10block_q8_1RKiEEEvS4_S4_PT_iii
	.p2align	8
	.type	_ZL13mul_mat_vec_qIN3c104HalfELi256ELi8E13block_iq3_xxsLi1EXadL_ZL20vec_dot_iq3_xxs_q8_1PKvPK10block_q8_1RKiEEEvS4_S4_PT_iii,@function
_ZL13mul_mat_vec_qIN3c104HalfELi256ELi8E13block_iq3_xxsLi1EXadL_ZL20vec_dot_iq3_xxs_q8_1PKvPK10block_q8_1RKiEEEvS4_S4_PT_iii: ; @_ZL13mul_mat_vec_qIN3c104HalfELi256ELi8E13block_iq3_xxsLi1EXadL_ZL20vec_dot_iq3_xxs_q8_1PKvPK10block_q8_1RKiEEEvS4_S4_PT_iii
; %bb.0:
	s_load_dword s8, s[0:1], 0x34
	s_load_dwordx4 s[4:7], s[0:1], 0x18
	v_bfe_u32 v1, v0, 10, 10
	s_waitcnt lgkmcnt(0)
	s_lshr_b32 s7, s8, 16
	s_mul_i32 s2, s2, s7
	v_add_u32_e32 v18, s2, v1
	s_cmp_lt_u32 s3, s6
	v_cmp_gt_u32_e32 vcc, s5, v18
	s_cselect_b64 s[6:7], -1, 0
	s_and_b64 s[6:7], s[6:7], vcc
	s_and_saveexec_b64 s[8:9], s[6:7]
	s_cbranch_execz .LBB90_7
; %bb.1:
	s_load_dwordx2 s[6:7], s[0:1], 0x10
	s_ashr_i32 s2, s4, 31
	s_lshr_b32 s2, s2, 24
	s_add_i32 s2, s4, s2
	s_ashr_i32 s2, s2, 8
	v_bfe_u32 v20, v0, 3, 7
	v_and_b32_e32 v19, 0x3ff, v0
	v_cmp_gt_u32_e32 vcc, s2, v20
	v_mov_b32_e32 v21, 0
	s_and_saveexec_b64 s[8:9], vcc
	s_cbranch_execz .LBB90_5
; %bb.2:
	s_load_dwordx4 s[12:15], s[0:1], 0x0
	s_add_i32 s0, s4, 0x1ff
	s_ashr_i32 s1, s0, 31
	s_lshr_b32 s1, s1, 23
	s_add_i32 s0, s0, s1
	s_ashr_i32 s0, s0, 9
	v_and_b32_e32 v1, 7, v19
	s_mul_i32 s4, s3, s0
	v_lshlrev_b32_e32 v8, 3, v1
	v_mov_b32_e32 v9, 0
	v_lshlrev_b32_e32 v0, 1, v1
	s_waitcnt lgkmcnt(0)
	v_mad_u64_u32 v[10:11], s[0:1], v1, 36, s[14:15]
	v_lshlrev_b32_e32 v1, 3, v20
	v_mul_lo_u32 v22, v18, s2
	v_lshl_add_u32 v23, s4, 4, v1
	s_mov_b64 s[0:1], 0
	s_movk_i32 s4, 0x62
	v_mov_b64_e32 v[12:13], s[12:13]
	v_lshlrev_b32_e32 v14, 1, v0
	v_mov_b32_e32 v15, v9
	s_mov_b32 s14, 0xc060c00
	v_mov_b32_e32 v24, 2
	v_mov_b32_e32 v21, v9
	s_getpc_b64 s[12:13]
	s_add_u32 s12, s12, _ZL11iq3xxs_grid@rel32@lo+4
	s_addc_u32 s13, s13, _ZL11iq3xxs_grid@rel32@hi+12
.LBB90_3:                               ; =>This Inner Loop Header: Depth=1
	v_add_u32_e32 v0, v22, v20
	v_mad_i64_i32 v[16:17], s[10:11], v23, 36, v[10:11]
	v_mad_i64_i32 v[26:27], s[16:17], v0, s4, v[12:13]
	global_load_dword v32, v[16:17], off offset:32
	global_load_dwordx4 v[4:7], v[16:17], off
	global_load_dwordx4 v[0:3], v[16:17], off offset:16
	v_lshl_add_u64 v[16:17], v[26:27], 0, v[8:9]
	v_lshl_add_u64 v[28:29], v[26:27], 0, v[14:15]
	global_load_dwordx2 v[30:31], v[16:17], off offset:2
	global_load_dword v33, v[28:29], off offset:66
	global_load_ushort v34, v[26:27], off
	s_getpc_b64 s[10:11]
	s_add_u32 s10, s10, _ZL8ksigns64@rel32@lo+4
	s_addc_u32 s11, s11, _ZL8ksigns64@rel32@hi+12
	v_mov_b32_e32 v25, 0
	v_add_u32_e32 v20, 8, v20
	v_cmp_le_u32_e32 vcc, s2, v20
	v_add_u32_e32 v23, 64, v23
	s_or_b64 s[0:1], vcc, s[0:1]
	s_waitcnt vmcnt(4)
	v_cvt_f32_f16_e32 v4, v4
	s_waitcnt vmcnt(2)
	v_lshlrev_b32_sdwa v16, v24, v30 dst_sel:DWORD dst_unused:UNUSED_PAD src0_sel:DWORD src1_sel:BYTE_0
	v_lshlrev_b32_sdwa v17, v24, v30 dst_sel:DWORD dst_unused:UNUSED_PAD src0_sel:DWORD src1_sel:BYTE_1
	s_waitcnt vmcnt(1)
	v_and_b32_e32 v26, 0x7f, v33
	global_load_dword v40, v16, s[12:13]
	global_load_dword v41, v17, s[12:13]
	v_lshlrev_b32_sdwa v27, v24, v30 dst_sel:DWORD dst_unused:UNUSED_PAD src0_sel:DWORD src1_sel:BYTE_2
	v_lshlrev_b32_sdwa v28, v24, v30 dst_sel:DWORD dst_unused:UNUSED_PAD src0_sel:DWORD src1_sel:BYTE_3
	v_lshrrev_b32_e32 v29, 4, v33
	v_lshlrev_b32_sdwa v30, v24, v31 dst_sel:DWORD dst_unused:UNUSED_PAD src0_sel:DWORD src1_sel:BYTE_0
	v_lshlrev_b32_sdwa v35, v24, v31 dst_sel:DWORD dst_unused:UNUSED_PAD src0_sel:DWORD src1_sel:BYTE_1
	v_lshrrev_b32_e32 v36, 11, v33
	v_lshlrev_b32_sdwa v37, v24, v31 dst_sel:DWORD dst_unused:UNUSED_PAD src0_sel:DWORD src1_sel:BYTE_2
	v_lshlrev_b32_sdwa v31, v24, v31 dst_sel:DWORD dst_unused:UNUSED_PAD src0_sel:DWORD src1_sel:BYTE_3
	v_lshrrev_b32_e32 v38, 18, v33
	v_lshlrev_b32_e32 v39, 3, v26
	v_and_b32_e32 v42, 0x3f8, v29
	global_load_dword v43, v27, s[12:13]
	global_load_dword v44, v28, s[12:13]
	v_and_b32_e32 v36, 0x3f8, v36
	global_load_dword v45, v30, s[12:13]
	global_load_dword v46, v35, s[12:13]
	;; [unrolled: 3-line block ×3, first 2 shown]
	global_load_dwordx2 v[16:17], v39, s[10:11]
	global_load_dwordx2 v[26:27], v42, s[10:11]
	;; [unrolled: 1-line block ×3, first 2 shown]
	s_nop 0
	global_load_dwordx2 v[30:31], v35, s[10:11]
	s_waitcnt vmcnt(12)
	v_cvt_f32_f16_e32 v34, v34
	v_lshrrev_b32_e32 v33, 28, v33
	v_cvt_f32_ubyte0_e32 v33, v33
	v_add_f32_e32 v33, 0.5, v33
	s_waitcnt vmcnt(3)
	v_xor_b32_e32 v35, v16, v40
	v_and_b32_e32 v36, 0xff000000, v16
	v_and_b32_e32 v37, 0xff0000, v16
	;; [unrolled: 1-line block ×3, first 2 shown]
	v_xor_b32_e32 v40, v17, v41
	v_and_b32_e32 v41, 0xff000000, v17
	v_and_b32_e32 v42, 0xff0000, v17
	;; [unrolled: 1-line block ×3, first 2 shown]
	v_sub_u32_e32 v36, v35, v36
	v_sub_u32_e32 v37, v35, v37
	;; [unrolled: 1-line block ×4, first 2 shown]
	s_waitcnt vmcnt(2)
	v_xor_b32_e32 v43, v26, v43
	v_and_b32_e32 v49, 0xff000000, v26
	v_and_b32_e32 v50, 0xff0000, v26
	;; [unrolled: 1-line block ×3, first 2 shown]
	v_sub_u32_e32 v17, v40, v17
	v_sub_u32_e32 v41, v40, v41
	;; [unrolled: 1-line block ×4, first 2 shown]
	v_and_b32_e32 v36, 0xff000000, v36
	v_and_b32_e32 v39, 0xff00, v39
	v_perm_b32 v16, v37, v16, s14
	v_xor_b32_e32 v44, v27, v44
	v_and_b32_e32 v52, 0xff000000, v27
	v_and_b32_e32 v53, 0xff0000, v27
	;; [unrolled: 1-line block ×3, first 2 shown]
	s_waitcnt vmcnt(1)
	v_xor_b32_e32 v45, v28, v45
	v_and_b32_e32 v55, 0xff000000, v28
	v_and_b32_e32 v56, 0xff0000, v28
	;; [unrolled: 1-line block ×3, first 2 shown]
	v_xor_b32_e32 v46, v29, v46
	v_and_b32_e32 v58, 0xff000000, v29
	v_and_b32_e32 v59, 0xff0000, v29
	;; [unrolled: 1-line block ×3, first 2 shown]
	v_sub_u32_e32 v49, v43, v49
	v_sub_u32_e32 v50, v43, v50
	;; [unrolled: 1-line block ×4, first 2 shown]
	v_and_b32_e32 v37, 0xff000000, v41
	v_and_b32_e32 v40, 0xff00, v40
	v_perm_b32 v17, v42, v17, s14
	v_or3_b32 v16, v16, v36, v39
	s_waitcnt vmcnt(0)
	v_xor_b32_e32 v38, v30, v38
	v_and_b32_e32 v35, 0xff000000, v30
	v_and_b32_e32 v48, 0xff0000, v30
	v_sub_u32_e32 v27, v44, v27
	v_and_b32_e32 v43, 0xff00, v30
	v_xor_b32_e32 v47, v31, v47
	v_sub_u32_e32 v52, v44, v52
	v_sub_u32_e32 v53, v44, v53
	;; [unrolled: 1-line block ×3, first 2 shown]
	v_and_b32_e32 v54, 0xff000000, v31
	v_sub_u32_e32 v55, v45, v55
	v_sub_u32_e32 v56, v45, v56
	;; [unrolled: 1-line block ×5, first 2 shown]
	v_and_b32_e32 v45, 0xff0000, v31
	v_sub_u32_e32 v58, v46, v58
	v_sub_u32_e32 v59, v46, v59
	;; [unrolled: 1-line block ×3, first 2 shown]
	v_and_b32_e32 v60, 0xff00, v31
	v_and_b32_e32 v41, 0xff000000, v49
	;; [unrolled: 1-line block ×3, first 2 shown]
	v_perm_b32 v26, v50, v26, s14
	v_or3_b32 v17, v17, v37, v40
	v_dot4c_i32_i8_e32 v25, v16, v5
	v_sub_u32_e32 v35, v38, v35
	v_sub_u32_e32 v48, v38, v48
	;; [unrolled: 1-line block ×8, first 2 shown]
	v_and_b32_e32 v47, 0xff000000, v52
	v_and_b32_e32 v44, 0xff00, v44
	v_perm_b32 v27, v53, v27, s14
	v_or3_b32 v26, v26, v41, v42
	v_dot4c_i32_i8_e32 v25, v17, v6
	v_and_b32_e32 v49, 0xff000000, v55
	v_and_b32_e32 v50, 0xff00, v57
	v_perm_b32 v28, v56, v28, s14
	v_or3_b32 v27, v27, v47, v44
	v_dot4c_i32_i8_e32 v25, v26, v7
	;; [unrolled: 5-line block ×5, first 2 shown]
	v_or3_b32 v31, v31, v38, v48
	v_dot4c_i32_i8_e32 v25, v30, v3
	v_dot4c_i32_i8_e32 v25, v31, v32
	v_mul_f32_e32 v1, v33, v34
	v_mul_f32_e32 v1, v1, v4
	v_mul_f32_e32 v1, 0.5, v1
	v_cvt_f32_i32_e32 v0, v25
	v_fmac_f32_e32 v21, v1, v0
	s_andn2_b64 exec, exec, s[0:1]
	s_cbranch_execnz .LBB90_3
; %bb.4:
	s_or_b64 exec, exec, s[0:1]
.LBB90_5:
	s_or_b64 exec, exec, s[8:9]
	v_mbcnt_lo_u32_b32 v0, -1, 0
	v_mbcnt_hi_u32_b32 v1, -1, v0
	v_and_b32_e32 v0, 64, v1
	v_add_u32_e32 v2, 64, v0
	v_xor_b32_e32 v0, 32, v1
	v_cmp_lt_i32_e32 vcc, v0, v2
	v_xor_b32_e32 v3, 16, v1
	v_xor_b32_e32 v4, 8, v1
	v_cndmask_b32_e32 v0, v1, v0, vcc
	v_lshlrev_b32_e32 v0, 2, v0
	ds_bpermute_b32 v0, v0, v21
	v_cmp_lt_i32_e32 vcc, v3, v2
	s_waitcnt lgkmcnt(0)
	v_add_f32_e32 v0, v21, v0
	v_cndmask_b32_e32 v3, v1, v3, vcc
	v_lshlrev_b32_e32 v3, 2, v3
	ds_bpermute_b32 v3, v3, v0
	v_cmp_lt_i32_e32 vcc, v4, v2
	s_waitcnt lgkmcnt(0)
	v_add_f32_e32 v0, v0, v3
	v_cndmask_b32_e32 v3, v1, v4, vcc
	v_lshlrev_b32_e32 v3, 2, v3
	ds_bpermute_b32 v3, v3, v0
	v_xor_b32_e32 v4, 4, v1
	v_cmp_lt_i32_e32 vcc, v4, v2
	s_waitcnt lgkmcnt(0)
	v_add_f32_e32 v0, v0, v3
	v_cndmask_b32_e32 v3, v1, v4, vcc
	v_lshlrev_b32_e32 v3, 2, v3
	ds_bpermute_b32 v3, v3, v0
	v_xor_b32_e32 v4, 2, v1
	;; [unrolled: 7-line block ×3, first 2 shown]
	v_cmp_lt_i32_e32 vcc, v4, v2
	s_waitcnt lgkmcnt(0)
	v_add_f32_e32 v0, v0, v3
	v_cndmask_b32_e32 v1, v1, v4, vcc
	v_lshlrev_b32_e32 v1, 2, v1
	ds_bpermute_b32 v1, v1, v0
	v_cmp_eq_u32_e32 vcc, 0, v19
	s_and_b64 exec, exec, vcc
	s_cbranch_execz .LBB90_7
; %bb.6:
	s_waitcnt lgkmcnt(0)
	v_add_f32_e32 v0, v0, v1
	v_cvt_f16_f32_e32 v2, v0
	s_mul_i32 s0, s5, s3
	v_add_u32_e32 v0, s0, v18
	v_mov_b32_e32 v1, 0
	v_lshl_add_u64 v[0:1], v[0:1], 1, s[6:7]
	global_store_short v[0:1], v2, off
.LBB90_7:
	s_endpgm
	.section	.rodata,"a",@progbits
	.p2align	6, 0x0
	.amdhsa_kernel _ZL13mul_mat_vec_qIN3c104HalfELi256ELi8E13block_iq3_xxsLi1EXadL_ZL20vec_dot_iq3_xxs_q8_1PKvPK10block_q8_1RKiEEEvS4_S4_PT_iii
		.amdhsa_group_segment_fixed_size 0
		.amdhsa_private_segment_fixed_size 0
		.amdhsa_kernarg_size 296
		.amdhsa_user_sgpr_count 2
		.amdhsa_user_sgpr_dispatch_ptr 0
		.amdhsa_user_sgpr_queue_ptr 0
		.amdhsa_user_sgpr_kernarg_segment_ptr 1
		.amdhsa_user_sgpr_dispatch_id 0
		.amdhsa_user_sgpr_kernarg_preload_length 0
		.amdhsa_user_sgpr_kernarg_preload_offset 0
		.amdhsa_user_sgpr_private_segment_size 0
		.amdhsa_uses_dynamic_stack 0
		.amdhsa_enable_private_segment 0
		.amdhsa_system_sgpr_workgroup_id_x 1
		.amdhsa_system_sgpr_workgroup_id_y 1
		.amdhsa_system_sgpr_workgroup_id_z 0
		.amdhsa_system_sgpr_workgroup_info 0
		.amdhsa_system_vgpr_workitem_id 1
		.amdhsa_next_free_vgpr 61
		.amdhsa_next_free_sgpr 18
		.amdhsa_accum_offset 64
		.amdhsa_reserve_vcc 1
		.amdhsa_float_round_mode_32 0
		.amdhsa_float_round_mode_16_64 0
		.amdhsa_float_denorm_mode_32 3
		.amdhsa_float_denorm_mode_16_64 3
		.amdhsa_dx10_clamp 1
		.amdhsa_ieee_mode 1
		.amdhsa_fp16_overflow 0
		.amdhsa_tg_split 0
		.amdhsa_exception_fp_ieee_invalid_op 0
		.amdhsa_exception_fp_denorm_src 0
		.amdhsa_exception_fp_ieee_div_zero 0
		.amdhsa_exception_fp_ieee_overflow 0
		.amdhsa_exception_fp_ieee_underflow 0
		.amdhsa_exception_fp_ieee_inexact 0
		.amdhsa_exception_int_div_zero 0
	.end_amdhsa_kernel
	.section	.text._ZL13mul_mat_vec_qIN3c104HalfELi256ELi8E13block_iq3_xxsLi1EXadL_ZL20vec_dot_iq3_xxs_q8_1PKvPK10block_q8_1RKiEEEvS4_S4_PT_iii,"axG",@progbits,_ZL13mul_mat_vec_qIN3c104HalfELi256ELi8E13block_iq3_xxsLi1EXadL_ZL20vec_dot_iq3_xxs_q8_1PKvPK10block_q8_1RKiEEEvS4_S4_PT_iii,comdat
.Lfunc_end90:
	.size	_ZL13mul_mat_vec_qIN3c104HalfELi256ELi8E13block_iq3_xxsLi1EXadL_ZL20vec_dot_iq3_xxs_q8_1PKvPK10block_q8_1RKiEEEvS4_S4_PT_iii, .Lfunc_end90-_ZL13mul_mat_vec_qIN3c104HalfELi256ELi8E13block_iq3_xxsLi1EXadL_ZL20vec_dot_iq3_xxs_q8_1PKvPK10block_q8_1RKiEEEvS4_S4_PT_iii
                                        ; -- End function
	.set _ZL13mul_mat_vec_qIN3c104HalfELi256ELi8E13block_iq3_xxsLi1EXadL_ZL20vec_dot_iq3_xxs_q8_1PKvPK10block_q8_1RKiEEEvS4_S4_PT_iii.num_vgpr, 61
	.set _ZL13mul_mat_vec_qIN3c104HalfELi256ELi8E13block_iq3_xxsLi1EXadL_ZL20vec_dot_iq3_xxs_q8_1PKvPK10block_q8_1RKiEEEvS4_S4_PT_iii.num_agpr, 0
	.set _ZL13mul_mat_vec_qIN3c104HalfELi256ELi8E13block_iq3_xxsLi1EXadL_ZL20vec_dot_iq3_xxs_q8_1PKvPK10block_q8_1RKiEEEvS4_S4_PT_iii.numbered_sgpr, 18
	.set _ZL13mul_mat_vec_qIN3c104HalfELi256ELi8E13block_iq3_xxsLi1EXadL_ZL20vec_dot_iq3_xxs_q8_1PKvPK10block_q8_1RKiEEEvS4_S4_PT_iii.num_named_barrier, 0
	.set _ZL13mul_mat_vec_qIN3c104HalfELi256ELi8E13block_iq3_xxsLi1EXadL_ZL20vec_dot_iq3_xxs_q8_1PKvPK10block_q8_1RKiEEEvS4_S4_PT_iii.private_seg_size, 0
	.set _ZL13mul_mat_vec_qIN3c104HalfELi256ELi8E13block_iq3_xxsLi1EXadL_ZL20vec_dot_iq3_xxs_q8_1PKvPK10block_q8_1RKiEEEvS4_S4_PT_iii.uses_vcc, 1
	.set _ZL13mul_mat_vec_qIN3c104HalfELi256ELi8E13block_iq3_xxsLi1EXadL_ZL20vec_dot_iq3_xxs_q8_1PKvPK10block_q8_1RKiEEEvS4_S4_PT_iii.uses_flat_scratch, 0
	.set _ZL13mul_mat_vec_qIN3c104HalfELi256ELi8E13block_iq3_xxsLi1EXadL_ZL20vec_dot_iq3_xxs_q8_1PKvPK10block_q8_1RKiEEEvS4_S4_PT_iii.has_dyn_sized_stack, 0
	.set _ZL13mul_mat_vec_qIN3c104HalfELi256ELi8E13block_iq3_xxsLi1EXadL_ZL20vec_dot_iq3_xxs_q8_1PKvPK10block_q8_1RKiEEEvS4_S4_PT_iii.has_recursion, 0
	.set _ZL13mul_mat_vec_qIN3c104HalfELi256ELi8E13block_iq3_xxsLi1EXadL_ZL20vec_dot_iq3_xxs_q8_1PKvPK10block_q8_1RKiEEEvS4_S4_PT_iii.has_indirect_call, 0
	.section	.AMDGPU.csdata,"",@progbits
; Kernel info:
; codeLenInByte = 1588
; TotalNumSgprs: 24
; NumVgprs: 61
; NumAgprs: 0
; TotalNumVgprs: 61
; ScratchSize: 0
; MemoryBound: 0
; FloatMode: 240
; IeeeMode: 1
; LDSByteSize: 0 bytes/workgroup (compile time only)
; SGPRBlocks: 2
; VGPRBlocks: 7
; NumSGPRsForWavesPerEU: 24
; NumVGPRsForWavesPerEU: 61
; AccumOffset: 64
; Occupancy: 8
; WaveLimiterHint : 0
; COMPUTE_PGM_RSRC2:SCRATCH_EN: 0
; COMPUTE_PGM_RSRC2:USER_SGPR: 2
; COMPUTE_PGM_RSRC2:TRAP_HANDLER: 0
; COMPUTE_PGM_RSRC2:TGID_X_EN: 1
; COMPUTE_PGM_RSRC2:TGID_Y_EN: 1
; COMPUTE_PGM_RSRC2:TGID_Z_EN: 0
; COMPUTE_PGM_RSRC2:TIDIG_COMP_CNT: 1
; COMPUTE_PGM_RSRC3_GFX90A:ACCUM_OFFSET: 15
; COMPUTE_PGM_RSRC3_GFX90A:TG_SPLIT: 0
	.section	.text._ZL13mul_mat_vec_qIN3c104HalfELi256ELi8E11block_iq1_sLi1EXadL_ZL18vec_dot_iq1_s_q8_1PKvPK10block_q8_1RKiEEEvS4_S4_PT_iii,"axG",@progbits,_ZL13mul_mat_vec_qIN3c104HalfELi256ELi8E11block_iq1_sLi1EXadL_ZL18vec_dot_iq1_s_q8_1PKvPK10block_q8_1RKiEEEvS4_S4_PT_iii,comdat
	.globl	_ZL13mul_mat_vec_qIN3c104HalfELi256ELi8E11block_iq1_sLi1EXadL_ZL18vec_dot_iq1_s_q8_1PKvPK10block_q8_1RKiEEEvS4_S4_PT_iii ; -- Begin function _ZL13mul_mat_vec_qIN3c104HalfELi256ELi8E11block_iq1_sLi1EXadL_ZL18vec_dot_iq1_s_q8_1PKvPK10block_q8_1RKiEEEvS4_S4_PT_iii
	.p2align	8
	.type	_ZL13mul_mat_vec_qIN3c104HalfELi256ELi8E11block_iq1_sLi1EXadL_ZL18vec_dot_iq1_s_q8_1PKvPK10block_q8_1RKiEEEvS4_S4_PT_iii,@function
_ZL13mul_mat_vec_qIN3c104HalfELi256ELi8E11block_iq1_sLi1EXadL_ZL18vec_dot_iq1_s_q8_1PKvPK10block_q8_1RKiEEEvS4_S4_PT_iii: ; @_ZL13mul_mat_vec_qIN3c104HalfELi256ELi8E11block_iq1_sLi1EXadL_ZL18vec_dot_iq1_s_q8_1PKvPK10block_q8_1RKiEEEvS4_S4_PT_iii
; %bb.0:
	s_load_dword s8, s[0:1], 0x34
	s_load_dwordx4 s[4:7], s[0:1], 0x18
	v_bfe_u32 v1, v0, 10, 10
	s_waitcnt lgkmcnt(0)
	s_lshr_b32 s7, s8, 16
	s_mul_i32 s2, s2, s7
	v_add_u32_e32 v6, s2, v1
	s_cmp_lt_u32 s3, s6
	v_cmp_gt_u32_e32 vcc, s5, v6
	s_cselect_b64 s[6:7], -1, 0
	s_and_b64 s[6:7], s[6:7], vcc
	s_and_saveexec_b64 s[8:9], s[6:7]
	s_cbranch_execz .LBB91_7
; %bb.1:
	s_load_dwordx2 s[6:7], s[0:1], 0x10
	s_ashr_i32 s2, s4, 31
	s_lshr_b32 s2, s2, 24
	s_add_i32 s2, s4, s2
	s_ashr_i32 s2, s2, 8
	v_bfe_u32 v8, v0, 3, 7
	v_and_b32_e32 v7, 0x3ff, v0
	v_cmp_gt_u32_e32 vcc, s2, v8
	v_mov_b32_e32 v9, 0
	s_and_saveexec_b64 s[12:13], vcc
	s_cbranch_execz .LBB91_5
; %bb.2:
	s_load_dwordx4 s[8:11], s[0:1], 0x0
	s_add_i32 s0, s4, 0x1ff
	s_ashr_i32 s1, s0, 31
	s_lshr_b32 s1, s1, 23
	s_add_i32 s0, s0, s1
	s_ashr_i32 s0, s0, 9
	v_and_b32_e32 v4, 7, v7
	s_mul_i32 s4, s3, s0
	v_lshlrev_b32_e32 v0, 1, v4
	v_mov_b32_e32 v1, 0
	s_waitcnt lgkmcnt(0)
	v_mad_u64_u32 v[2:3], s[0:1], v4, 36, s[10:11]
	v_lshlrev_b32_e32 v5, 3, v8
	v_mul_lo_u32 v10, v6, s2
	v_lshl_add_u32 v11, s4, 4, v5
	s_mov_b64 s[0:1], 0
	v_lshlrev_b32_e32 v0, 1, v0
	v_lshlrev_b32_e32 v4, 1, v4
	v_mov_b32_e32 v5, v1
	s_movk_i32 s4, 0x700
	v_mov_b32_e32 v12, 0xbf600000
	v_mov_b32_e32 v9, v1
.LBB91_3:                               ; =>This Inner Loop Header: Depth=1
	v_add_u32_e32 v13, v10, v8
	v_mad_i64_i32 v[22:23], s[10:11], v13, 50, s[8:9]
	v_lshl_add_u64 v[14:15], v[22:23], 0, v[0:1]
	v_lshl_add_u64 v[16:17], v[22:23], 0, v[4:5]
	global_load_dword v13, v[14:15], off offset:2
	global_load_ushort v26, v[16:17], off offset:34
	v_mad_i64_i32 v[24:25], s[10:11], v11, 36, v[2:3]
	global_load_dwordx4 v[14:17], v[24:25], off
	global_load_dwordx4 v[18:21], v[24:25], off offset:16
	global_load_ushort v27, v[22:23], off
	s_getpc_b64 s[10:11]
	s_add_u32 s10, s10, _ZL13iq1s_grid_gpu@rel32@lo+4
	s_addc_u32 s11, s11, _ZL13iq1s_grid_gpu@rel32@hi+12
	v_add_u32_e32 v8, 8, v8
	v_cmp_le_u32_e32 vcc, s2, v8
	v_add_u32_e32 v11, 64, v11
	s_or_b64 s[0:1], vcc, s[0:1]
	s_waitcnt vmcnt(4)
	v_and_b32_e32 v23, 0xff, v13
	s_waitcnt vmcnt(3)
	v_lshlrev_b32_e32 v28, 8, v26
	v_lshrrev_b32_e32 v22, 24, v13
	v_bfe_u32 v29, v13, 8, 8
	v_lshlrev_b32_e32 v30, 5, v26
	v_bfe_u32 v13, v13, 16, 8
	v_lshlrev_b32_e32 v31, 2, v26
	v_lshrrev_b32_e32 v32, 1, v26
	v_and_or_b32 v23, v28, s4, v23
	v_and_or_b32 v28, v30, s4, v29
	;; [unrolled: 1-line block ×4, first 2 shown]
	v_lshlrev_b32_e32 v23, 3, v23
	v_lshlrev_b32_e32 v28, 3, v28
	;; [unrolled: 1-line block ×4, first 2 shown]
	global_load_dword v29, v23, s[10:11]
	global_load_dword v30, v28, s[10:11]
	global_load_dword v31, v13, s[10:11]
	global_load_dword v32, v22, s[10:11]
	global_load_dword v33, v[24:25], off offset:32
	s_waitcnt vmcnt(7)
	v_cvt_f32_f16_e32 v22, v14
	v_cvt_f32_f16_sdwa v23, v14 dst_sel:DWORD dst_unused:UNUSED_PAD src0_sel:WORD_1
	v_lshrrev_b32_e32 v14, 11, v26
	v_mov_b32_e32 v13, 0
	s_waitcnt vmcnt(5)
	v_cvt_f32_f16_e32 v24, v27
	v_and_b32_e32 v25, 0x8000, v26
	v_and_or_b32 v26, v14, 14, 1
	v_cvt_f32_u32_e32 v25, v25
	s_waitcnt vmcnt(4)
	v_and_b32_e32 v14, 0xf0f0f0f, v29
	v_lshrrev_b32_e32 v27, 4, v29
	v_and_b32_e32 v27, 0xf0f0f0f, v27
	v_dot4c_i32_i8_e32 v13, v14, v15
	s_waitcnt vmcnt(3)
	v_and_b32_e32 v28, 0xf0f0f0f, v30
	v_lshrrev_b32_e32 v29, 4, v30
	v_dot4c_i32_i8_e32 v13, v27, v16
	v_and_b32_e32 v14, 0xf0f0f0f, v29
	v_dot4c_i32_i8_e32 v13, v28, v17
	s_waitcnt vmcnt(2)
	v_and_b32_e32 v30, 0xf0f0f0f, v31
	v_lshrrev_b32_e32 v31, 4, v31
	v_dot4c_i32_i8_e32 v13, v14, v18
	v_and_b32_e32 v15, 0xf0f0f0f, v31
	v_dot4c_i32_i8_e32 v13, v30, v19
	s_waitcnt vmcnt(1)
	v_and_b32_e32 v34, 0xf0f0f0f, v32
	v_lshrrev_b32_e32 v32, 4, v32
	v_dot4c_i32_i8_e32 v13, v15, v20
	v_and_b32_e32 v29, 0xf0f0f0f, v32
	v_dot4c_i32_i8_e32 v13, v34, v21
	s_waitcnt vmcnt(0)
	v_dot4c_i32_i8_e32 v13, v29, v33
	v_fmamk_f32 v15, v25, 0xb7000000, v12
	s_nop 1
	v_cvt_f32_i32_e32 v14, v13
	v_cvt_f32_ubyte0_e32 v13, v26
	v_mul_f32_e32 v13, v13, v24
	v_pk_mul_f32 v[14:15], v[14:15], v[22:23]
	s_nop 0
	v_add_f32_e32 v14, v14, v15
	v_fmac_f32_e32 v9, v13, v14
	s_andn2_b64 exec, exec, s[0:1]
	s_cbranch_execnz .LBB91_3
; %bb.4:
	s_or_b64 exec, exec, s[0:1]
.LBB91_5:
	s_or_b64 exec, exec, s[12:13]
	v_mbcnt_lo_u32_b32 v0, -1, 0
	v_mbcnt_hi_u32_b32 v1, -1, v0
	v_and_b32_e32 v0, 64, v1
	v_add_u32_e32 v2, 64, v0
	v_xor_b32_e32 v0, 32, v1
	v_cmp_lt_i32_e32 vcc, v0, v2
	v_xor_b32_e32 v3, 16, v1
	v_xor_b32_e32 v4, 8, v1
	v_cndmask_b32_e32 v0, v1, v0, vcc
	v_lshlrev_b32_e32 v0, 2, v0
	ds_bpermute_b32 v0, v0, v9
	v_cmp_lt_i32_e32 vcc, v3, v2
	s_waitcnt lgkmcnt(0)
	v_add_f32_e32 v0, v9, v0
	v_cndmask_b32_e32 v3, v1, v3, vcc
	v_lshlrev_b32_e32 v3, 2, v3
	ds_bpermute_b32 v3, v3, v0
	v_cmp_lt_i32_e32 vcc, v4, v2
	s_waitcnt lgkmcnt(0)
	v_add_f32_e32 v0, v0, v3
	v_cndmask_b32_e32 v3, v1, v4, vcc
	v_lshlrev_b32_e32 v3, 2, v3
	ds_bpermute_b32 v3, v3, v0
	v_xor_b32_e32 v4, 4, v1
	v_cmp_lt_i32_e32 vcc, v4, v2
	s_waitcnt lgkmcnt(0)
	v_add_f32_e32 v0, v0, v3
	v_cndmask_b32_e32 v3, v1, v4, vcc
	v_lshlrev_b32_e32 v3, 2, v3
	ds_bpermute_b32 v3, v3, v0
	v_xor_b32_e32 v4, 2, v1
	v_cmp_lt_i32_e32 vcc, v4, v2
	s_waitcnt lgkmcnt(0)
	v_add_f32_e32 v0, v0, v3
	v_cndmask_b32_e32 v3, v1, v4, vcc
	v_lshlrev_b32_e32 v3, 2, v3
	ds_bpermute_b32 v3, v3, v0
	v_xor_b32_e32 v4, 1, v1
	v_cmp_lt_i32_e32 vcc, v4, v2
	s_waitcnt lgkmcnt(0)
	v_add_f32_e32 v0, v0, v3
	v_cndmask_b32_e32 v1, v1, v4, vcc
	v_lshlrev_b32_e32 v1, 2, v1
	ds_bpermute_b32 v1, v1, v0
	v_cmp_eq_u32_e32 vcc, 0, v7
	s_and_b64 exec, exec, vcc
	s_cbranch_execz .LBB91_7
; %bb.6:
	s_waitcnt lgkmcnt(0)
	v_add_f32_e32 v0, v0, v1
	v_cvt_f16_f32_e32 v2, v0
	s_mul_i32 s0, s5, s3
	v_add_u32_e32 v0, s0, v6
	v_mov_b32_e32 v1, 0
	v_lshl_add_u64 v[0:1], v[0:1], 1, s[6:7]
	global_store_short v[0:1], v2, off
.LBB91_7:
	s_endpgm
	.section	.rodata,"a",@progbits
	.p2align	6, 0x0
	.amdhsa_kernel _ZL13mul_mat_vec_qIN3c104HalfELi256ELi8E11block_iq1_sLi1EXadL_ZL18vec_dot_iq1_s_q8_1PKvPK10block_q8_1RKiEEEvS4_S4_PT_iii
		.amdhsa_group_segment_fixed_size 0
		.amdhsa_private_segment_fixed_size 0
		.amdhsa_kernarg_size 296
		.amdhsa_user_sgpr_count 2
		.amdhsa_user_sgpr_dispatch_ptr 0
		.amdhsa_user_sgpr_queue_ptr 0
		.amdhsa_user_sgpr_kernarg_segment_ptr 1
		.amdhsa_user_sgpr_dispatch_id 0
		.amdhsa_user_sgpr_kernarg_preload_length 0
		.amdhsa_user_sgpr_kernarg_preload_offset 0
		.amdhsa_user_sgpr_private_segment_size 0
		.amdhsa_uses_dynamic_stack 0
		.amdhsa_enable_private_segment 0
		.amdhsa_system_sgpr_workgroup_id_x 1
		.amdhsa_system_sgpr_workgroup_id_y 1
		.amdhsa_system_sgpr_workgroup_id_z 0
		.amdhsa_system_sgpr_workgroup_info 0
		.amdhsa_system_vgpr_workitem_id 1
		.amdhsa_next_free_vgpr 35
		.amdhsa_next_free_sgpr 14
		.amdhsa_accum_offset 36
		.amdhsa_reserve_vcc 1
		.amdhsa_float_round_mode_32 0
		.amdhsa_float_round_mode_16_64 0
		.amdhsa_float_denorm_mode_32 3
		.amdhsa_float_denorm_mode_16_64 3
		.amdhsa_dx10_clamp 1
		.amdhsa_ieee_mode 1
		.amdhsa_fp16_overflow 0
		.amdhsa_tg_split 0
		.amdhsa_exception_fp_ieee_invalid_op 0
		.amdhsa_exception_fp_denorm_src 0
		.amdhsa_exception_fp_ieee_div_zero 0
		.amdhsa_exception_fp_ieee_overflow 0
		.amdhsa_exception_fp_ieee_underflow 0
		.amdhsa_exception_fp_ieee_inexact 0
		.amdhsa_exception_int_div_zero 0
	.end_amdhsa_kernel
	.section	.text._ZL13mul_mat_vec_qIN3c104HalfELi256ELi8E11block_iq1_sLi1EXadL_ZL18vec_dot_iq1_s_q8_1PKvPK10block_q8_1RKiEEEvS4_S4_PT_iii,"axG",@progbits,_ZL13mul_mat_vec_qIN3c104HalfELi256ELi8E11block_iq1_sLi1EXadL_ZL18vec_dot_iq1_s_q8_1PKvPK10block_q8_1RKiEEEvS4_S4_PT_iii,comdat
.Lfunc_end91:
	.size	_ZL13mul_mat_vec_qIN3c104HalfELi256ELi8E11block_iq1_sLi1EXadL_ZL18vec_dot_iq1_s_q8_1PKvPK10block_q8_1RKiEEEvS4_S4_PT_iii, .Lfunc_end91-_ZL13mul_mat_vec_qIN3c104HalfELi256ELi8E11block_iq1_sLi1EXadL_ZL18vec_dot_iq1_s_q8_1PKvPK10block_q8_1RKiEEEvS4_S4_PT_iii
                                        ; -- End function
	.set _ZL13mul_mat_vec_qIN3c104HalfELi256ELi8E11block_iq1_sLi1EXadL_ZL18vec_dot_iq1_s_q8_1PKvPK10block_q8_1RKiEEEvS4_S4_PT_iii.num_vgpr, 35
	.set _ZL13mul_mat_vec_qIN3c104HalfELi256ELi8E11block_iq1_sLi1EXadL_ZL18vec_dot_iq1_s_q8_1PKvPK10block_q8_1RKiEEEvS4_S4_PT_iii.num_agpr, 0
	.set _ZL13mul_mat_vec_qIN3c104HalfELi256ELi8E11block_iq1_sLi1EXadL_ZL18vec_dot_iq1_s_q8_1PKvPK10block_q8_1RKiEEEvS4_S4_PT_iii.numbered_sgpr, 14
	.set _ZL13mul_mat_vec_qIN3c104HalfELi256ELi8E11block_iq1_sLi1EXadL_ZL18vec_dot_iq1_s_q8_1PKvPK10block_q8_1RKiEEEvS4_S4_PT_iii.num_named_barrier, 0
	.set _ZL13mul_mat_vec_qIN3c104HalfELi256ELi8E11block_iq1_sLi1EXadL_ZL18vec_dot_iq1_s_q8_1PKvPK10block_q8_1RKiEEEvS4_S4_PT_iii.private_seg_size, 0
	.set _ZL13mul_mat_vec_qIN3c104HalfELi256ELi8E11block_iq1_sLi1EXadL_ZL18vec_dot_iq1_s_q8_1PKvPK10block_q8_1RKiEEEvS4_S4_PT_iii.uses_vcc, 1
	.set _ZL13mul_mat_vec_qIN3c104HalfELi256ELi8E11block_iq1_sLi1EXadL_ZL18vec_dot_iq1_s_q8_1PKvPK10block_q8_1RKiEEEvS4_S4_PT_iii.uses_flat_scratch, 0
	.set _ZL13mul_mat_vec_qIN3c104HalfELi256ELi8E11block_iq1_sLi1EXadL_ZL18vec_dot_iq1_s_q8_1PKvPK10block_q8_1RKiEEEvS4_S4_PT_iii.has_dyn_sized_stack, 0
	.set _ZL13mul_mat_vec_qIN3c104HalfELi256ELi8E11block_iq1_sLi1EXadL_ZL18vec_dot_iq1_s_q8_1PKvPK10block_q8_1RKiEEEvS4_S4_PT_iii.has_recursion, 0
	.set _ZL13mul_mat_vec_qIN3c104HalfELi256ELi8E11block_iq1_sLi1EXadL_ZL18vec_dot_iq1_s_q8_1PKvPK10block_q8_1RKiEEEvS4_S4_PT_iii.has_indirect_call, 0
	.section	.AMDGPU.csdata,"",@progbits
; Kernel info:
; codeLenInByte = 992
; TotalNumSgprs: 20
; NumVgprs: 35
; NumAgprs: 0
; TotalNumVgprs: 35
; ScratchSize: 0
; MemoryBound: 0
; FloatMode: 240
; IeeeMode: 1
; LDSByteSize: 0 bytes/workgroup (compile time only)
; SGPRBlocks: 2
; VGPRBlocks: 4
; NumSGPRsForWavesPerEU: 20
; NumVGPRsForWavesPerEU: 35
; AccumOffset: 36
; Occupancy: 8
; WaveLimiterHint : 0
; COMPUTE_PGM_RSRC2:SCRATCH_EN: 0
; COMPUTE_PGM_RSRC2:USER_SGPR: 2
; COMPUTE_PGM_RSRC2:TRAP_HANDLER: 0
; COMPUTE_PGM_RSRC2:TGID_X_EN: 1
; COMPUTE_PGM_RSRC2:TGID_Y_EN: 1
; COMPUTE_PGM_RSRC2:TGID_Z_EN: 0
; COMPUTE_PGM_RSRC2:TIDIG_COMP_CNT: 1
; COMPUTE_PGM_RSRC3_GFX90A:ACCUM_OFFSET: 8
; COMPUTE_PGM_RSRC3_GFX90A:TG_SPLIT: 0
	.section	.text._ZL13mul_mat_vec_qIN3c104HalfELi32ELi4E12block_iq4_nlLi2EXadL_ZL19vec_dot_iq4_nl_q8_1PKvPK10block_q8_1RKiEEEvS4_S4_PT_iii,"axG",@progbits,_ZL13mul_mat_vec_qIN3c104HalfELi32ELi4E12block_iq4_nlLi2EXadL_ZL19vec_dot_iq4_nl_q8_1PKvPK10block_q8_1RKiEEEvS4_S4_PT_iii,comdat
	.globl	_ZL13mul_mat_vec_qIN3c104HalfELi32ELi4E12block_iq4_nlLi2EXadL_ZL19vec_dot_iq4_nl_q8_1PKvPK10block_q8_1RKiEEEvS4_S4_PT_iii ; -- Begin function _ZL13mul_mat_vec_qIN3c104HalfELi32ELi4E12block_iq4_nlLi2EXadL_ZL19vec_dot_iq4_nl_q8_1PKvPK10block_q8_1RKiEEEvS4_S4_PT_iii
	.p2align	8
	.type	_ZL13mul_mat_vec_qIN3c104HalfELi32ELi4E12block_iq4_nlLi2EXadL_ZL19vec_dot_iq4_nl_q8_1PKvPK10block_q8_1RKiEEEvS4_S4_PT_iii,@function
_ZL13mul_mat_vec_qIN3c104HalfELi32ELi4E12block_iq4_nlLi2EXadL_ZL19vec_dot_iq4_nl_q8_1PKvPK10block_q8_1RKiEEEvS4_S4_PT_iii: ; @_ZL13mul_mat_vec_qIN3c104HalfELi32ELi4E12block_iq4_nlLi2EXadL_ZL19vec_dot_iq4_nl_q8_1PKvPK10block_q8_1RKiEEEvS4_S4_PT_iii
; %bb.0:
	s_load_dword s8, s[0:1], 0x34
	s_load_dwordx4 s[4:7], s[0:1], 0x18
	v_bfe_u32 v1, v0, 10, 10
	s_waitcnt lgkmcnt(0)
	s_lshr_b32 s7, s8, 16
	s_mul_i32 s2, s2, s7
	v_add_u32_e32 v4, s2, v1
	s_cmp_lt_u32 s3, s6
	v_cmp_gt_u32_e32 vcc, s5, v4
	s_cselect_b64 s[6:7], -1, 0
	s_and_b64 s[6:7], s[6:7], vcc
	s_and_saveexec_b64 s[8:9], s[6:7]
	s_cbranch_execz .LBB92_7
; %bb.1:
	s_load_dwordx2 s[6:7], s[0:1], 0x10
	s_ashr_i32 s2, s4, 31
	s_lshr_b32 s2, s2, 27
	s_add_i32 s2, s4, s2
	s_ashr_i32 s2, s2, 5
	v_bfe_u32 v6, v0, 1, 9
	v_and_b32_e32 v5, 0x3ff, v0
	v_cmp_gt_u32_e32 vcc, s2, v6
	v_mov_b32_e32 v7, 0
	s_and_saveexec_b64 s[12:13], vcc
	s_cbranch_execz .LBB92_5
; %bb.2:
	s_load_dwordx4 s[8:11], s[0:1], 0x0
	s_add_i32 s0, s4, 0x1ff
	s_ashr_i32 s1, s0, 31
	s_lshr_b32 s1, s1, 23
	s_add_i32 s0, s0, s1
	v_lshlrev_b32_e32 v0, 1, v5
	s_ashr_i32 s0, s0, 9
	v_and_b32_e32 v2, 2, v0
	s_mul_i32 s0, s3, s0
	v_lshlrev_b32_e32 v0, 1, v2
	v_mov_b32_e32 v1, 0
	v_mul_lo_u32 v8, v4, s2
	s_lshl_b32 s4, s0, 4
	s_mov_b64 s[0:1], 0
	v_lshlrev_b32_e32 v0, 1, v0
	v_lshlrev_b32_e32 v2, 2, v2
	v_mov_b32_e32 v3, v1
	v_mov_b32_e32 v7, v1
.LBB92_3:                               ; =>This Inner Loop Header: Depth=1
	v_add_u32_e32 v9, v8, v6
	s_waitcnt lgkmcnt(0)
	v_mad_i64_i32 v[10:11], s[14:15], v9, 18, s[8:9]
	v_lshl_add_u64 v[12:13], v[10:11], 0, v[0:1]
	global_load_dwordx2 v[12:13], v[12:13], off offset:2
	v_add_u32_e32 v9, s4, v6
	v_mad_i64_i32 v[14:15], s[16:17], v9, 36, s[10:11]
	s_getpc_b64 s[14:15]
	s_add_u32 s14, s14, _ZL13kvalues_iq4nl@rel32@lo+4
	s_addc_u32 s15, s15, _ZL13kvalues_iq4nl@rel32@hi+12
	v_lshl_add_u64 v[16:17], v[14:15], 0, v[2:3]
	global_load_ushort v9, v[10:11], off
	global_load_dwordx2 v[18:19], v[16:17], off offset:4
	global_load_dwordx2 v[20:21], v[16:17], off offset:20
	v_add_u32_e32 v6, 32, v6
	v_cmp_le_u32_e32 vcc, s2, v6
	s_or_b64 s[0:1], vcc, s[0:1]
	s_waitcnt vmcnt(3)
	v_bfe_u32 v10, v12, 24, 4
	v_and_b32_e32 v11, 15, v12
	v_bfe_u32 v16, v12, 8, 4
	v_bfe_u32 v17, v12, 16, 4
	;; [unrolled: 1-line block ×4, first 2 shown]
	v_lshrrev_b32_e32 v24, 28, v12
	v_bfe_u32 v12, v12, 4, 4
	v_bfe_u32 v25, v13, 24, 4
	v_and_b32_e32 v26, 15, v13
	v_bfe_u32 v27, v13, 8, 4
	v_bfe_u32 v28, v13, 16, 4
	;; [unrolled: 1-line block ×4, first 2 shown]
	v_lshrrev_b32_e32 v31, 28, v13
	v_bfe_u32 v13, v13, 4, 4
	global_load_ubyte v32, v11, s[14:15]
	global_load_ubyte v33, v16, s[14:15]
	;; [unrolled: 1-line block ×15, first 2 shown]
                                        ; kill: killed $vgpr10
                                        ; kill: killed $vgpr16
                                        ; kill: killed $vgpr22
                                        ; kill: killed $vgpr31
                                        ; kill: killed $vgpr24
                                        ; kill: killed $vgpr29
                                        ; kill: killed $vgpr28
                                        ; kill: killed $vgpr23
                                        ; kill: killed $vgpr27
                                        ; kill: killed $vgpr13
                                        ; kill: killed $vgpr11
                                        ; kill: killed $vgpr12
                                        ; kill: killed $vgpr26
                                        ; kill: killed $vgpr30
                                        ; kill: killed $vgpr17
	global_load_ubyte v10, v25, s[14:15]
	global_load_dword v11, v[14:15], off
	v_mov_b32_e32 v12, 0
	v_mov_b32_e32 v13, 0
	s_waitcnt vmcnt(19)
	v_cvt_f32_f16_e32 v9, v9
	s_waitcnt vmcnt(15)
	v_lshl_or_b32 v16, v33, 8, v32
	s_waitcnt vmcnt(14)
	v_lshlrev_b32_e32 v15, 16, v34
	s_waitcnt vmcnt(12)
	v_lshl_or_b32 v23, v36, 8, v35
	s_waitcnt vmcnt(11)
	v_lshlrev_b32_e32 v22, 16, v37
	s_waitcnt vmcnt(10)
	v_lshlrev_b32_e32 v17, 24, v38
	;; [unrolled: 2-line block ×3, first 2 shown]
	v_or3_b32 v14, v16, v15, v14
	s_waitcnt vmcnt(7)
	v_lshl_or_b32 v25, v41, 8, v40
	s_waitcnt vmcnt(6)
	v_lshlrev_b32_e32 v24, 16, v42
	v_or3_b32 v15, v23, v22, v17
	s_waitcnt vmcnt(4)
	v_lshl_or_b32 v28, v44, 8, v43
	s_waitcnt vmcnt(3)
	v_lshlrev_b32_e32 v27, 16, v45
	s_waitcnt vmcnt(2)
	v_lshlrev_b32_e32 v26, 24, v46
	v_or3_b32 v16, v28, v27, v26
	v_dot4c_i32_i8_e32 v12, v14, v18
	v_dot4c_i32_i8_e32 v13, v15, v20
	;; [unrolled: 1-line block ×3, first 2 shown]
	s_waitcnt vmcnt(1)
	v_lshlrev_b32_e32 v10, 24, v10
	v_or3_b32 v10, v25, v24, v10
	v_dot4c_i32_i8_e32 v12, v10, v19
	s_waitcnt vmcnt(0)
	v_cvt_f32_f16_e32 v11, v11
	v_mul_f32_e32 v9, v9, v11
	v_add_u32_e32 v10, v13, v12
	v_cvt_f32_i32_e32 v10, v10
	v_fmac_f32_e32 v7, v9, v10
	s_andn2_b64 exec, exec, s[0:1]
	s_cbranch_execnz .LBB92_3
; %bb.4:
	s_or_b64 exec, exec, s[0:1]
.LBB92_5:
	s_or_b64 exec, exec, s[12:13]
	v_mbcnt_lo_u32_b32 v0, -1, 0
	v_mbcnt_hi_u32_b32 v1, -1, v0
	v_and_b32_e32 v0, 64, v1
	v_add_u32_e32 v2, 64, v0
	v_xor_b32_e32 v0, 32, v1
	v_cmp_lt_i32_e32 vcc, v0, v2
	v_xor_b32_e32 v3, 16, v1
	v_xor_b32_e32 v6, 8, v1
	v_cndmask_b32_e32 v0, v1, v0, vcc
	v_lshlrev_b32_e32 v0, 2, v0
	ds_bpermute_b32 v0, v0, v7
	v_cmp_lt_i32_e32 vcc, v3, v2
	s_waitcnt lgkmcnt(0)
	v_add_f32_e32 v0, v7, v0
	v_cndmask_b32_e32 v3, v1, v3, vcc
	v_lshlrev_b32_e32 v3, 2, v3
	ds_bpermute_b32 v3, v3, v0
	v_cmp_lt_i32_e32 vcc, v6, v2
	s_waitcnt lgkmcnt(0)
	v_add_f32_e32 v0, v0, v3
	v_cndmask_b32_e32 v3, v1, v6, vcc
	v_lshlrev_b32_e32 v3, 2, v3
	ds_bpermute_b32 v3, v3, v0
	v_xor_b32_e32 v6, 4, v1
	v_cmp_lt_i32_e32 vcc, v6, v2
	s_waitcnt lgkmcnt(0)
	v_add_f32_e32 v0, v0, v3
	v_cndmask_b32_e32 v3, v1, v6, vcc
	v_lshlrev_b32_e32 v3, 2, v3
	ds_bpermute_b32 v3, v3, v0
	v_xor_b32_e32 v6, 2, v1
	;; [unrolled: 7-line block ×3, first 2 shown]
	v_cmp_lt_i32_e32 vcc, v6, v2
	s_waitcnt lgkmcnt(0)
	v_add_f32_e32 v0, v0, v3
	v_cndmask_b32_e32 v1, v1, v6, vcc
	v_lshlrev_b32_e32 v1, 2, v1
	ds_bpermute_b32 v1, v1, v0
	v_cmp_eq_u32_e32 vcc, 0, v5
	s_and_b64 exec, exec, vcc
	s_cbranch_execz .LBB92_7
; %bb.6:
	s_waitcnt lgkmcnt(0)
	v_add_f32_e32 v0, v0, v1
	v_cvt_f16_f32_e32 v2, v0
	s_mul_i32 s0, s5, s3
	v_add_u32_e32 v0, s0, v4
	v_mov_b32_e32 v1, 0
	v_lshl_add_u64 v[0:1], v[0:1], 1, s[6:7]
	global_store_short v[0:1], v2, off
.LBB92_7:
	s_endpgm
	.section	.rodata,"a",@progbits
	.p2align	6, 0x0
	.amdhsa_kernel _ZL13mul_mat_vec_qIN3c104HalfELi32ELi4E12block_iq4_nlLi2EXadL_ZL19vec_dot_iq4_nl_q8_1PKvPK10block_q8_1RKiEEEvS4_S4_PT_iii
		.amdhsa_group_segment_fixed_size 0
		.amdhsa_private_segment_fixed_size 0
		.amdhsa_kernarg_size 296
		.amdhsa_user_sgpr_count 2
		.amdhsa_user_sgpr_dispatch_ptr 0
		.amdhsa_user_sgpr_queue_ptr 0
		.amdhsa_user_sgpr_kernarg_segment_ptr 1
		.amdhsa_user_sgpr_dispatch_id 0
		.amdhsa_user_sgpr_kernarg_preload_length 0
		.amdhsa_user_sgpr_kernarg_preload_offset 0
		.amdhsa_user_sgpr_private_segment_size 0
		.amdhsa_uses_dynamic_stack 0
		.amdhsa_enable_private_segment 0
		.amdhsa_system_sgpr_workgroup_id_x 1
		.amdhsa_system_sgpr_workgroup_id_y 1
		.amdhsa_system_sgpr_workgroup_id_z 0
		.amdhsa_system_sgpr_workgroup_info 0
		.amdhsa_system_vgpr_workitem_id 1
		.amdhsa_next_free_vgpr 47
		.amdhsa_next_free_sgpr 18
		.amdhsa_accum_offset 48
		.amdhsa_reserve_vcc 1
		.amdhsa_float_round_mode_32 0
		.amdhsa_float_round_mode_16_64 0
		.amdhsa_float_denorm_mode_32 3
		.amdhsa_float_denorm_mode_16_64 3
		.amdhsa_dx10_clamp 1
		.amdhsa_ieee_mode 1
		.amdhsa_fp16_overflow 0
		.amdhsa_tg_split 0
		.amdhsa_exception_fp_ieee_invalid_op 0
		.amdhsa_exception_fp_denorm_src 0
		.amdhsa_exception_fp_ieee_div_zero 0
		.amdhsa_exception_fp_ieee_overflow 0
		.amdhsa_exception_fp_ieee_underflow 0
		.amdhsa_exception_fp_ieee_inexact 0
		.amdhsa_exception_int_div_zero 0
	.end_amdhsa_kernel
	.section	.text._ZL13mul_mat_vec_qIN3c104HalfELi32ELi4E12block_iq4_nlLi2EXadL_ZL19vec_dot_iq4_nl_q8_1PKvPK10block_q8_1RKiEEEvS4_S4_PT_iii,"axG",@progbits,_ZL13mul_mat_vec_qIN3c104HalfELi32ELi4E12block_iq4_nlLi2EXadL_ZL19vec_dot_iq4_nl_q8_1PKvPK10block_q8_1RKiEEEvS4_S4_PT_iii,comdat
.Lfunc_end92:
	.size	_ZL13mul_mat_vec_qIN3c104HalfELi32ELi4E12block_iq4_nlLi2EXadL_ZL19vec_dot_iq4_nl_q8_1PKvPK10block_q8_1RKiEEEvS4_S4_PT_iii, .Lfunc_end92-_ZL13mul_mat_vec_qIN3c104HalfELi32ELi4E12block_iq4_nlLi2EXadL_ZL19vec_dot_iq4_nl_q8_1PKvPK10block_q8_1RKiEEEvS4_S4_PT_iii
                                        ; -- End function
	.set _ZL13mul_mat_vec_qIN3c104HalfELi32ELi4E12block_iq4_nlLi2EXadL_ZL19vec_dot_iq4_nl_q8_1PKvPK10block_q8_1RKiEEEvS4_S4_PT_iii.num_vgpr, 47
	.set _ZL13mul_mat_vec_qIN3c104HalfELi32ELi4E12block_iq4_nlLi2EXadL_ZL19vec_dot_iq4_nl_q8_1PKvPK10block_q8_1RKiEEEvS4_S4_PT_iii.num_agpr, 0
	.set _ZL13mul_mat_vec_qIN3c104HalfELi32ELi4E12block_iq4_nlLi2EXadL_ZL19vec_dot_iq4_nl_q8_1PKvPK10block_q8_1RKiEEEvS4_S4_PT_iii.numbered_sgpr, 18
	.set _ZL13mul_mat_vec_qIN3c104HalfELi32ELi4E12block_iq4_nlLi2EXadL_ZL19vec_dot_iq4_nl_q8_1PKvPK10block_q8_1RKiEEEvS4_S4_PT_iii.num_named_barrier, 0
	.set _ZL13mul_mat_vec_qIN3c104HalfELi32ELi4E12block_iq4_nlLi2EXadL_ZL19vec_dot_iq4_nl_q8_1PKvPK10block_q8_1RKiEEEvS4_S4_PT_iii.private_seg_size, 0
	.set _ZL13mul_mat_vec_qIN3c104HalfELi32ELi4E12block_iq4_nlLi2EXadL_ZL19vec_dot_iq4_nl_q8_1PKvPK10block_q8_1RKiEEEvS4_S4_PT_iii.uses_vcc, 1
	.set _ZL13mul_mat_vec_qIN3c104HalfELi32ELi4E12block_iq4_nlLi2EXadL_ZL19vec_dot_iq4_nl_q8_1PKvPK10block_q8_1RKiEEEvS4_S4_PT_iii.uses_flat_scratch, 0
	.set _ZL13mul_mat_vec_qIN3c104HalfELi32ELi4E12block_iq4_nlLi2EXadL_ZL19vec_dot_iq4_nl_q8_1PKvPK10block_q8_1RKiEEEvS4_S4_PT_iii.has_dyn_sized_stack, 0
	.set _ZL13mul_mat_vec_qIN3c104HalfELi32ELi4E12block_iq4_nlLi2EXadL_ZL19vec_dot_iq4_nl_q8_1PKvPK10block_q8_1RKiEEEvS4_S4_PT_iii.has_recursion, 0
	.set _ZL13mul_mat_vec_qIN3c104HalfELi32ELi4E12block_iq4_nlLi2EXadL_ZL19vec_dot_iq4_nl_q8_1PKvPK10block_q8_1RKiEEEvS4_S4_PT_iii.has_indirect_call, 0
	.section	.AMDGPU.csdata,"",@progbits
; Kernel info:
; codeLenInByte = 1044
; TotalNumSgprs: 24
; NumVgprs: 47
; NumAgprs: 0
; TotalNumVgprs: 47
; ScratchSize: 0
; MemoryBound: 0
; FloatMode: 240
; IeeeMode: 1
; LDSByteSize: 0 bytes/workgroup (compile time only)
; SGPRBlocks: 2
; VGPRBlocks: 5
; NumSGPRsForWavesPerEU: 24
; NumVGPRsForWavesPerEU: 47
; AccumOffset: 48
; Occupancy: 8
; WaveLimiterHint : 0
; COMPUTE_PGM_RSRC2:SCRATCH_EN: 0
; COMPUTE_PGM_RSRC2:USER_SGPR: 2
; COMPUTE_PGM_RSRC2:TRAP_HANDLER: 0
; COMPUTE_PGM_RSRC2:TGID_X_EN: 1
; COMPUTE_PGM_RSRC2:TGID_Y_EN: 1
; COMPUTE_PGM_RSRC2:TGID_Z_EN: 0
; COMPUTE_PGM_RSRC2:TIDIG_COMP_CNT: 1
; COMPUTE_PGM_RSRC3_GFX90A:ACCUM_OFFSET: 11
; COMPUTE_PGM_RSRC3_GFX90A:TG_SPLIT: 0
	.section	.text._ZL13mul_mat_vec_qIN3c104HalfELi256ELi8E11block_iq3_sLi1EXadL_ZL18vec_dot_iq3_s_q8_1PKvPK10block_q8_1RKiEEEvS4_S4_PT_iii,"axG",@progbits,_ZL13mul_mat_vec_qIN3c104HalfELi256ELi8E11block_iq3_sLi1EXadL_ZL18vec_dot_iq3_s_q8_1PKvPK10block_q8_1RKiEEEvS4_S4_PT_iii,comdat
	.globl	_ZL13mul_mat_vec_qIN3c104HalfELi256ELi8E11block_iq3_sLi1EXadL_ZL18vec_dot_iq3_s_q8_1PKvPK10block_q8_1RKiEEEvS4_S4_PT_iii ; -- Begin function _ZL13mul_mat_vec_qIN3c104HalfELi256ELi8E11block_iq3_sLi1EXadL_ZL18vec_dot_iq3_s_q8_1PKvPK10block_q8_1RKiEEEvS4_S4_PT_iii
	.p2align	8
	.type	_ZL13mul_mat_vec_qIN3c104HalfELi256ELi8E11block_iq3_sLi1EXadL_ZL18vec_dot_iq3_s_q8_1PKvPK10block_q8_1RKiEEEvS4_S4_PT_iii,@function
_ZL13mul_mat_vec_qIN3c104HalfELi256ELi8E11block_iq3_sLi1EXadL_ZL18vec_dot_iq3_s_q8_1PKvPK10block_q8_1RKiEEEvS4_S4_PT_iii: ; @_ZL13mul_mat_vec_qIN3c104HalfELi256ELi8E11block_iq3_sLi1EXadL_ZL18vec_dot_iq3_s_q8_1PKvPK10block_q8_1RKiEEEvS4_S4_PT_iii
; %bb.0:
	s_load_dword s8, s[0:1], 0x34
	s_load_dwordx4 s[4:7], s[0:1], 0x18
	v_bfe_u32 v1, v0, 10, 10
	s_waitcnt lgkmcnt(0)
	s_lshr_b32 s7, s8, 16
	s_mul_i32 s2, s2, s7
	v_add_u32_e32 v24, s2, v1
	s_cmp_lt_u32 s3, s6
	v_cmp_gt_u32_e32 vcc, s5, v24
	s_cselect_b64 s[6:7], -1, 0
	s_and_b64 s[6:7], s[6:7], vcc
	s_and_saveexec_b64 s[8:9], s[6:7]
	s_cbranch_execz .LBB93_9
; %bb.1:
	s_load_dwordx2 s[6:7], s[0:1], 0x10
	s_ashr_i32 s2, s4, 31
	s_lshr_b32 s2, s2, 24
	s_add_i32 s2, s4, s2
	s_ashr_i32 s2, s2, 8
	v_bfe_u32 v26, v0, 3, 7
	v_and_b32_e32 v25, 0x3ff, v0
	v_cmp_gt_u32_e32 vcc, s2, v26
	v_mov_b32_e32 v1, 0
	s_and_saveexec_b64 s[8:9], vcc
	s_cbranch_execz .LBB93_7
; %bb.2:
	s_load_dwordx4 s[12:15], s[0:1], 0x0
	s_add_i32 s0, s4, 0x1ff
	s_ashr_i32 s1, s0, 31
	s_lshr_b32 s1, s1, 23
	s_add_i32 s0, s0, s1
	s_ashr_i32 s0, s0, 9
	s_mul_i32 s0, s3, s0
	v_and_b32_e32 v2, 7, v25
	v_mov_b32_e32 v1, 0
	v_lshlrev_b32_e32 v8, 2, v25
	s_lshl_b32 s4, s0, 4
	v_lshlrev_b32_e32 v0, 3, v2
	s_waitcnt lgkmcnt(0)
	v_mad_u64_u32 v[4:5], s[0:1], v2, 36, s[14:15]
	v_and_b32_e32 v28, 4, v8
	v_lshlrev_b32_e32 v8, 2, v2
	v_mov_b32_e32 v9, v1
	v_mul_lo_u32 v27, v24, s2
	v_lshl_add_u64 v[8:9], s[12:13], 0, v[8:9]
	s_mov_b64 s[0:1], 0x4a
	v_lshl_add_u64 v[10:11], s[12:13], 0, v[0:1]
	v_mov_b32_e32 v3, v1
	v_bfe_u32 v6, v25, 1, 2
	v_mov_b32_e32 v7, v1
	v_lshl_add_u64 v[8:9], v[8:9], 0, s[0:1]
	v_add_u32_e32 v29, v26, v27
	v_lshl_add_u64 v[10:11], v[10:11], 0, 2
	s_mov_b64 s[0:1], 0
	s_movk_i32 s10, 0x6e
	v_mov_b64_e32 v[12:13], s[12:13]
	s_movk_i32 s11, 0x100
	s_mov_b32 s12, 0x1010101
	s_mov_b32 s13, 0x8040201
	;; [unrolled: 1-line block ×4, first 2 shown]
	v_mov_b32_e32 v0, 0xff0000
	s_movk_i32 s16, 0x200
	v_mov_b32_e32 v30, 0xff00
	v_mov_b32_e32 v31, 0xff
	s_mov_b32 s17, 0xc060c00
.LBB93_3:                               ; =>This Loop Header: Depth=1
                                        ;     Child Loop BB93_4 Depth 2
	v_add_u32_e32 v14, v26, v27
	v_mad_i64_i32 v[14:15], s[18:19], v14, s10, v[12:13]
	v_lshl_add_u64 v[16:17], v[14:15], 0, v[2:3]
	global_load_ubyte v33, v[16:17], off offset:66
	v_lshl_add_u32 v16, v26, 3, s4
	v_mad_i64_i32 v[18:19], s[18:19], v29, s10, v[8:9]
	v_mad_i64_i32 v[20:21], s[18:19], v29, s10, v[10:11]
	;; [unrolled: 1-line block ×3, first 2 shown]
	v_lshl_add_u64 v[22:23], v[16:17], 0, 4
	s_mov_b32 s18, 7
	v_mov_b32_e32 v32, 0
.LBB93_4:                               ;   Parent Loop BB93_3 Depth=1
                                        ; =>  This Inner Loop Header: Depth=2
	global_load_ushort v34, v[20:21], off
	global_load_ubyte v36, v[18:19], off
	s_add_i32 s19, s18, 1
	s_waitcnt vmcnt(2)
	v_lshlrev_b32_e32 v37, s19, v33
	v_lshlrev_b32_e32 v35, s18, v33
	s_getpc_b64 s[20:21]
	s_add_u32 s20, s20, _ZL10iq3xs_grid@rel32@lo+4
	s_addc_u32 s21, s21, _ZL10iq3xs_grid@rel32@hi+12
	s_add_i32 s18, s18, -2
	v_lshl_add_u64 v[18:19], v[18:19], 0, 1
	v_lshl_add_u64 v[20:21], v[20:21], 0, 2
	s_cmp_lg_u32 s18, -1
	s_waitcnt vmcnt(1)
	v_and_b32_e32 v38, 0xff, v34
	v_lshrrev_b16_e32 v34, 8, v34
	v_and_or_b32 v37, v37, s11, v38
	v_and_or_b32 v34, v35, s11, v34
	v_lshlrev_b32_e32 v37, 2, v37
	v_lshlrev_b32_e32 v38, 2, v34
	global_load_dword v39, v37, s[20:21]
	global_load_dword v40, v38, s[20:21]
	global_load_dwordx2 v[34:35], v[22:23], off
	s_waitcnt vmcnt(3)
	v_and_b32_e32 v37, 15, v36
	v_lshrrev_b16_e32 v36, 4, v36
	v_mul_lo_u32 v36, v36, s12
	v_bitop3_b32 v38, v36, s13, v36 bitop3:0xc
	v_bitop3_b32 v41, v36, s15, v36 bitop3:0xc
	v_cmp_gt_u32_e32 vcc, s14, v38
	v_and_b32_e32 v37, 0xffff, v37
	v_bitop3_b32 v42, v36, s16, v36 bitop3:0xc
	v_cndmask_b32_e64 v38, 0, -1, vcc
	v_cmp_eq_u32_e32 vcc, 0, v41
	v_mul_lo_u32 v37, v37, s12
	v_bitop3_b32 v36, v36, 1, v36 bitop3:0xc
	v_cndmask_b32_e32 v41, 0, v0, vcc
	v_cmp_eq_u32_e32 vcc, 0, v42
	v_bitop3_b32 v43, v37, s13, v37 bitop3:0xc
	v_bitop3_b32 v44, v37, s15, v37 bitop3:0xc
	v_cndmask_b32_e32 v42, 0, v30, vcc
	v_cmp_eq_u32_e32 vcc, 0, v36
	v_bitop3_b32 v45, v37, s16, v37 bitop3:0xc
	v_bitop3_b32 v37, v37, 1, v37 bitop3:0xc
	v_cndmask_b32_e32 v36, 0, v31, vcc
	v_cmp_gt_u32_e32 vcc, s14, v43
	v_lshlrev_b32_e32 v38, 24, v38
	v_or3_b32 v46, v42, v36, v41
	v_cndmask_b32_e64 v43, 0, -1, vcc
	v_cmp_eq_u32_e32 vcc, 0, v44
	v_lshlrev_b32_e32 v43, 24, v43
	v_lshl_add_u64 v[22:23], v[22:23], 0, 8
	v_cndmask_b32_e32 v44, 0, v0, vcc
	v_cmp_eq_u32_e32 vcc, 0, v45
	s_waitcnt vmcnt(1)
	v_bitop3_b32 v40, v46, v40, v38 bitop3:0x36
	v_cndmask_b32_e32 v45, 0, v30, vcc
	v_cmp_eq_u32_e32 vcc, 0, v37
	v_sub_u32_e32 v38, v40, v38
	v_sub_u32_e32 v36, v40, v36
	v_cndmask_b32_e32 v37, 0, v31, vcc
	v_or3_b32 v47, v45, v37, v44
	v_bitop3_b32 v39, v47, v39, v43 bitop3:0x36
	v_sub_u32_e32 v43, v39, v43
	v_sub_u32_e32 v44, v39, v44
	;; [unrolled: 1-line block ×6, first 2 shown]
	v_and_b32_e32 v40, 0xff000000, v43
	v_and_b32_e32 v42, 0xff00, v45
	v_perm_b32 v37, v44, v37, s17
	v_and_b32_e32 v38, 0xff000000, v38
	v_and_b32_e32 v41, 0xff00, v41
	v_perm_b32 v36, v39, v36, s17
	v_or3_b32 v37, v37, v40, v42
	v_or3_b32 v36, v36, v38, v41
	s_waitcnt vmcnt(0)
	v_dot4c_i32_i8_e32 v32, v37, v34
	v_dot4c_i32_i8_e32 v32, v36, v35
	s_cbranch_scc1 .LBB93_4
; %bb.5:                                ;   in Loop: Header=BB93_3 Depth=1
	global_load_ushort v18, v[14:15], off
	v_lshl_add_u64 v[14:15], v[14:15], 0, v[6:7]
	global_load_dword v19, v[16:17], off
	global_load_ubyte v20, v[14:15], off offset:106
	v_cvt_f32_i32_e32 v14, v32
	v_add_u32_e32 v26, 8, v26
	v_cmp_le_u32_e32 vcc, s2, v26
	s_or_b64 s[0:1], vcc, s[0:1]
	v_add_u32_e32 v29, 8, v29
	s_waitcnt vmcnt(2)
	v_cvt_f32_f16_e32 v15, v18
	s_waitcnt vmcnt(1)
	v_cvt_f32_f16_e32 v16, v19
	s_waitcnt vmcnt(0)
	v_bfe_u32 v17, v20, v28, 4
	v_cvt_f32_ubyte0_e32 v17, v17
	v_add_f32_e32 v17, 0.5, v17
	v_mul_f32_e32 v15, v17, v15
	v_mul_f32_e32 v15, v15, v16
	v_mul_f32_e32 v15, 0.5, v15
	v_fmac_f32_e32 v1, v15, v14
	s_andn2_b64 exec, exec, s[0:1]
	s_cbranch_execnz .LBB93_3
; %bb.6:
	s_or_b64 exec, exec, s[0:1]
.LBB93_7:
	s_or_b64 exec, exec, s[8:9]
	v_mbcnt_lo_u32_b32 v0, -1, 0
	v_mbcnt_hi_u32_b32 v2, -1, v0
	v_and_b32_e32 v0, 64, v2
	v_add_u32_e32 v3, 64, v0
	v_xor_b32_e32 v0, 32, v2
	v_cmp_lt_i32_e32 vcc, v0, v3
	v_xor_b32_e32 v4, 16, v2
	s_nop 0
	v_cndmask_b32_e32 v0, v2, v0, vcc
	v_lshlrev_b32_e32 v0, 2, v0
	ds_bpermute_b32 v0, v0, v1
	v_cmp_lt_i32_e32 vcc, v4, v3
	s_waitcnt lgkmcnt(0)
	v_add_f32_e32 v0, v1, v0
	v_cndmask_b32_e32 v1, v2, v4, vcc
	v_lshlrev_b32_e32 v1, 2, v1
	ds_bpermute_b32 v1, v1, v0
	v_xor_b32_e32 v4, 8, v2
	v_cmp_lt_i32_e32 vcc, v4, v3
	s_waitcnt lgkmcnt(0)
	v_add_f32_e32 v0, v0, v1
	v_cndmask_b32_e32 v1, v2, v4, vcc
	v_lshlrev_b32_e32 v1, 2, v1
	ds_bpermute_b32 v1, v1, v0
	v_xor_b32_e32 v4, 4, v2
	;; [unrolled: 7-line block ×4, first 2 shown]
	v_cmp_lt_i32_e32 vcc, v4, v3
	s_waitcnt lgkmcnt(0)
	v_add_f32_e32 v0, v0, v1
	v_cndmask_b32_e32 v1, v2, v4, vcc
	v_lshlrev_b32_e32 v1, 2, v1
	ds_bpermute_b32 v1, v1, v0
	v_cmp_eq_u32_e32 vcc, 0, v25
	s_and_b64 exec, exec, vcc
	s_cbranch_execz .LBB93_9
; %bb.8:
	s_waitcnt lgkmcnt(0)
	v_add_f32_e32 v0, v0, v1
	v_cvt_f16_f32_e32 v2, v0
	s_mul_i32 s0, s5, s3
	v_add_u32_e32 v0, s0, v24
	v_mov_b32_e32 v1, 0
	v_lshl_add_u64 v[0:1], v[0:1], 1, s[6:7]
	global_store_short v[0:1], v2, off
.LBB93_9:
	s_endpgm
	.section	.rodata,"a",@progbits
	.p2align	6, 0x0
	.amdhsa_kernel _ZL13mul_mat_vec_qIN3c104HalfELi256ELi8E11block_iq3_sLi1EXadL_ZL18vec_dot_iq3_s_q8_1PKvPK10block_q8_1RKiEEEvS4_S4_PT_iii
		.amdhsa_group_segment_fixed_size 0
		.amdhsa_private_segment_fixed_size 0
		.amdhsa_kernarg_size 296
		.amdhsa_user_sgpr_count 2
		.amdhsa_user_sgpr_dispatch_ptr 0
		.amdhsa_user_sgpr_queue_ptr 0
		.amdhsa_user_sgpr_kernarg_segment_ptr 1
		.amdhsa_user_sgpr_dispatch_id 0
		.amdhsa_user_sgpr_kernarg_preload_length 0
		.amdhsa_user_sgpr_kernarg_preload_offset 0
		.amdhsa_user_sgpr_private_segment_size 0
		.amdhsa_uses_dynamic_stack 0
		.amdhsa_enable_private_segment 0
		.amdhsa_system_sgpr_workgroup_id_x 1
		.amdhsa_system_sgpr_workgroup_id_y 1
		.amdhsa_system_sgpr_workgroup_id_z 0
		.amdhsa_system_sgpr_workgroup_info 0
		.amdhsa_system_vgpr_workitem_id 1
		.amdhsa_next_free_vgpr 48
		.amdhsa_next_free_sgpr 22
		.amdhsa_accum_offset 48
		.amdhsa_reserve_vcc 1
		.amdhsa_float_round_mode_32 0
		.amdhsa_float_round_mode_16_64 0
		.amdhsa_float_denorm_mode_32 3
		.amdhsa_float_denorm_mode_16_64 3
		.amdhsa_dx10_clamp 1
		.amdhsa_ieee_mode 1
		.amdhsa_fp16_overflow 0
		.amdhsa_tg_split 0
		.amdhsa_exception_fp_ieee_invalid_op 0
		.amdhsa_exception_fp_denorm_src 0
		.amdhsa_exception_fp_ieee_div_zero 0
		.amdhsa_exception_fp_ieee_overflow 0
		.amdhsa_exception_fp_ieee_underflow 0
		.amdhsa_exception_fp_ieee_inexact 0
		.amdhsa_exception_int_div_zero 0
	.end_amdhsa_kernel
	.section	.text._ZL13mul_mat_vec_qIN3c104HalfELi256ELi8E11block_iq3_sLi1EXadL_ZL18vec_dot_iq3_s_q8_1PKvPK10block_q8_1RKiEEEvS4_S4_PT_iii,"axG",@progbits,_ZL13mul_mat_vec_qIN3c104HalfELi256ELi8E11block_iq3_sLi1EXadL_ZL18vec_dot_iq3_s_q8_1PKvPK10block_q8_1RKiEEEvS4_S4_PT_iii,comdat
.Lfunc_end93:
	.size	_ZL13mul_mat_vec_qIN3c104HalfELi256ELi8E11block_iq3_sLi1EXadL_ZL18vec_dot_iq3_s_q8_1PKvPK10block_q8_1RKiEEEvS4_S4_PT_iii, .Lfunc_end93-_ZL13mul_mat_vec_qIN3c104HalfELi256ELi8E11block_iq3_sLi1EXadL_ZL18vec_dot_iq3_s_q8_1PKvPK10block_q8_1RKiEEEvS4_S4_PT_iii
                                        ; -- End function
	.set _ZL13mul_mat_vec_qIN3c104HalfELi256ELi8E11block_iq3_sLi1EXadL_ZL18vec_dot_iq3_s_q8_1PKvPK10block_q8_1RKiEEEvS4_S4_PT_iii.num_vgpr, 48
	.set _ZL13mul_mat_vec_qIN3c104HalfELi256ELi8E11block_iq3_sLi1EXadL_ZL18vec_dot_iq3_s_q8_1PKvPK10block_q8_1RKiEEEvS4_S4_PT_iii.num_agpr, 0
	.set _ZL13mul_mat_vec_qIN3c104HalfELi256ELi8E11block_iq3_sLi1EXadL_ZL18vec_dot_iq3_s_q8_1PKvPK10block_q8_1RKiEEEvS4_S4_PT_iii.numbered_sgpr, 22
	.set _ZL13mul_mat_vec_qIN3c104HalfELi256ELi8E11block_iq3_sLi1EXadL_ZL18vec_dot_iq3_s_q8_1PKvPK10block_q8_1RKiEEEvS4_S4_PT_iii.num_named_barrier, 0
	.set _ZL13mul_mat_vec_qIN3c104HalfELi256ELi8E11block_iq3_sLi1EXadL_ZL18vec_dot_iq3_s_q8_1PKvPK10block_q8_1RKiEEEvS4_S4_PT_iii.private_seg_size, 0
	.set _ZL13mul_mat_vec_qIN3c104HalfELi256ELi8E11block_iq3_sLi1EXadL_ZL18vec_dot_iq3_s_q8_1PKvPK10block_q8_1RKiEEEvS4_S4_PT_iii.uses_vcc, 1
	.set _ZL13mul_mat_vec_qIN3c104HalfELi256ELi8E11block_iq3_sLi1EXadL_ZL18vec_dot_iq3_s_q8_1PKvPK10block_q8_1RKiEEEvS4_S4_PT_iii.uses_flat_scratch, 0
	.set _ZL13mul_mat_vec_qIN3c104HalfELi256ELi8E11block_iq3_sLi1EXadL_ZL18vec_dot_iq3_s_q8_1PKvPK10block_q8_1RKiEEEvS4_S4_PT_iii.has_dyn_sized_stack, 0
	.set _ZL13mul_mat_vec_qIN3c104HalfELi256ELi8E11block_iq3_sLi1EXadL_ZL18vec_dot_iq3_s_q8_1PKvPK10block_q8_1RKiEEEvS4_S4_PT_iii.has_recursion, 0
	.set _ZL13mul_mat_vec_qIN3c104HalfELi256ELi8E11block_iq3_sLi1EXadL_ZL18vec_dot_iq3_s_q8_1PKvPK10block_q8_1RKiEEEvS4_S4_PT_iii.has_indirect_call, 0
	.section	.AMDGPU.csdata,"",@progbits
; Kernel info:
; codeLenInByte = 1292
; TotalNumSgprs: 28
; NumVgprs: 48
; NumAgprs: 0
; TotalNumVgprs: 48
; ScratchSize: 0
; MemoryBound: 0
; FloatMode: 240
; IeeeMode: 1
; LDSByteSize: 0 bytes/workgroup (compile time only)
; SGPRBlocks: 3
; VGPRBlocks: 5
; NumSGPRsForWavesPerEU: 28
; NumVGPRsForWavesPerEU: 48
; AccumOffset: 48
; Occupancy: 8
; WaveLimiterHint : 0
; COMPUTE_PGM_RSRC2:SCRATCH_EN: 0
; COMPUTE_PGM_RSRC2:USER_SGPR: 2
; COMPUTE_PGM_RSRC2:TRAP_HANDLER: 0
; COMPUTE_PGM_RSRC2:TGID_X_EN: 1
; COMPUTE_PGM_RSRC2:TGID_Y_EN: 1
; COMPUTE_PGM_RSRC2:TGID_Z_EN: 0
; COMPUTE_PGM_RSRC2:TIDIG_COMP_CNT: 1
; COMPUTE_PGM_RSRC3_GFX90A:ACCUM_OFFSET: 11
; COMPUTE_PGM_RSRC3_GFX90A:TG_SPLIT: 0
	.section	.text._ZL13mul_mat_vec_qIN3c104HalfELi256ELi8E11block_iq2_sLi1EXadL_ZL18vec_dot_iq2_s_q8_1PKvPK10block_q8_1RKiEEEvS4_S4_PT_iii,"axG",@progbits,_ZL13mul_mat_vec_qIN3c104HalfELi256ELi8E11block_iq2_sLi1EXadL_ZL18vec_dot_iq2_s_q8_1PKvPK10block_q8_1RKiEEEvS4_S4_PT_iii,comdat
	.globl	_ZL13mul_mat_vec_qIN3c104HalfELi256ELi8E11block_iq2_sLi1EXadL_ZL18vec_dot_iq2_s_q8_1PKvPK10block_q8_1RKiEEEvS4_S4_PT_iii ; -- Begin function _ZL13mul_mat_vec_qIN3c104HalfELi256ELi8E11block_iq2_sLi1EXadL_ZL18vec_dot_iq2_s_q8_1PKvPK10block_q8_1RKiEEEvS4_S4_PT_iii
	.p2align	8
	.type	_ZL13mul_mat_vec_qIN3c104HalfELi256ELi8E11block_iq2_sLi1EXadL_ZL18vec_dot_iq2_s_q8_1PKvPK10block_q8_1RKiEEEvS4_S4_PT_iii,@function
_ZL13mul_mat_vec_qIN3c104HalfELi256ELi8E11block_iq2_sLi1EXadL_ZL18vec_dot_iq2_s_q8_1PKvPK10block_q8_1RKiEEEvS4_S4_PT_iii: ; @_ZL13mul_mat_vec_qIN3c104HalfELi256ELi8E11block_iq2_sLi1EXadL_ZL18vec_dot_iq2_s_q8_1PKvPK10block_q8_1RKiEEEvS4_S4_PT_iii
; %bb.0:
	s_load_dword s8, s[0:1], 0x34
	s_load_dwordx4 s[4:7], s[0:1], 0x18
	v_bfe_u32 v1, v0, 10, 10
	s_waitcnt lgkmcnt(0)
	s_lshr_b32 s7, s8, 16
	s_mul_i32 s2, s2, s7
	v_add_u32_e32 v14, s2, v1
	s_cmp_lt_u32 s3, s6
	v_cmp_gt_u32_e32 vcc, s5, v14
	s_cselect_b64 s[6:7], -1, 0
	s_and_b64 s[6:7], s[6:7], vcc
	s_and_saveexec_b64 s[8:9], s[6:7]
	s_cbranch_execz .LBB94_7
; %bb.1:
	s_load_dwordx2 s[6:7], s[0:1], 0x10
	s_ashr_i32 s2, s4, 31
	s_lshr_b32 s2, s2, 24
	s_add_i32 s2, s4, s2
	s_ashr_i32 s2, s2, 8
	v_bfe_u32 v16, v0, 3, 7
	v_and_b32_e32 v15, 0x3ff, v0
	v_cmp_gt_u32_e32 vcc, s2, v16
	v_mov_b32_e32 v18, 0
	s_and_saveexec_b64 s[8:9], vcc
	s_cbranch_execz .LBB94_5
; %bb.2:
	s_load_dwordx4 s[12:15], s[0:1], 0x0
	s_add_i32 s0, s4, 0x1ff
	s_ashr_i32 s1, s0, 31
	s_lshr_b32 s1, s1, 23
	s_add_i32 s0, s0, s1
	s_ashr_i32 s0, s0, 9
	s_mul_i32 s4, s3, s0
	v_and_b32_e32 v0, 7, v15
	v_mov_b32_e32 v1, 0
	v_lshlrev_b32_e32 v6, 3, v16
	v_mul_lo_u32 v17, v14, s2
	s_waitcnt lgkmcnt(0)
	v_mad_u64_u32 v[2:3], s[0:1], v0, 36, s[14:15]
	v_lshlrev_b32_e32 v4, 2, v0
	v_mov_b32_e32 v5, v1
	v_lshl_add_u32 v19, s4, 4, v6
	s_mov_b64 s[10:11], 0
	s_movk_i32 s4, 0x52
	v_mov_b64_e32 v[6:7], s[12:13]
	s_movk_i32 s12, 0x300
	s_mov_b32 s13, 0x1010101
	s_mov_b32 s14, 0x8040201
	s_mov_b32 s15, 0x1000000
	s_mov_b32 s16, 0x40000
	v_mov_b32_e32 v20, 0xff0000
	s_movk_i32 s17, 0x200
	v_mov_b32_e32 v21, 0xff00
	v_mov_b32_e32 v22, 0xff
	s_mov_b32 s18, 0xc060c00
	v_mov_b32_e32 v23, 4
	v_mov_b32_e32 v18, v1
.LBB94_3:                               ; =>This Inner Loop Header: Depth=1
	v_add_u32_e32 v8, v17, v16
	v_mad_i64_i32 v[8:9], s[20:21], v8, s4, v[6:7]
	v_lshl_add_u64 v[10:11], v[8:9], 0, v[4:5]
	v_lshl_add_u64 v[12:13], v[8:9], 0, v[0:1]
	global_load_ushort v28, v[8:9], off
	global_load_dword v24, v[10:11], off offset:2
	global_load_ubyte v25, v[12:13], off offset:66
	global_load_dword v26, v[10:11], off offset:34
	global_load_ubyte v27, v[12:13], off offset:74
	s_getpc_b64 s[0:1]
	s_add_u32 s0, s0, _ZL9iq2s_grid@rel32@lo+4
	s_addc_u32 s1, s1, _ZL9iq2s_grid@rel32@hi+12
	v_add_u32_e32 v16, 8, v16
	s_waitcnt vmcnt(4)
	v_cvt_f32_f16_e32 v28, v28
	s_waitcnt vmcnt(3)
	v_and_b32_e32 v9, 0xff, v24
	s_waitcnt vmcnt(2)
	v_lshlrev_b32_e32 v10, 8, v25
	s_waitcnt vmcnt(1)
	v_and_b32_e32 v12, 15, v26
	v_lshrrev_b32_e32 v8, 24, v24
	v_bfe_u32 v29, v24, 8, 8
	v_bfe_u32 v24, v24, 16, 8
	v_lshlrev_b32_e32 v32, 4, v25
	v_and_or_b32 v9, v10, s12, v9
	v_mul_lo_u32 v10, v12, s13
	v_lshrrev_b16_e32 v13, 4, v26
	v_lshlrev_b32_e32 v30, 6, v25
	v_bfe_u32 v33, v26, 16, 4
	v_and_or_b32 v24, v32, s12, v24
	v_bitop3_b32 v32, v10, s14, v10 bitop3:0xc
	v_bfe_u32 v31, v26, 8, 4
	v_bfe_u32 v34, v26, 20, 4
	v_lshlrev_b32_e32 v25, 2, v25
	v_and_b32_e32 v12, 15, v13
	v_and_or_b32 v13, v30, s12, v29
	v_mul_lo_u32 v30, v33, s13
	v_bitop3_b32 v33, v10, s16, v10 bitop3:0xc
	v_cmp_gt_u32_e32 vcc, s15, v32
	v_lshrrev_b32_e32 v11, 8, v26
	v_mul_lo_u32 v29, v31, s13
	v_mul_lo_u32 v31, v34, s13
	v_and_or_b32 v8, v25, s12, v8
	v_lshlrev_b32_e32 v9, 3, v9
	v_bitop3_b32 v34, v10, s17, v10 bitop3:0xc
	v_cndmask_b32_e64 v32, 0, -1, vcc
	v_cmp_eq_u32_e32 vcc, 0, v33
	v_lshrrev_b16_e32 v11, 4, v11
	v_bitop3_b32 v10, v10, 1, v10 bitop3:0xc
	v_lshlrev_b32_e32 v13, 3, v13
	v_lshlrev_b32_e32 v45, 3, v8
	v_cndmask_b32_e32 v33, 0, v20, vcc
	global_load_dwordx2 v[8:9], v9, s[0:1]
	v_cmp_eq_u32_e32 vcc, 0, v34
	v_bfe_u32 v35, v26, 24, 4
	v_and_b32_e32 v12, 0xffff, v12
	v_and_b32_e32 v38, 15, v11
	v_lshlrev_b32_e32 v24, 3, v24
	v_cndmask_b32_e32 v34, 0, v21, vcc
	v_cmp_eq_u32_e32 vcc, 0, v10
	global_load_dwordx2 v[10:11], v13, s[0:1]
	v_mul_lo_u32 v25, v35, s13
	v_mul_lo_u32 v54, v12, s13
	global_load_dwordx2 v[12:13], v24, s[0:1]
	v_bitop3_b32 v46, v25, s14, v25 bitop3:0xc
	v_bitop3_b32 v47, v25, s16, v25 bitop3:0xc
	v_bitop3_b32 v48, v25, s17, v25 bitop3:0xc
	v_bitop3_b32 v49, v25, 1, v25 bitop3:0xc
	global_load_dwordx2 v[24:25], v45, s[0:1]
	v_bitop3_b32 v35, v29, s14, v29 bitop3:0xc
	v_bitop3_b32 v36, v29, s16, v29 bitop3:0xc
	v_cndmask_b32_e32 v53, 0, v22, vcc
	v_cmp_gt_u32_e32 vcc, s15, v35
	v_bitop3_b32 v37, v29, s17, v29 bitop3:0xc
	v_bitop3_b32 v29, v29, 1, v29 bitop3:0xc
	v_cndmask_b32_e64 v35, 0, -1, vcc
	v_cmp_eq_u32_e32 vcc, 0, v36
	v_bitop3_b32 v39, v30, s14, v30 bitop3:0xc
	v_bitop3_b32 v40, v30, s16, v30 bitop3:0xc
	v_cndmask_b32_e32 v36, 0, v20, vcc
	v_cmp_eq_u32_e32 vcc, 0, v37
	v_bitop3_b32 v41, v30, s17, v30 bitop3:0xc
	v_bitop3_b32 v30, v30, 1, v30 bitop3:0xc
	v_cndmask_b32_e32 v37, 0, v21, vcc
	;; [unrolled: 4-line block ×3, first 2 shown]
	v_cmp_gt_u32_e32 vcc, s15, v39
	v_bitop3_b32 v44, v31, s17, v31 bitop3:0xc
	v_bitop3_b32 v31, v31, 1, v31 bitop3:0xc
	v_cndmask_b32_e64 v39, 0, -1, vcc
	v_cmp_eq_u32_e32 vcc, 0, v40
	v_lshrrev_b16_sdwa v26, v23, v26 dst_sel:DWORD dst_unused:UNUSED_PAD src0_sel:DWORD src1_sel:BYTE_3
	v_mul_lo_u32 v26, v26, s13
	v_cndmask_b32_e32 v40, 0, v20, vcc
	v_cmp_eq_u32_e32 vcc, 0, v41
	v_bitop3_b32 v50, v26, s14, v26 bitop3:0xc
	v_bitop3_b32 v51, v26, s16, v26 bitop3:0xc
	v_cndmask_b32_e32 v41, 0, v21, vcc
	v_cmp_eq_u32_e32 vcc, 0, v30
	v_bitop3_b32 v52, v26, s17, v26 bitop3:0xc
	v_bitop3_b32 v26, v26, 1, v26 bitop3:0xc
	v_cndmask_b32_e32 v30, 0, v22, vcc
	v_cmp_gt_u32_e32 vcc, s15, v42
	v_bitop3_b32 v55, v54, s14, v54 bitop3:0xc
	v_and_b32_e32 v38, 0xffff, v38
	v_cndmask_b32_e64 v42, 0, -1, vcc
	v_cmp_eq_u32_e32 vcc, 0, v43
	v_bitop3_b32 v56, v54, s16, v54 bitop3:0xc
	v_bitop3_b32 v57, v54, s17, v54 bitop3:0xc
	v_cndmask_b32_e32 v43, 0, v20, vcc
	v_cmp_eq_u32_e32 vcc, 0, v44
	v_mul_lo_u32 v38, v38, s13
	v_bitop3_b32 v54, v54, 1, v54 bitop3:0xc
	v_cndmask_b32_e32 v44, 0, v21, vcc
	v_cmp_eq_u32_e32 vcc, 0, v31
	v_bitop3_b32 v59, v38, s14, v38 bitop3:0xc
	v_bitop3_b32 v60, v38, s16, v38 bitop3:0xc
	v_cndmask_b32_e32 v31, 0, v22, vcc
	v_cmp_gt_u32_e32 vcc, s15, v46
	v_cmp_gt_u32_e64 s[0:1], s15, v59
	v_bitop3_b32 v61, v38, s17, v38 bitop3:0xc
	v_cndmask_b32_e64 v45, 0, -1, vcc
	v_cmp_eq_u32_e32 vcc, 0, v47
	v_bitop3_b32 v38, v38, 1, v38 bitop3:0xc
	v_cndmask_b32_e64 v59, 0, -1, s[0:1]
	v_cndmask_b32_e32 v46, 0, v20, vcc
	v_cmp_eq_u32_e32 vcc, 0, v48
	v_cmp_eq_u32_e64 s[0:1], 0, v60
	v_lshlrev_b32_e32 v32, 24, v32
	v_cndmask_b32_e32 v47, 0, v21, vcc
	v_cmp_eq_u32_e32 vcc, 0, v49
	v_cndmask_b32_e64 v60, 0, v20, s[0:1]
	v_cmp_eq_u32_e64 s[0:1], 0, v61
	v_cndmask_b32_e32 v48, 0, v22, vcc
	v_cmp_gt_u32_e32 vcc, s15, v50
	v_lshlrev_b32_e32 v35, 24, v35
	v_or3_b32 v58, v37, v29, v36
	v_cndmask_b32_e64 v49, 0, -1, vcc
	v_cmp_eq_u32_e32 vcc, 0, v51
	v_cndmask_b32_e64 v61, 0, v21, s[0:1]
	v_lshlrev_b32_e32 v39, 24, v39
	v_cndmask_b32_e32 v50, 0, v20, vcc
	v_cmp_eq_u32_e32 vcc, 0, v52
	v_or3_b32 v52, v34, v53, v33
	s_waitcnt vmcnt(3)
	v_bitop3_b32 v8, v52, v8, v32 bitop3:0x36
	v_cndmask_b32_e32 v51, 0, v21, vcc
	v_cmp_eq_u32_e32 vcc, 0, v26
	v_lshlrev_b32_e32 v52, 24, v59
	s_waitcnt vmcnt(2)
	v_bitop3_b32 v10, v58, v10, v35 bitop3:0x36
	v_cndmask_b32_e32 v26, 0, v22, vcc
	v_cmp_gt_u32_e32 vcc, s15, v55
	v_or3_b32 v58, v41, v30, v40
	v_lshlrev_b32_e32 v42, 24, v42
	v_cndmask_b32_e64 v55, 0, -1, vcc
	v_cmp_eq_u32_e32 vcc, 0, v56
	v_lshlrev_b32_e32 v55, 24, v55
	v_lshlrev_b32_e32 v45, 24, v45
	v_cndmask_b32_e32 v56, 0, v20, vcc
	v_cmp_eq_u32_e32 vcc, 0, v57
	s_waitcnt vmcnt(1)
	v_bitop3_b32 v58, v58, v12, v39 bitop3:0x36
	v_or3_b32 v12, v47, v48, v46
	v_cndmask_b32_e32 v57, 0, v21, vcc
	v_cmp_eq_u32_e32 vcc, 0, v54
	v_lshlrev_b32_e32 v49, 24, v49
	s_waitcnt vmcnt(0)
	v_bitop3_b32 v62, v12, v24, v45 bitop3:0x36
	v_cndmask_b32_e32 v54, 0, v22, vcc
	v_cmp_eq_u32_e32 vcc, 0, v38
	v_or3_b32 v38, v57, v54, v56
	v_bitop3_b32 v9, v38, v9, v55 bitop3:0x36
	v_cndmask_b32_e32 v38, 0, v22, vcc
	v_or3_b32 v59, v61, v38, v60
	v_bitop3_b32 v11, v59, v11, v52 bitop3:0x36
	v_or3_b32 v59, v44, v31, v43
	v_bitop3_b32 v59, v59, v13, v42 bitop3:0x36
	v_or3_b32 v13, v51, v26, v50
	v_lshrrev_b16_e32 v12, 4, v27
	v_and_b32_e32 v24, 15, v27
	v_bitop3_b32 v63, v13, v25, v49 bitop3:0x36
	v_cvt_f32_ubyte0_e32 v13, v12
	v_cvt_f32_ubyte0_e32 v12, v24
	v_mad_i64_i32 v[24:25], s[0:1], v19, 36, v[2:3]
	v_sub_u32_e32 v32, v8, v32
	v_sub_u32_e32 v33, v8, v33
	;; [unrolled: 1-line block ×16, first 2 shown]
	global_load_dwordx4 v[8:11], v[24:25], off
	v_sub_u32_e32 v39, v58, v39
	v_sub_u32_e32 v40, v58, v40
	;; [unrolled: 1-line block ×8, first 2 shown]
	global_load_dword v58, v[24:25], off offset:32
	v_sub_u32_e32 v59, v63, v26
	global_load_dwordx4 v[24:27], v[24:25], off offset:16
	v_sub_u32_e32 v45, v62, v45
	v_sub_u32_e32 v46, v62, v46
	;; [unrolled: 1-line block ×4, first 2 shown]
	v_perm_b32 v33, v33, v53, s18
	v_perm_b32 v29, v36, v29, s18
	v_and_b32_e32 v39, 0xff000000, v39
	v_and_b32_e32 v41, 0xff00, v41
	v_perm_b32 v30, v40, v30, s18
	v_and_b32_e32 v34, 0xff00, v34
	v_sub_u32_e32 v47, v62, v47
	v_mov_b32_e32 v53, 0
	v_perm_b32 v54, v56, v54, s18
	v_mov_b32_e32 v56, 0
	v_and_b32_e32 v40, 0xff000000, v42
	v_and_b32_e32 v42, 0xff00, v44
	v_perm_b32 v31, v43, v31, s18
	v_and_b32_e32 v43, 0xff000000, v45
	v_perm_b32 v45, v46, v48, s18
	v_and_b32_e32 v46, 0xff000000, v49
	v_and_b32_e32 v49, 0xff00, v57
	v_or3_b32 v30, v30, v39, v41
	v_sub_u32_e32 v50, v63, v50
	v_sub_u32_e32 v51, v63, v51
	v_and_b32_e32 v35, 0xff000000, v35
	v_and_b32_e32 v44, 0xff00, v47
	;; [unrolled: 1-line block ×3, first 2 shown]
	v_or3_b32 v31, v31, v40, v42
	v_and_b32_e32 v52, 0xff000000, v52
	v_perm_b32 v38, v60, v38, s18
	v_and_b32_e32 v47, 0xff00, v51
	v_perm_b32 v48, v50, v59, s18
	v_and_b32_e32 v50, 0xff00, v61
	v_or3_b32 v39, v45, v43, v44
	v_or3_b32 v29, v29, v35, v37
	;; [unrolled: 1-line block ×3, first 2 shown]
	v_cmp_le_u32_e32 vcc, s2, v16
	v_add_u32_e32 v19, 64, v19
	s_or_b64 s[10:11], vcc, s[10:11]
	s_waitcnt vmcnt(2)
	v_cvt_f32_f16_e32 v36, v8
	v_and_b32_e32 v8, 0xff000000, v32
	v_and_b32_e32 v32, 0xff000000, v55
	v_or3_b32 v8, v33, v8, v34
	v_or3_b32 v32, v54, v32, v49
	v_dot4c_i32_i8_e32 v56, v8, v9
	v_dot4c_i32_i8_e32 v56, v32, v10
	v_or3_b32 v33, v38, v52, v50
	v_dot4c_i32_i8_e32 v56, v29, v11
	v_pk_add_f32 v[10:11], v[12:13], 0.5 op_sel_hi:[1,0]
	v_mul_f32_e32 v12, v28, v36
	s_waitcnt vmcnt(0)
	v_dot4c_i32_i8_e32 v53, v30, v25
	v_dot4c_i32_i8_e32 v53, v31, v26
	;; [unrolled: 1-line block ×5, first 2 shown]
	v_mul_f32_e32 v12, 0x3e800000, v12
	s_nop 0
	v_cvt_f32_i32_e32 v9, v53
	v_cvt_f32_i32_e32 v8, v56
	v_pk_mul_f32 v[8:9], v[10:11], v[8:9]
	s_nop 0
	v_add_f32_e32 v8, v8, v9
	v_fmac_f32_e32 v18, v12, v8
	s_andn2_b64 exec, exec, s[10:11]
	s_cbranch_execnz .LBB94_3
; %bb.4:
	s_or_b64 exec, exec, s[10:11]
.LBB94_5:
	s_or_b64 exec, exec, s[8:9]
	v_mbcnt_lo_u32_b32 v0, -1, 0
	v_mbcnt_hi_u32_b32 v1, -1, v0
	v_and_b32_e32 v0, 64, v1
	v_add_u32_e32 v2, 64, v0
	v_xor_b32_e32 v0, 32, v1
	v_cmp_lt_i32_e32 vcc, v0, v2
	v_xor_b32_e32 v3, 16, v1
	v_xor_b32_e32 v4, 8, v1
	v_cndmask_b32_e32 v0, v1, v0, vcc
	v_lshlrev_b32_e32 v0, 2, v0
	ds_bpermute_b32 v0, v0, v18
	v_cmp_lt_i32_e32 vcc, v3, v2
	s_waitcnt lgkmcnt(0)
	v_add_f32_e32 v0, v18, v0
	v_cndmask_b32_e32 v3, v1, v3, vcc
	v_lshlrev_b32_e32 v3, 2, v3
	ds_bpermute_b32 v3, v3, v0
	v_cmp_lt_i32_e32 vcc, v4, v2
	s_waitcnt lgkmcnt(0)
	v_add_f32_e32 v0, v0, v3
	v_cndmask_b32_e32 v3, v1, v4, vcc
	v_lshlrev_b32_e32 v3, 2, v3
	ds_bpermute_b32 v3, v3, v0
	v_xor_b32_e32 v4, 4, v1
	v_cmp_lt_i32_e32 vcc, v4, v2
	s_waitcnt lgkmcnt(0)
	v_add_f32_e32 v0, v0, v3
	v_cndmask_b32_e32 v3, v1, v4, vcc
	v_lshlrev_b32_e32 v3, 2, v3
	ds_bpermute_b32 v3, v3, v0
	v_xor_b32_e32 v4, 2, v1
	;; [unrolled: 7-line block ×3, first 2 shown]
	v_cmp_lt_i32_e32 vcc, v4, v2
	s_waitcnt lgkmcnt(0)
	v_add_f32_e32 v0, v0, v3
	v_cndmask_b32_e32 v1, v1, v4, vcc
	v_lshlrev_b32_e32 v1, 2, v1
	ds_bpermute_b32 v1, v1, v0
	v_cmp_eq_u32_e32 vcc, 0, v15
	s_and_b64 exec, exec, vcc
	s_cbranch_execz .LBB94_7
; %bb.6:
	s_waitcnt lgkmcnt(0)
	v_add_f32_e32 v0, v0, v1
	v_cvt_f16_f32_e32 v2, v0
	s_mul_i32 s0, s5, s3
	v_add_u32_e32 v0, s0, v14
	v_mov_b32_e32 v1, 0
	v_lshl_add_u64 v[0:1], v[0:1], 1, s[6:7]
	global_store_short v[0:1], v2, off
.LBB94_7:
	s_endpgm
	.section	.rodata,"a",@progbits
	.p2align	6, 0x0
	.amdhsa_kernel _ZL13mul_mat_vec_qIN3c104HalfELi256ELi8E11block_iq2_sLi1EXadL_ZL18vec_dot_iq2_s_q8_1PKvPK10block_q8_1RKiEEEvS4_S4_PT_iii
		.amdhsa_group_segment_fixed_size 0
		.amdhsa_private_segment_fixed_size 0
		.amdhsa_kernarg_size 296
		.amdhsa_user_sgpr_count 2
		.amdhsa_user_sgpr_dispatch_ptr 0
		.amdhsa_user_sgpr_queue_ptr 0
		.amdhsa_user_sgpr_kernarg_segment_ptr 1
		.amdhsa_user_sgpr_dispatch_id 0
		.amdhsa_user_sgpr_kernarg_preload_length 0
		.amdhsa_user_sgpr_kernarg_preload_offset 0
		.amdhsa_user_sgpr_private_segment_size 0
		.amdhsa_uses_dynamic_stack 0
		.amdhsa_enable_private_segment 0
		.amdhsa_system_sgpr_workgroup_id_x 1
		.amdhsa_system_sgpr_workgroup_id_y 1
		.amdhsa_system_sgpr_workgroup_id_z 0
		.amdhsa_system_sgpr_workgroup_info 0
		.amdhsa_system_vgpr_workitem_id 1
		.amdhsa_next_free_vgpr 64
		.amdhsa_next_free_sgpr 22
		.amdhsa_accum_offset 64
		.amdhsa_reserve_vcc 1
		.amdhsa_float_round_mode_32 0
		.amdhsa_float_round_mode_16_64 0
		.amdhsa_float_denorm_mode_32 3
		.amdhsa_float_denorm_mode_16_64 3
		.amdhsa_dx10_clamp 1
		.amdhsa_ieee_mode 1
		.amdhsa_fp16_overflow 0
		.amdhsa_tg_split 0
		.amdhsa_exception_fp_ieee_invalid_op 0
		.amdhsa_exception_fp_denorm_src 0
		.amdhsa_exception_fp_ieee_div_zero 0
		.amdhsa_exception_fp_ieee_overflow 0
		.amdhsa_exception_fp_ieee_underflow 0
		.amdhsa_exception_fp_ieee_inexact 0
		.amdhsa_exception_int_div_zero 0
	.end_amdhsa_kernel
	.section	.text._ZL13mul_mat_vec_qIN3c104HalfELi256ELi8E11block_iq2_sLi1EXadL_ZL18vec_dot_iq2_s_q8_1PKvPK10block_q8_1RKiEEEvS4_S4_PT_iii,"axG",@progbits,_ZL13mul_mat_vec_qIN3c104HalfELi256ELi8E11block_iq2_sLi1EXadL_ZL18vec_dot_iq2_s_q8_1PKvPK10block_q8_1RKiEEEvS4_S4_PT_iii,comdat
.Lfunc_end94:
	.size	_ZL13mul_mat_vec_qIN3c104HalfELi256ELi8E11block_iq2_sLi1EXadL_ZL18vec_dot_iq2_s_q8_1PKvPK10block_q8_1RKiEEEvS4_S4_PT_iii, .Lfunc_end94-_ZL13mul_mat_vec_qIN3c104HalfELi256ELi8E11block_iq2_sLi1EXadL_ZL18vec_dot_iq2_s_q8_1PKvPK10block_q8_1RKiEEEvS4_S4_PT_iii
                                        ; -- End function
	.set _ZL13mul_mat_vec_qIN3c104HalfELi256ELi8E11block_iq2_sLi1EXadL_ZL18vec_dot_iq2_s_q8_1PKvPK10block_q8_1RKiEEEvS4_S4_PT_iii.num_vgpr, 64
	.set _ZL13mul_mat_vec_qIN3c104HalfELi256ELi8E11block_iq2_sLi1EXadL_ZL18vec_dot_iq2_s_q8_1PKvPK10block_q8_1RKiEEEvS4_S4_PT_iii.num_agpr, 0
	.set _ZL13mul_mat_vec_qIN3c104HalfELi256ELi8E11block_iq2_sLi1EXadL_ZL18vec_dot_iq2_s_q8_1PKvPK10block_q8_1RKiEEEvS4_S4_PT_iii.numbered_sgpr, 22
	.set _ZL13mul_mat_vec_qIN3c104HalfELi256ELi8E11block_iq2_sLi1EXadL_ZL18vec_dot_iq2_s_q8_1PKvPK10block_q8_1RKiEEEvS4_S4_PT_iii.num_named_barrier, 0
	.set _ZL13mul_mat_vec_qIN3c104HalfELi256ELi8E11block_iq2_sLi1EXadL_ZL18vec_dot_iq2_s_q8_1PKvPK10block_q8_1RKiEEEvS4_S4_PT_iii.private_seg_size, 0
	.set _ZL13mul_mat_vec_qIN3c104HalfELi256ELi8E11block_iq2_sLi1EXadL_ZL18vec_dot_iq2_s_q8_1PKvPK10block_q8_1RKiEEEvS4_S4_PT_iii.uses_vcc, 1
	.set _ZL13mul_mat_vec_qIN3c104HalfELi256ELi8E11block_iq2_sLi1EXadL_ZL18vec_dot_iq2_s_q8_1PKvPK10block_q8_1RKiEEEvS4_S4_PT_iii.uses_flat_scratch, 0
	.set _ZL13mul_mat_vec_qIN3c104HalfELi256ELi8E11block_iq2_sLi1EXadL_ZL18vec_dot_iq2_s_q8_1PKvPK10block_q8_1RKiEEEvS4_S4_PT_iii.has_dyn_sized_stack, 0
	.set _ZL13mul_mat_vec_qIN3c104HalfELi256ELi8E11block_iq2_sLi1EXadL_ZL18vec_dot_iq2_s_q8_1PKvPK10block_q8_1RKiEEEvS4_S4_PT_iii.has_recursion, 0
	.set _ZL13mul_mat_vec_qIN3c104HalfELi256ELi8E11block_iq2_sLi1EXadL_ZL18vec_dot_iq2_s_q8_1PKvPK10block_q8_1RKiEEEvS4_S4_PT_iii.has_indirect_call, 0
	.section	.AMDGPU.csdata,"",@progbits
; Kernel info:
; codeLenInByte = 2244
; TotalNumSgprs: 28
; NumVgprs: 64
; NumAgprs: 0
; TotalNumVgprs: 64
; ScratchSize: 0
; MemoryBound: 0
; FloatMode: 240
; IeeeMode: 1
; LDSByteSize: 0 bytes/workgroup (compile time only)
; SGPRBlocks: 3
; VGPRBlocks: 7
; NumSGPRsForWavesPerEU: 28
; NumVGPRsForWavesPerEU: 64
; AccumOffset: 64
; Occupancy: 8
; WaveLimiterHint : 0
; COMPUTE_PGM_RSRC2:SCRATCH_EN: 0
; COMPUTE_PGM_RSRC2:USER_SGPR: 2
; COMPUTE_PGM_RSRC2:TRAP_HANDLER: 0
; COMPUTE_PGM_RSRC2:TGID_X_EN: 1
; COMPUTE_PGM_RSRC2:TGID_Y_EN: 1
; COMPUTE_PGM_RSRC2:TGID_Z_EN: 0
; COMPUTE_PGM_RSRC2:TIDIG_COMP_CNT: 1
; COMPUTE_PGM_RSRC3_GFX90A:ACCUM_OFFSET: 15
; COMPUTE_PGM_RSRC3_GFX90A:TG_SPLIT: 0
	.section	.text._ZL13mul_mat_vec_qIN3c104HalfELi256ELi8E12block_iq4_xsLi1EXadL_ZL19vec_dot_iq4_xs_q8_1PKvPK10block_q8_1RKiEEEvS4_S4_PT_iii,"axG",@progbits,_ZL13mul_mat_vec_qIN3c104HalfELi256ELi8E12block_iq4_xsLi1EXadL_ZL19vec_dot_iq4_xs_q8_1PKvPK10block_q8_1RKiEEEvS4_S4_PT_iii,comdat
	.globl	_ZL13mul_mat_vec_qIN3c104HalfELi256ELi8E12block_iq4_xsLi1EXadL_ZL19vec_dot_iq4_xs_q8_1PKvPK10block_q8_1RKiEEEvS4_S4_PT_iii ; -- Begin function _ZL13mul_mat_vec_qIN3c104HalfELi256ELi8E12block_iq4_xsLi1EXadL_ZL19vec_dot_iq4_xs_q8_1PKvPK10block_q8_1RKiEEEvS4_S4_PT_iii
	.p2align	8
	.type	_ZL13mul_mat_vec_qIN3c104HalfELi256ELi8E12block_iq4_xsLi1EXadL_ZL19vec_dot_iq4_xs_q8_1PKvPK10block_q8_1RKiEEEvS4_S4_PT_iii,@function
_ZL13mul_mat_vec_qIN3c104HalfELi256ELi8E12block_iq4_xsLi1EXadL_ZL19vec_dot_iq4_xs_q8_1PKvPK10block_q8_1RKiEEEvS4_S4_PT_iii: ; @_ZL13mul_mat_vec_qIN3c104HalfELi256ELi8E12block_iq4_xsLi1EXadL_ZL19vec_dot_iq4_xs_q8_1PKvPK10block_q8_1RKiEEEvS4_S4_PT_iii
; %bb.0:
	s_load_dword s8, s[0:1], 0x34
	s_load_dwordx4 s[4:7], s[0:1], 0x18
	v_bfe_u32 v1, v0, 10, 10
	s_waitcnt lgkmcnt(0)
	s_lshr_b32 s7, s8, 16
	s_mul_i32 s2, s2, s7
	v_add_u32_e32 v18, s2, v1
	s_cmp_lt_u32 s3, s6
	v_cmp_gt_u32_e32 vcc, s5, v18
	s_cselect_b64 s[6:7], -1, 0
	s_and_b64 s[6:7], s[6:7], vcc
	s_and_saveexec_b64 s[8:9], s[6:7]
	s_cbranch_execz .LBB95_7
; %bb.1:
	s_load_dwordx2 s[6:7], s[0:1], 0x10
	s_ashr_i32 s2, s4, 31
	s_lshr_b32 s2, s2, 24
	s_add_i32 s2, s4, s2
	s_ashr_i32 s2, s2, 8
	v_bfe_u32 v20, v0, 3, 7
	v_and_b32_e32 v19, 0x3ff, v0
	v_cmp_gt_u32_e32 vcc, s2, v20
	v_mov_b32_e32 v21, 0
	s_and_saveexec_b64 s[8:9], vcc
	s_cbranch_execz .LBB95_5
; %bb.2:
	s_load_dwordx4 s[12:15], s[0:1], 0x0
	s_add_i32 s0, s4, 0x1ff
	s_ashr_i32 s1, s0, 31
	s_lshr_b32 s1, s1, 23
	s_add_i32 s0, s0, s1
	s_ashr_i32 s0, s0, 9
	v_and_b32_e32 v1, 7, v19
	s_mul_i32 s4, s3, s0
	s_waitcnt lgkmcnt(0)
	v_mad_u64_u32 v[8:9], s[0:1], v1, 36, s[14:15]
	v_lshlrev_b32_e32 v0, 2, v1
	v_mov_b32_e32 v11, 0
	v_lshlrev_b32_e32 v2, 2, v19
	v_lshlrev_b32_e32 v24, 1, v1
	;; [unrolled: 1-line block ×3, first 2 shown]
	v_mul_lo_u32 v22, v18, s2
	v_bfe_u32 v10, v19, 1, 2
	v_and_b32_e32 v23, 4, v2
	v_lshl_add_u32 v25, s4, 4, v1
	s_mov_b64 s[0:1], 0
	s_movk_i32 s4, 0x88
	v_mov_b64_e32 v[12:13], s[12:13]
	v_lshlrev_b32_e32 v14, 2, v0
	v_mov_b32_e32 v15, v11
	v_mov_b32_e32 v21, v11
.LBB95_3:                               ; =>This Inner Loop Header: Depth=1
	v_add_u32_e32 v0, v22, v20
	v_mad_i64_i32 v[26:27], s[12:13], v0, s4, v[12:13]
	v_lshl_add_u64 v[28:29], v[26:27], 0, v[14:15]
	v_mad_i64_i32 v[16:17], s[10:11], v25, 36, v[8:9]
	v_lshl_add_u64 v[30:31], v[26:27], 0, v[10:11]
	global_load_dwordx4 v[4:7], v[28:29], off offset:8
	global_load_ubyte v32, v[30:31], off offset:4
	global_load_dwordx4 v[0:3], v[16:17], off
	s_getpc_b64 s[10:11]
	s_add_u32 s10, s10, _ZL13kvalues_iq4nl@rel32@lo+4
	s_addc_u32 s11, s11, _ZL13kvalues_iq4nl@rel32@hi+12
	v_add_u32_e32 v20, 8, v20
	v_cmp_le_u32_e32 vcc, s2, v20
	v_add_u32_e32 v25, 64, v25
	s_or_b64 s[0:1], vcc, s[0:1]
	s_waitcnt vmcnt(2)
	v_bfe_u32 v28, v4, 24, 4
	v_and_b32_e32 v29, 15, v4
	v_bfe_u32 v30, v4, 8, 4
	v_bfe_u32 v31, v4, 16, 4
	v_bfe_u32 v33, v4, 20, 4
	v_lshrrev_b32_e32 v34, 28, v4
	v_bfe_u32 v35, v4, 4, 4
	v_bfe_u32 v36, v4, 12, 4
	v_bfe_u32 v37, v5, 24, 4
	v_and_b32_e32 v38, 15, v5
	v_bfe_u32 v39, v5, 8, 4
	v_bfe_u32 v40, v5, 16, 4
	v_bfe_u32 v41, v5, 20, 4
	v_lshrrev_b32_e32 v42, 28, v5
	v_bfe_u32 v43, v5, 4, 4
	v_bfe_u32 v44, v5, 12, 4
	v_bfe_u32 v45, v6, 24, 4
	v_and_b32_e32 v46, 15, v6
	v_bfe_u32 v47, v6, 8, 4
	v_bfe_u32 v48, v6, 16, 4
	v_bfe_u32 v49, v6, 20, 4
	v_lshrrev_b32_e32 v50, 28, v6
	v_bfe_u32 v51, v6, 4, 4
	v_bfe_u32 v52, v6, 12, 4
	v_bfe_u32 v53, v7, 24, 4
	v_bfe_u32 v55, v7, 8, 4
	;; [unrolled: 1-line block ×4, first 2 shown]
	v_lshrrev_b32_e32 v58, 28, v7
	v_and_b32_e32 v54, 15, v7
	v_bfe_u32 v59, v7, 4, 4
	v_bfe_u32 v60, v7, 12, 4
	global_load_dwordx4 v[4:7], v[16:17], off offset:16
	global_load_dword v61, v[26:27], off
	global_load_ubyte v62, v29, s[10:11]
	global_load_ubyte v63, v30, s[10:11]
                                        ; kill: killed $vgpr26_vgpr27
                                        ; kill: killed $vgpr29
                                        ; kill: killed $vgpr30
	s_nop 0
	global_load_ubyte v26, v31, s[10:11]
	global_load_ubyte v27, v35, s[10:11]
	global_load_ubyte v29, v36, s[10:11]
	global_load_ubyte v30, v33, s[10:11]
                                        ; kill: killed $vgpr33
                                        ; kill: killed $vgpr36
                                        ; kill: killed $vgpr31
                                        ; kill: killed $vgpr35
	s_nop 0
	global_load_ubyte v31, v34, s[10:11]
	global_load_ubyte v33, v28, s[10:11]
	;; [unrolled: 1-line block ×4, first 2 shown]
                                        ; kill: killed $vgpr34
                                        ; kill: killed $vgpr39
                                        ; kill: killed $vgpr38
                                        ; kill: killed $vgpr28
	s_nop 0
	global_load_ubyte v28, v40, s[10:11]
	global_load_ubyte v34, v43, s[10:11]
	global_load_ubyte v38, v44, s[10:11]
	global_load_ubyte v39, v41, s[10:11]
                                        ; kill: killed $vgpr41
                                        ; kill: killed $vgpr40
                                        ; kill: killed $vgpr44
                                        ; kill: killed $vgpr43
	s_nop 0
	global_load_ubyte v40, v42, s[10:11]
	global_load_ubyte v41, v37, s[10:11]
	;; [unrolled: 1-line block ×4, first 2 shown]
                                        ; kill: killed $vgpr37
                                        ; kill: killed $vgpr47
                                        ; kill: killed $vgpr46
                                        ; kill: killed $vgpr42
	s_nop 0
	global_load_ubyte v37, v48, s[10:11]
	global_load_ubyte v42, v51, s[10:11]
	global_load_ubyte v46, v52, s[10:11]
	global_load_ubyte v47, v49, s[10:11]
                                        ; kill: killed $vgpr49
                                        ; kill: killed $vgpr48
                                        ; kill: killed $vgpr52
                                        ; kill: killed $vgpr51
	s_nop 0
	global_load_ubyte v48, v50, s[10:11]
	global_load_ubyte v49, v45, s[10:11]
	;; [unrolled: 1-line block ×4, first 2 shown]
                                        ; kill: killed $vgpr45
                                        ; kill: killed $vgpr56
                                        ; kill: killed $vgpr55
                                        ; kill: killed $vgpr50
	s_nop 0
	global_load_ubyte v45, v60, s[10:11]
	global_load_ubyte v50, v57, s[10:11]
	;; [unrolled: 1-line block ×4, first 2 shown]
                                        ; kill: killed $vgpr53
                                        ; kill: killed $vgpr57
                                        ; kill: killed $vgpr58
                                        ; kill: killed $vgpr60
	s_nop 0
	global_load_ubyte v53, v54, s[10:11]
	global_load_ubyte v57, v59, s[10:11]
	global_load_dword v58, v[16:17], off offset:32
	v_mov_b32_e32 v16, 0
	v_mov_b32_e32 v17, 0
	s_waitcnt vmcnt(36)
	v_bfe_u32 v32, v32, v23, 4
	s_waitcnt vmcnt(35)
	v_cvt_f32_f16_e32 v0, v0
	s_waitcnt vmcnt(33)
	v_lshrrev_b32_sdwa v54, v24, v61 dst_sel:DWORD dst_unused:UNUSED_PAD src0_sel:DWORD src1_sel:WORD_1
	v_lshlrev_b32_e32 v54, 4, v54
	s_waitcnt vmcnt(31)
	v_lshl_or_b32 v59, v63, 8, v62
	v_and_or_b32 v32, v54, 48, v32
	v_subrev_u32_e32 v32, 32, v32
	v_cvt_f32_f16_e32 v54, v61
	s_waitcnt vmcnt(30)
	v_lshlrev_b32_e32 v26, 16, v26
	v_cvt_f32_i32_e32 v32, v32
	s_waitcnt vmcnt(28)
	v_lshl_or_b32 v27, v29, 8, v27
	s_waitcnt vmcnt(27)
	v_lshlrev_b32_e32 v30, 16, v30
	s_waitcnt vmcnt(26)
	v_lshlrev_b32_e32 v31, 24, v31
	;; [unrolled: 2-line block ×3, first 2 shown]
	v_or3_b32 v26, v59, v26, v33
	s_waitcnt vmcnt(23)
	v_lshl_or_b32 v35, v36, 8, v35
	v_or3_b32 v27, v27, v30, v31
	v_dot4c_i32_i8_e32 v16, v26, v1
	v_dot4c_i32_i8_e32 v17, v27, v5
	s_waitcnt vmcnt(22)
	v_lshlrev_b32_e32 v28, 16, v28
	s_waitcnt vmcnt(20)
	v_lshl_or_b32 v34, v38, 8, v34
	s_waitcnt vmcnt(19)
	v_lshlrev_b32_e32 v39, 16, v39
	s_waitcnt vmcnt(18)
	v_lshlrev_b32_e32 v36, 24, v40
	;; [unrolled: 2-line block ×3, first 2 shown]
	v_or3_b32 v28, v35, v28, v29
	s_waitcnt vmcnt(15)
	v_lshl_or_b32 v40, v44, 8, v43
	v_or3_b32 v29, v34, v39, v36
	v_dot4c_i32_i8_e32 v16, v28, v2
	v_dot4c_i32_i8_e32 v17, v29, v6
	v_mul_f32_e32 v2, v54, v32
	s_waitcnt vmcnt(14)
	v_lshlrev_b32_e32 v37, 16, v37
	v_mul_f32_e32 v0, v2, v0
	s_waitcnt vmcnt(12)
	v_lshl_or_b32 v42, v46, 8, v42
	s_waitcnt vmcnt(11)
	v_lshlrev_b32_e32 v43, 16, v47
	s_waitcnt vmcnt(10)
	v_lshlrev_b32_e32 v41, 24, v48
	;; [unrolled: 2-line block ×3, first 2 shown]
	v_or3_b32 v30, v40, v37, v38
	s_waitcnt vmcnt(7)
	v_lshlrev_b32_e32 v46, 16, v52
	v_or3_b32 v31, v42, v43, v41
	v_dot4c_i32_i8_e32 v16, v30, v3
	v_dot4c_i32_i8_e32 v17, v31, v7
	s_waitcnt vmcnt(5)
	v_lshlrev_b32_e32 v49, 16, v50
	s_waitcnt vmcnt(4)
	v_lshlrev_b32_e32 v48, 24, v55
	;; [unrolled: 2-line block ×3, first 2 shown]
	s_waitcnt vmcnt(2)
	v_lshl_or_b32 v47, v51, 8, v53
	s_waitcnt vmcnt(1)
	v_lshl_or_b32 v45, v45, 8, v57
	v_or3_b32 v33, v47, v46, v44
	v_or3_b32 v34, v45, v49, v48
	v_dot4c_i32_i8_e32 v16, v33, v4
	s_waitcnt vmcnt(0)
	v_dot4c_i32_i8_e32 v17, v34, v58
	s_nop 2
	v_add_u32_e32 v1, v17, v16
	v_cvt_f32_i32_e32 v1, v1
	v_fmac_f32_e32 v21, v0, v1
	s_andn2_b64 exec, exec, s[0:1]
	s_cbranch_execnz .LBB95_3
; %bb.4:
	s_or_b64 exec, exec, s[0:1]
.LBB95_5:
	s_or_b64 exec, exec, s[8:9]
	v_mbcnt_lo_u32_b32 v0, -1, 0
	v_mbcnt_hi_u32_b32 v1, -1, v0
	v_and_b32_e32 v0, 64, v1
	v_add_u32_e32 v2, 64, v0
	v_xor_b32_e32 v0, 32, v1
	v_cmp_lt_i32_e32 vcc, v0, v2
	v_xor_b32_e32 v3, 16, v1
	v_xor_b32_e32 v4, 8, v1
	v_cndmask_b32_e32 v0, v1, v0, vcc
	v_lshlrev_b32_e32 v0, 2, v0
	ds_bpermute_b32 v0, v0, v21
	v_cmp_lt_i32_e32 vcc, v3, v2
	s_waitcnt lgkmcnt(0)
	v_add_f32_e32 v0, v21, v0
	v_cndmask_b32_e32 v3, v1, v3, vcc
	v_lshlrev_b32_e32 v3, 2, v3
	ds_bpermute_b32 v3, v3, v0
	v_cmp_lt_i32_e32 vcc, v4, v2
	s_waitcnt lgkmcnt(0)
	v_add_f32_e32 v0, v0, v3
	v_cndmask_b32_e32 v3, v1, v4, vcc
	v_lshlrev_b32_e32 v3, 2, v3
	ds_bpermute_b32 v3, v3, v0
	v_xor_b32_e32 v4, 4, v1
	v_cmp_lt_i32_e32 vcc, v4, v2
	s_waitcnt lgkmcnt(0)
	v_add_f32_e32 v0, v0, v3
	v_cndmask_b32_e32 v3, v1, v4, vcc
	v_lshlrev_b32_e32 v3, 2, v3
	ds_bpermute_b32 v3, v3, v0
	v_xor_b32_e32 v4, 2, v1
	;; [unrolled: 7-line block ×3, first 2 shown]
	v_cmp_lt_i32_e32 vcc, v4, v2
	s_waitcnt lgkmcnt(0)
	v_add_f32_e32 v0, v0, v3
	v_cndmask_b32_e32 v1, v1, v4, vcc
	v_lshlrev_b32_e32 v1, 2, v1
	ds_bpermute_b32 v1, v1, v0
	v_cmp_eq_u32_e32 vcc, 0, v19
	s_and_b64 exec, exec, vcc
	s_cbranch_execz .LBB95_7
; %bb.6:
	s_waitcnt lgkmcnt(0)
	v_add_f32_e32 v0, v0, v1
	v_cvt_f16_f32_e32 v2, v0
	s_mul_i32 s0, s5, s3
	v_add_u32_e32 v0, s0, v18
	v_mov_b32_e32 v1, 0
	v_lshl_add_u64 v[0:1], v[0:1], 1, s[6:7]
	global_store_short v[0:1], v2, off
.LBB95_7:
	s_endpgm
	.section	.rodata,"a",@progbits
	.p2align	6, 0x0
	.amdhsa_kernel _ZL13mul_mat_vec_qIN3c104HalfELi256ELi8E12block_iq4_xsLi1EXadL_ZL19vec_dot_iq4_xs_q8_1PKvPK10block_q8_1RKiEEEvS4_S4_PT_iii
		.amdhsa_group_segment_fixed_size 0
		.amdhsa_private_segment_fixed_size 0
		.amdhsa_kernarg_size 296
		.amdhsa_user_sgpr_count 2
		.amdhsa_user_sgpr_dispatch_ptr 0
		.amdhsa_user_sgpr_queue_ptr 0
		.amdhsa_user_sgpr_kernarg_segment_ptr 1
		.amdhsa_user_sgpr_dispatch_id 0
		.amdhsa_user_sgpr_kernarg_preload_length 0
		.amdhsa_user_sgpr_kernarg_preload_offset 0
		.amdhsa_user_sgpr_private_segment_size 0
		.amdhsa_uses_dynamic_stack 0
		.amdhsa_enable_private_segment 0
		.amdhsa_system_sgpr_workgroup_id_x 1
		.amdhsa_system_sgpr_workgroup_id_y 1
		.amdhsa_system_sgpr_workgroup_id_z 0
		.amdhsa_system_sgpr_workgroup_info 0
		.amdhsa_system_vgpr_workitem_id 1
		.amdhsa_next_free_vgpr 64
		.amdhsa_next_free_sgpr 16
		.amdhsa_accum_offset 64
		.amdhsa_reserve_vcc 1
		.amdhsa_float_round_mode_32 0
		.amdhsa_float_round_mode_16_64 0
		.amdhsa_float_denorm_mode_32 3
		.amdhsa_float_denorm_mode_16_64 3
		.amdhsa_dx10_clamp 1
		.amdhsa_ieee_mode 1
		.amdhsa_fp16_overflow 0
		.amdhsa_tg_split 0
		.amdhsa_exception_fp_ieee_invalid_op 0
		.amdhsa_exception_fp_denorm_src 0
		.amdhsa_exception_fp_ieee_div_zero 0
		.amdhsa_exception_fp_ieee_overflow 0
		.amdhsa_exception_fp_ieee_underflow 0
		.amdhsa_exception_fp_ieee_inexact 0
		.amdhsa_exception_int_div_zero 0
	.end_amdhsa_kernel
	.section	.text._ZL13mul_mat_vec_qIN3c104HalfELi256ELi8E12block_iq4_xsLi1EXadL_ZL19vec_dot_iq4_xs_q8_1PKvPK10block_q8_1RKiEEEvS4_S4_PT_iii,"axG",@progbits,_ZL13mul_mat_vec_qIN3c104HalfELi256ELi8E12block_iq4_xsLi1EXadL_ZL19vec_dot_iq4_xs_q8_1PKvPK10block_q8_1RKiEEEvS4_S4_PT_iii,comdat
.Lfunc_end95:
	.size	_ZL13mul_mat_vec_qIN3c104HalfELi256ELi8E12block_iq4_xsLi1EXadL_ZL19vec_dot_iq4_xs_q8_1PKvPK10block_q8_1RKiEEEvS4_S4_PT_iii, .Lfunc_end95-_ZL13mul_mat_vec_qIN3c104HalfELi256ELi8E12block_iq4_xsLi1EXadL_ZL19vec_dot_iq4_xs_q8_1PKvPK10block_q8_1RKiEEEvS4_S4_PT_iii
                                        ; -- End function
	.set _ZL13mul_mat_vec_qIN3c104HalfELi256ELi8E12block_iq4_xsLi1EXadL_ZL19vec_dot_iq4_xs_q8_1PKvPK10block_q8_1RKiEEEvS4_S4_PT_iii.num_vgpr, 64
	.set _ZL13mul_mat_vec_qIN3c104HalfELi256ELi8E12block_iq4_xsLi1EXadL_ZL19vec_dot_iq4_xs_q8_1PKvPK10block_q8_1RKiEEEvS4_S4_PT_iii.num_agpr, 0
	.set _ZL13mul_mat_vec_qIN3c104HalfELi256ELi8E12block_iq4_xsLi1EXadL_ZL19vec_dot_iq4_xs_q8_1PKvPK10block_q8_1RKiEEEvS4_S4_PT_iii.numbered_sgpr, 16
	.set _ZL13mul_mat_vec_qIN3c104HalfELi256ELi8E12block_iq4_xsLi1EXadL_ZL19vec_dot_iq4_xs_q8_1PKvPK10block_q8_1RKiEEEvS4_S4_PT_iii.num_named_barrier, 0
	.set _ZL13mul_mat_vec_qIN3c104HalfELi256ELi8E12block_iq4_xsLi1EXadL_ZL19vec_dot_iq4_xs_q8_1PKvPK10block_q8_1RKiEEEvS4_S4_PT_iii.private_seg_size, 0
	.set _ZL13mul_mat_vec_qIN3c104HalfELi256ELi8E12block_iq4_xsLi1EXadL_ZL19vec_dot_iq4_xs_q8_1PKvPK10block_q8_1RKiEEEvS4_S4_PT_iii.uses_vcc, 1
	.set _ZL13mul_mat_vec_qIN3c104HalfELi256ELi8E12block_iq4_xsLi1EXadL_ZL19vec_dot_iq4_xs_q8_1PKvPK10block_q8_1RKiEEEvS4_S4_PT_iii.uses_flat_scratch, 0
	.set _ZL13mul_mat_vec_qIN3c104HalfELi256ELi8E12block_iq4_xsLi1EXadL_ZL19vec_dot_iq4_xs_q8_1PKvPK10block_q8_1RKiEEEvS4_S4_PT_iii.has_dyn_sized_stack, 0
	.set _ZL13mul_mat_vec_qIN3c104HalfELi256ELi8E12block_iq4_xsLi1EXadL_ZL19vec_dot_iq4_xs_q8_1PKvPK10block_q8_1RKiEEEvS4_S4_PT_iii.has_recursion, 0
	.set _ZL13mul_mat_vec_qIN3c104HalfELi256ELi8E12block_iq4_xsLi1EXadL_ZL19vec_dot_iq4_xs_q8_1PKvPK10block_q8_1RKiEEEvS4_S4_PT_iii.has_indirect_call, 0
	.section	.AMDGPU.csdata,"",@progbits
; Kernel info:
; codeLenInByte = 1572
; TotalNumSgprs: 22
; NumVgprs: 64
; NumAgprs: 0
; TotalNumVgprs: 64
; ScratchSize: 0
; MemoryBound: 0
; FloatMode: 240
; IeeeMode: 1
; LDSByteSize: 0 bytes/workgroup (compile time only)
; SGPRBlocks: 2
; VGPRBlocks: 7
; NumSGPRsForWavesPerEU: 22
; NumVGPRsForWavesPerEU: 64
; AccumOffset: 64
; Occupancy: 8
; WaveLimiterHint : 0
; COMPUTE_PGM_RSRC2:SCRATCH_EN: 0
; COMPUTE_PGM_RSRC2:USER_SGPR: 2
; COMPUTE_PGM_RSRC2:TRAP_HANDLER: 0
; COMPUTE_PGM_RSRC2:TGID_X_EN: 1
; COMPUTE_PGM_RSRC2:TGID_Y_EN: 1
; COMPUTE_PGM_RSRC2:TGID_Z_EN: 0
; COMPUTE_PGM_RSRC2:TIDIG_COMP_CNT: 1
; COMPUTE_PGM_RSRC3_GFX90A:ACCUM_OFFSET: 15
; COMPUTE_PGM_RSRC3_GFX90A:TG_SPLIT: 0
	.section	.text._ZL13mul_mat_vec_qIN3c104HalfELi256ELi8E11block_iq1_mLi1EXadL_ZL18vec_dot_iq1_m_q8_1PKvPK10block_q8_1RKiEEEvS4_S4_PT_iii,"axG",@progbits,_ZL13mul_mat_vec_qIN3c104HalfELi256ELi8E11block_iq1_mLi1EXadL_ZL18vec_dot_iq1_m_q8_1PKvPK10block_q8_1RKiEEEvS4_S4_PT_iii,comdat
	.globl	_ZL13mul_mat_vec_qIN3c104HalfELi256ELi8E11block_iq1_mLi1EXadL_ZL18vec_dot_iq1_m_q8_1PKvPK10block_q8_1RKiEEEvS4_S4_PT_iii ; -- Begin function _ZL13mul_mat_vec_qIN3c104HalfELi256ELi8E11block_iq1_mLi1EXadL_ZL18vec_dot_iq1_m_q8_1PKvPK10block_q8_1RKiEEEvS4_S4_PT_iii
	.p2align	8
	.type	_ZL13mul_mat_vec_qIN3c104HalfELi256ELi8E11block_iq1_mLi1EXadL_ZL18vec_dot_iq1_m_q8_1PKvPK10block_q8_1RKiEEEvS4_S4_PT_iii,@function
_ZL13mul_mat_vec_qIN3c104HalfELi256ELi8E11block_iq1_mLi1EXadL_ZL18vec_dot_iq1_m_q8_1PKvPK10block_q8_1RKiEEEvS4_S4_PT_iii: ; @_ZL13mul_mat_vec_qIN3c104HalfELi256ELi8E11block_iq1_mLi1EXadL_ZL18vec_dot_iq1_m_q8_1PKvPK10block_q8_1RKiEEEvS4_S4_PT_iii
; %bb.0:
	s_load_dword s8, s[0:1], 0x34
	s_load_dwordx4 s[4:7], s[0:1], 0x18
	v_bfe_u32 v1, v0, 10, 10
	s_waitcnt lgkmcnt(0)
	s_lshr_b32 s7, s8, 16
	s_mul_i32 s2, s2, s7
	v_add_u32_e32 v18, s2, v1
	s_cmp_lt_u32 s3, s6
	v_cmp_gt_u32_e32 vcc, s5, v18
	s_cselect_b64 s[6:7], -1, 0
	s_and_b64 s[6:7], s[6:7], vcc
	s_and_saveexec_b64 s[8:9], s[6:7]
	s_cbranch_execz .LBB96_7
; %bb.1:
	s_load_dwordx2 s[6:7], s[0:1], 0x10
	s_ashr_i32 s2, s4, 31
	s_lshr_b32 s2, s2, 24
	s_add_i32 s2, s4, s2
	s_ashr_i32 s14, s2, 8
	v_bfe_u32 v20, v0, 3, 7
	v_and_b32_e32 v19, 0x3ff, v0
	v_cmp_gt_u32_e32 vcc, s14, v20
	v_mov_b32_e32 v22, 0
	s_and_saveexec_b64 s[12:13], vcc
	s_cbranch_execz .LBB96_5
; %bb.2:
	s_load_dwordx4 s[8:11], s[0:1], 0x0
	s_add_i32 s0, s4, 0x1ff
	s_ashr_i32 s1, s0, 31
	s_lshr_b32 s1, s1, 23
	s_add_i32 s0, s0, s1
	s_ashr_i32 s0, s0, 9
	v_and_b32_e32 v0, 7, v19
	v_and_b32_e32 v1, 1, v19
	s_mul_i32 s2, s3, s0
	v_mov_b32_e32 v9, 0
	s_waitcnt lgkmcnt(0)
	v_mad_u64_u32 v[10:11], s[0:1], v0, 36, s[10:11]
	v_bfe_u32 v2, v19, 1, 2
	v_cmp_eq_u32_e32 vcc, 1, v1
	v_lshlrev_b32_e32 v1, 3, v20
	s_mov_b32 s10, 0xbf600000
	v_mul_lo_u32 v21, v18, s14
	v_lshlrev_b32_e32 v8, 1, v0
	v_cndmask_b32_e64 v23, 0, 6, vcc
	v_lshl_add_u32 v24, s2, 4, v1
	s_mov_b64 s[0:1], 0
	v_lshlrev_b32_e32 v12, 2, v0
	v_mov_b32_e32 v13, v9
	s_movk_i32 s4, 0x700
	s_mov_b32 s2, 0x3d000000
	v_mov_b64_e32 v[14:15], s[10:11]
	s_mov_b32 s15, 0x8000c
	s_movk_i32 s16, 0xf0
	v_lshlrev_b32_e32 v16, 1, v2
	v_mov_b32_e32 v17, v9
	v_mov_b32_e32 v25, 8
	;; [unrolled: 1-line block ×4, first 2 shown]
.LBB96_3:                               ; =>This Inner Loop Header: Depth=1
	v_add_u32_e32 v0, v21, v20
	v_mad_i64_i32 v[28:29], s[10:11], v0, 56, s[8:9]
	v_lshl_add_u64 v[0:1], v[28:29], 0, v[12:13]
	v_lshl_add_u64 v[2:3], v[28:29], 0, v[8:9]
	global_load_dword v27, v[0:1], off
	global_load_ushort v34, v[2:3], off offset:32
	v_mad_i64_i32 v[30:31], s[10:11], v24, 36, v[10:11]
	global_load_dwordx4 v[0:3], v[30:31], off
	global_load_dwordx4 v[4:7], v[30:31], off offset:16
	global_load_dword v38, v[30:31], off offset:32
	v_lshl_add_u64 v[30:31], v[28:29], 0, v[16:17]
	global_load_dwordx2 v[32:33], v[28:29], off offset:48
	global_load_ushort v35, v[30:31], off offset:48
	s_getpc_b64 s[10:11]
	s_add_u32 s10, s10, _ZL13iq1s_grid_gpu@rel32@lo+4
	s_addc_u32 s11, s11, _ZL13iq1s_grid_gpu@rel32@hi+12
	v_mov_b32_e32 v43, 0
	v_add_u32_e32 v20, 8, v20
	v_cmp_le_u32_e32 vcc, s14, v20
	v_add_u32_e32 v24, 64, v24
	s_or_b64 s[0:1], vcc, s[0:1]
	s_waitcnt vmcnt(6)
	v_and_b32_e32 v29, 0xff, v27
	s_waitcnt vmcnt(5)
	v_lshlrev_b32_e32 v30, 8, v34
	v_lshrrev_b32_e32 v28, 24, v27
	v_bfe_u32 v31, v27, 8, 8
	v_lshlrev_b32_e32 v36, 4, v34
	v_bfe_u32 v27, v27, 16, 8
	v_lshlrev_b32_sdwa v37, v25, v34 dst_sel:DWORD dst_unused:UNUSED_PAD src0_sel:DWORD src1_sel:BYTE_1
	v_lshlrev_b32_sdwa v39, v26, v34 dst_sel:DWORD dst_unused:UNUSED_PAD src0_sel:DWORD src1_sel:BYTE_1
	v_and_or_b32 v29, v30, s4, v29
	v_and_or_b32 v30, v36, s4, v31
	;; [unrolled: 1-line block ×4, first 2 shown]
	v_lshlrev_b32_e32 v29, 3, v29
	v_lshlrev_b32_e32 v30, 3, v30
	;; [unrolled: 1-line block ×4, first 2 shown]
	global_load_dword v39, v29, s[10:11]
	global_load_dword v40, v30, s[10:11]
	;; [unrolled: 1-line block ×4, first 2 shown]
	v_mov_b32_e32 v28, 0
	v_mov_b32_e32 v29, 0
	s_waitcnt vmcnt(8)
	v_dot4c_i32_i8_e32 v28, 0x1010101, v1
	v_dot4c_i32_i8_e32 v29, 0x1010101, v3
	;; [unrolled: 1-line block ×3, first 2 shown]
	s_waitcnt vmcnt(7)
	v_dot4c_i32_i8_e32 v29, 0x1010101, v4
	v_mov_b32_e32 v30, 0
	v_mov_b32_e32 v31, 0
	v_bfe_u32 v36, v34, 4, 4
	v_cvt_f32_i32_e32 v29, v29
	v_cvt_f32_i32_e32 v28, v28
	v_dot4c_i32_i8_e32 v30, 0x1010101, v5
	v_dot4c_i32_i8_e32 v31, 0x1010101, v7
	v_and_b32_sdwa v37, v34, v25 dst_sel:DWORD dst_unused:UNUSED_PAD src0_sel:BYTE_0 src1_sel:DWORD
	s_waitcnt vmcnt(5)
	v_pk_lshrrev_b16 v33, 4, v33
	v_and_b32_e32 v36, 8, v36
	v_dot4c_i32_i8_e32 v30, 0x1010101, v6
	v_dot4c_i32_i8_e32 v31, 0x1010101, v38
	v_pk_lshrrev_b16 v45, s15, v32
	v_cvt_f32_ubyte0_e32 v32, v37
	v_and_b32_e32 v46, 0xf0000f00, v33
	v_cvt_f32_ubyte0_e32 v33, v36
	v_lshrrev_b32_sdwa v44, v26, v34 dst_sel:DWORD dst_unused:UNUSED_PAD src0_sel:DWORD src1_sel:BYTE_1
	v_cvt_f32_i32_e32 v31, v31
	v_cvt_f32_i32_e32 v30, v30
	v_pk_fma_f32 v[32:33], v[32:33], s[2:3], v[14:15] op_sel_hi:[1,0,0] neg_lo:[1,0,0] neg_hi:[1,0,0]
	v_and_b32_sdwa v34, v34, v25 dst_sel:DWORD dst_unused:UNUSED_PAD src0_sel:BYTE_1 src1_sel:DWORD
	s_waitcnt vmcnt(4)
	v_lshrrev_b32_e32 v35, v23, v35
	v_and_b32_e32 v37, 8, v44
	v_pk_mul_f32 v[28:29], v[32:33], v[28:29]
	v_cvt_f32_ubyte0_e32 v34, v34
	v_lshlrev_b32_e32 v47, 1, v35
	v_lshrrev_b32_e32 v48, 2, v35
	v_cvt_f32_ubyte0_e32 v35, v37
	v_add_f32_e32 v28, 0, v28
	v_mov_b32_e32 v27, 0
	v_pk_fma_f32 v[34:35], v[34:35], s[2:3], v[14:15] op_sel_hi:[1,0,0] neg_lo:[1,0,0] neg_hi:[1,0,0]
	v_add_f32_e32 v28, v28, v29
	v_pk_mul_f32 v[30:31], v[34:35], v[30:31]
	v_lshrrev_b32_e32 v44, 16, v45
	v_bitop3_b16 v36, v44, v45, s16 bitop3:0xec
	v_lshrrev_b32_e32 v37, 16, v46
	v_bitop3_b16 v36, v36, v37, v46 bitop3:0xfe
	v_cvt_f32_f16_e32 v0, v0
	v_cvt_f32_f16_e32 v36, v36
	v_and_or_b32 v44, v47, 14, 1
	v_add_f32_e32 v30, 0, v30
	v_and_or_b32 v45, v48, 14, 1
	v_cvt_f32_ubyte0_e32 v37, v44
	v_cvt_f32_ubyte0_e32 v44, v45
	s_waitcnt vmcnt(3)
	v_and_b32_e32 v29, 0xf0f0f0f, v39
	v_lshrrev_b32_e32 v32, 4, v39
	s_waitcnt vmcnt(1)
	v_and_b32_e32 v35, 0xf0f0f0f, v41
	v_lshrrev_b32_e32 v39, 4, v41
	v_and_b32_e32 v32, 0xf0f0f0f, v32
	v_dot4c_i32_i8_e32 v27, v29, v1
	v_and_b32_e32 v33, 0xf0f0f0f, v40
	v_lshrrev_b32_e32 v34, 4, v40
	v_and_b32_e32 v29, 0xf0f0f0f, v39
	v_dot4c_i32_i8_e32 v43, v35, v5
	v_dot4c_i32_i8_e32 v27, v32, v2
	s_waitcnt vmcnt(0)
	v_and_b32_e32 v40, 0xf0f0f0f, v42
	v_lshrrev_b32_e32 v41, 4, v42
	v_and_b32_e32 v1, 0xf0f0f0f, v34
	v_dot4c_i32_i8_e32 v43, v29, v6
	v_dot4c_i32_i8_e32 v27, v33, v3
	v_and_b32_e32 v5, 0xf0f0f0f, v41
	v_dot4c_i32_i8_e32 v43, v40, v7
	v_dot4c_i32_i8_e32 v27, v1, v4
	v_dot4c_i32_i8_e32 v43, v5, v38
	v_add_f32_e32 v3, v30, v31
	s_nop 0
	v_cvt_f32_i32_e32 v1, v27
	v_cvt_f32_i32_e32 v2, v43
	v_add_f32_e32 v1, v28, v1
	v_add_f32_e32 v2, v3, v2
	v_pk_mul_f32 v[0:1], v[0:1], v[36:37]
	s_nop 0
	v_fma_f32 v1, v2, v44, v1
	v_fmac_f32_e32 v22, v0, v1
	s_andn2_b64 exec, exec, s[0:1]
	s_cbranch_execnz .LBB96_3
; %bb.4:
	s_or_b64 exec, exec, s[0:1]
.LBB96_5:
	s_or_b64 exec, exec, s[12:13]
	v_mbcnt_lo_u32_b32 v0, -1, 0
	v_mbcnt_hi_u32_b32 v1, -1, v0
	v_and_b32_e32 v0, 64, v1
	v_add_u32_e32 v2, 64, v0
	v_xor_b32_e32 v0, 32, v1
	v_cmp_lt_i32_e32 vcc, v0, v2
	v_xor_b32_e32 v3, 16, v1
	v_xor_b32_e32 v4, 8, v1
	v_cndmask_b32_e32 v0, v1, v0, vcc
	v_lshlrev_b32_e32 v0, 2, v0
	ds_bpermute_b32 v0, v0, v22
	v_cmp_lt_i32_e32 vcc, v3, v2
	s_waitcnt lgkmcnt(0)
	v_add_f32_e32 v0, v22, v0
	v_cndmask_b32_e32 v3, v1, v3, vcc
	v_lshlrev_b32_e32 v3, 2, v3
	ds_bpermute_b32 v3, v3, v0
	v_cmp_lt_i32_e32 vcc, v4, v2
	s_waitcnt lgkmcnt(0)
	v_add_f32_e32 v0, v0, v3
	v_cndmask_b32_e32 v3, v1, v4, vcc
	v_lshlrev_b32_e32 v3, 2, v3
	ds_bpermute_b32 v3, v3, v0
	v_xor_b32_e32 v4, 4, v1
	v_cmp_lt_i32_e32 vcc, v4, v2
	s_waitcnt lgkmcnt(0)
	v_add_f32_e32 v0, v0, v3
	v_cndmask_b32_e32 v3, v1, v4, vcc
	v_lshlrev_b32_e32 v3, 2, v3
	ds_bpermute_b32 v3, v3, v0
	v_xor_b32_e32 v4, 2, v1
	;; [unrolled: 7-line block ×3, first 2 shown]
	v_cmp_lt_i32_e32 vcc, v4, v2
	s_waitcnt lgkmcnt(0)
	v_add_f32_e32 v0, v0, v3
	v_cndmask_b32_e32 v1, v1, v4, vcc
	v_lshlrev_b32_e32 v1, 2, v1
	ds_bpermute_b32 v1, v1, v0
	v_cmp_eq_u32_e32 vcc, 0, v19
	s_and_b64 exec, exec, vcc
	s_cbranch_execz .LBB96_7
; %bb.6:
	s_waitcnt lgkmcnt(0)
	v_add_f32_e32 v0, v0, v1
	v_cvt_f16_f32_e32 v2, v0
	s_mul_i32 s0, s5, s3
	v_add_u32_e32 v0, s0, v18
	v_mov_b32_e32 v1, 0
	v_lshl_add_u64 v[0:1], v[0:1], 1, s[6:7]
	global_store_short v[0:1], v2, off
.LBB96_7:
	s_endpgm
	.section	.rodata,"a",@progbits
	.p2align	6, 0x0
	.amdhsa_kernel _ZL13mul_mat_vec_qIN3c104HalfELi256ELi8E11block_iq1_mLi1EXadL_ZL18vec_dot_iq1_m_q8_1PKvPK10block_q8_1RKiEEEvS4_S4_PT_iii
		.amdhsa_group_segment_fixed_size 0
		.amdhsa_private_segment_fixed_size 0
		.amdhsa_kernarg_size 296
		.amdhsa_user_sgpr_count 2
		.amdhsa_user_sgpr_dispatch_ptr 0
		.amdhsa_user_sgpr_queue_ptr 0
		.amdhsa_user_sgpr_kernarg_segment_ptr 1
		.amdhsa_user_sgpr_dispatch_id 0
		.amdhsa_user_sgpr_kernarg_preload_length 0
		.amdhsa_user_sgpr_kernarg_preload_offset 0
		.amdhsa_user_sgpr_private_segment_size 0
		.amdhsa_uses_dynamic_stack 0
		.amdhsa_enable_private_segment 0
		.amdhsa_system_sgpr_workgroup_id_x 1
		.amdhsa_system_sgpr_workgroup_id_y 1
		.amdhsa_system_sgpr_workgroup_id_z 0
		.amdhsa_system_sgpr_workgroup_info 0
		.amdhsa_system_vgpr_workitem_id 1
		.amdhsa_next_free_vgpr 49
		.amdhsa_next_free_sgpr 17
		.amdhsa_accum_offset 52
		.amdhsa_reserve_vcc 1
		.amdhsa_float_round_mode_32 0
		.amdhsa_float_round_mode_16_64 0
		.amdhsa_float_denorm_mode_32 3
		.amdhsa_float_denorm_mode_16_64 3
		.amdhsa_dx10_clamp 1
		.amdhsa_ieee_mode 1
		.amdhsa_fp16_overflow 0
		.amdhsa_tg_split 0
		.amdhsa_exception_fp_ieee_invalid_op 0
		.amdhsa_exception_fp_denorm_src 0
		.amdhsa_exception_fp_ieee_div_zero 0
		.amdhsa_exception_fp_ieee_overflow 0
		.amdhsa_exception_fp_ieee_underflow 0
		.amdhsa_exception_fp_ieee_inexact 0
		.amdhsa_exception_int_div_zero 0
	.end_amdhsa_kernel
	.section	.text._ZL13mul_mat_vec_qIN3c104HalfELi256ELi8E11block_iq1_mLi1EXadL_ZL18vec_dot_iq1_m_q8_1PKvPK10block_q8_1RKiEEEvS4_S4_PT_iii,"axG",@progbits,_ZL13mul_mat_vec_qIN3c104HalfELi256ELi8E11block_iq1_mLi1EXadL_ZL18vec_dot_iq1_m_q8_1PKvPK10block_q8_1RKiEEEvS4_S4_PT_iii,comdat
.Lfunc_end96:
	.size	_ZL13mul_mat_vec_qIN3c104HalfELi256ELi8E11block_iq1_mLi1EXadL_ZL18vec_dot_iq1_m_q8_1PKvPK10block_q8_1RKiEEEvS4_S4_PT_iii, .Lfunc_end96-_ZL13mul_mat_vec_qIN3c104HalfELi256ELi8E11block_iq1_mLi1EXadL_ZL18vec_dot_iq1_m_q8_1PKvPK10block_q8_1RKiEEEvS4_S4_PT_iii
                                        ; -- End function
	.set _ZL13mul_mat_vec_qIN3c104HalfELi256ELi8E11block_iq1_mLi1EXadL_ZL18vec_dot_iq1_m_q8_1PKvPK10block_q8_1RKiEEEvS4_S4_PT_iii.num_vgpr, 49
	.set _ZL13mul_mat_vec_qIN3c104HalfELi256ELi8E11block_iq1_mLi1EXadL_ZL18vec_dot_iq1_m_q8_1PKvPK10block_q8_1RKiEEEvS4_S4_PT_iii.num_agpr, 0
	.set _ZL13mul_mat_vec_qIN3c104HalfELi256ELi8E11block_iq1_mLi1EXadL_ZL18vec_dot_iq1_m_q8_1PKvPK10block_q8_1RKiEEEvS4_S4_PT_iii.numbered_sgpr, 17
	.set _ZL13mul_mat_vec_qIN3c104HalfELi256ELi8E11block_iq1_mLi1EXadL_ZL18vec_dot_iq1_m_q8_1PKvPK10block_q8_1RKiEEEvS4_S4_PT_iii.num_named_barrier, 0
	.set _ZL13mul_mat_vec_qIN3c104HalfELi256ELi8E11block_iq1_mLi1EXadL_ZL18vec_dot_iq1_m_q8_1PKvPK10block_q8_1RKiEEEvS4_S4_PT_iii.private_seg_size, 0
	.set _ZL13mul_mat_vec_qIN3c104HalfELi256ELi8E11block_iq1_mLi1EXadL_ZL18vec_dot_iq1_m_q8_1PKvPK10block_q8_1RKiEEEvS4_S4_PT_iii.uses_vcc, 1
	.set _ZL13mul_mat_vec_qIN3c104HalfELi256ELi8E11block_iq1_mLi1EXadL_ZL18vec_dot_iq1_m_q8_1PKvPK10block_q8_1RKiEEEvS4_S4_PT_iii.uses_flat_scratch, 0
	.set _ZL13mul_mat_vec_qIN3c104HalfELi256ELi8E11block_iq1_mLi1EXadL_ZL18vec_dot_iq1_m_q8_1PKvPK10block_q8_1RKiEEEvS4_S4_PT_iii.has_dyn_sized_stack, 0
	.set _ZL13mul_mat_vec_qIN3c104HalfELi256ELi8E11block_iq1_mLi1EXadL_ZL18vec_dot_iq1_m_q8_1PKvPK10block_q8_1RKiEEEvS4_S4_PT_iii.has_recursion, 0
	.set _ZL13mul_mat_vec_qIN3c104HalfELi256ELi8E11block_iq1_mLi1EXadL_ZL18vec_dot_iq1_m_q8_1PKvPK10block_q8_1RKiEEEvS4_S4_PT_iii.has_indirect_call, 0
	.section	.AMDGPU.csdata,"",@progbits
; Kernel info:
; codeLenInByte = 1332
; TotalNumSgprs: 23
; NumVgprs: 49
; NumAgprs: 0
; TotalNumVgprs: 49
; ScratchSize: 0
; MemoryBound: 0
; FloatMode: 240
; IeeeMode: 1
; LDSByteSize: 0 bytes/workgroup (compile time only)
; SGPRBlocks: 2
; VGPRBlocks: 6
; NumSGPRsForWavesPerEU: 23
; NumVGPRsForWavesPerEU: 49
; AccumOffset: 52
; Occupancy: 8
; WaveLimiterHint : 0
; COMPUTE_PGM_RSRC2:SCRATCH_EN: 0
; COMPUTE_PGM_RSRC2:USER_SGPR: 2
; COMPUTE_PGM_RSRC2:TRAP_HANDLER: 0
; COMPUTE_PGM_RSRC2:TGID_X_EN: 1
; COMPUTE_PGM_RSRC2:TGID_Y_EN: 1
; COMPUTE_PGM_RSRC2:TGID_Z_EN: 0
; COMPUTE_PGM_RSRC2:TIDIG_COMP_CNT: 1
; COMPUTE_PGM_RSRC3_GFX90A:ACCUM_OFFSET: 12
; COMPUTE_PGM_RSRC3_GFX90A:TG_SPLIT: 0
	.section	.text._ZL13quantize_q8_1IN3c108BFloat16EEvPKT_Pvii,"axG",@progbits,_ZL13quantize_q8_1IN3c108BFloat16EEvPKT_Pvii,comdat
	.globl	_ZL13quantize_q8_1IN3c108BFloat16EEvPKT_Pvii ; -- Begin function _ZL13quantize_q8_1IN3c108BFloat16EEvPKT_Pvii
	.p2align	8
	.type	_ZL13quantize_q8_1IN3c108BFloat16EEvPKT_Pvii,@function
_ZL13quantize_q8_1IN3c108BFloat16EEvPKT_Pvii: ; @_ZL13quantize_q8_1IN3c108BFloat16EEvPKT_Pvii
; %bb.0:
	s_load_dword s6, s[0:1], 0x24
	s_load_dwordx2 s[4:5], s[0:1], 0x10
	s_add_u32 s8, s0, 24
	s_addc_u32 s9, s1, 0
	v_and_b32_e32 v1, 0x3ff, v0
	s_waitcnt lgkmcnt(0)
	s_and_b32 s6, s6, 0xffff
	s_mul_i32 s2, s2, s6
	v_add_u32_e32 v2, s2, v1
	v_cmp_gt_u32_e32 vcc, s5, v2
	s_and_saveexec_b64 s[6:7], vcc
	s_cbranch_execz .LBB97_7
; %bb.1:
	s_load_dword s2, s[8:9], 0xc
	s_load_dwordx2 s[6:7], s[0:1], 0x8
	v_bfe_u32 v0, v0, 10, 10
	v_cmp_gt_u32_e32 vcc, s4, v2
	v_mov_b32_e32 v3, 0
	s_waitcnt lgkmcnt(0)
	s_lshr_b32 s2, s2, 16
	s_mul_i32 s3, s3, s2
	v_add_u32_e32 v0, s3, v0
	v_mov_b32_e32 v1, 0
	s_and_saveexec_b64 s[2:3], vcc
	s_cbranch_execz .LBB97_3
; %bb.2:
	s_load_dwordx2 s[0:1], s[0:1], 0x0
	v_mad_u64_u32 v[4:5], s[8:9], v0, s4, v[2:3]
	v_mov_b32_e32 v5, 0
	s_waitcnt lgkmcnt(0)
	v_lshl_add_u64 v[4:5], v[4:5], 1, s[0:1]
	global_load_ushort v1, v[4:5], off
	s_waitcnt vmcnt(0)
	v_lshlrev_b32_e32 v1, 16, v1
.LBB97_3:
	s_or_b64 exec, exec, s[2:3]
	v_mbcnt_lo_u32_b32 v5, -1, 0
	v_mbcnt_hi_u32_b32 v5, -1, v5
	v_and_b32_e32 v6, 0x60, v5
	v_add_u32_e32 v6, 32, v6
	v_xor_b32_e32 v7, 16, v5
	v_cmp_lt_i32_e32 vcc, v7, v6
	v_and_b32_e32 v4, 0x7fffffff, v1
	v_max_f32_e64 v8, |v1|, |v1|
	v_cndmask_b32_e32 v7, v5, v7, vcc
	v_lshlrev_b32_e32 v7, 2, v7
	ds_bpermute_b32 v4, v7, v4
	ds_bpermute_b32 v7, v7, v1
	s_mov_b32 s3, 0x42fe0000
	s_brev_b32 s2, -2
	s_waitcnt lgkmcnt(1)
	v_max_f32_e32 v4, v4, v4
	v_max_f32_e32 v4, v8, v4
	v_xor_b32_e32 v8, 8, v5
	v_cmp_lt_i32_e32 vcc, v8, v6
	s_waitcnt lgkmcnt(0)
	v_add_f32_e32 v7, v1, v7
	v_cndmask_b32_e32 v8, v5, v8, vcc
	v_lshlrev_b32_e32 v8, 2, v8
	ds_bpermute_b32 v9, v8, v4
	ds_bpermute_b32 v8, v8, v7
	s_waitcnt lgkmcnt(1)
	v_max_f32_e32 v9, v9, v9
	v_max_f32_e32 v4, v4, v9
	v_xor_b32_e32 v9, 4, v5
	v_cmp_lt_i32_e32 vcc, v9, v6
	s_waitcnt lgkmcnt(0)
	v_add_f32_e32 v7, v7, v8
	v_cndmask_b32_e32 v9, v5, v9, vcc
	v_lshlrev_b32_e32 v9, 2, v9
	ds_bpermute_b32 v10, v9, v4
	ds_bpermute_b32 v8, v9, v7
	;; [unrolled: 11-line block ×3, first 2 shown]
	s_waitcnt lgkmcnt(1)
	v_max_f32_e32 v9, v11, v11
	v_max_f32_e32 v4, v4, v9
	v_xor_b32_e32 v9, 1, v5
	v_cmp_lt_i32_e32 vcc, v9, v6
	s_nop 1
	v_cndmask_b32_e32 v5, v5, v9, vcc
	v_lshlrev_b32_e32 v5, 2, v5
	ds_bpermute_b32 v6, v5, v4
	s_waitcnt lgkmcnt(0)
	v_max_f32_e32 v6, v6, v6
	v_max_f32_e32 v9, v4, v6
	v_div_scale_f32 v6, s[0:1], s3, s3, v9
	v_rcp_f32_e32 v10, v6
	v_add_f32_e32 v4, v7, v8
	ds_bpermute_b32 v5, v5, v4
	v_fma_f32 v7, -v6, v10, 1.0
	v_fmac_f32_e32 v10, v7, v10
	v_div_scale_f32 v7, vcc, v9, s3, v9
	v_mul_f32_e32 v8, v7, v10
	v_fma_f32 v11, -v6, v8, v7
	v_fmac_f32_e32 v8, v11, v10
	v_fma_f32 v6, -v6, v8, v7
	v_div_fmas_f32 v6, v6, v10, v8
	v_div_fixup_f32 v6, v6, s3, v9
	v_cmp_neq_f32_e32 vcc, 0, v9
	s_and_saveexec_b64 s[0:1], vcc
	s_cbranch_execz .LBB97_5
; %bb.4:
	v_div_scale_f32 v3, s[8:9], v6, v6, v1
	v_rcp_f32_e32 v7, v3
	v_div_scale_f32 v8, vcc, v1, v6, v1
	v_fma_f32 v9, -v3, v7, 1.0
	v_fmac_f32_e32 v7, v9, v7
	v_mul_f32_e32 v9, v8, v7
	v_fma_f32 v10, -v3, v9, v8
	v_fmac_f32_e32 v9, v10, v7
	v_fma_f32 v3, -v3, v9, v8
	v_div_fmas_f32 v3, v3, v7, v9
	v_div_fixup_f32 v1, v3, v6, v1
	v_trunc_f32_e32 v3, v1
	v_sub_f32_e32 v7, v1, v3
	v_cmp_ge_f32_e64 s[8:9], |v7|, 0.5
	s_nop 1
	v_cndmask_b32_e64 v7, 0, 1.0, s[8:9]
	v_bfi_b32 v1, s2, v7, v1
	v_add_f32_e32 v1, v3, v1
	v_cvt_i32_f32_e32 v3, v1
.LBB97_5:
	s_or_b64 exec, exec, s[0:1]
	v_mad_u64_u32 v[0:1], s[0:1], v0, s5, v[2:3]
	v_ashrrev_i32_e32 v1, 31, v0
	v_lshrrev_b32_e32 v1, 27, v1
	v_add_u32_e32 v1, v0, v1
	v_ashrrev_i32_e32 v2, 5, v1
	v_and_b32_e32 v1, 0xffffffe0, v1
	v_sub_u32_e32 v8, v0, v1
	v_mad_i64_i32 v[0:1], s[0:1], v2, 36, s[6:7]
	v_ashrrev_i32_e32 v9, 31, v8
	v_lshl_add_u64 v[10:11], v[0:1], 0, v[8:9]
	v_cmp_gt_i32_e32 vcc, 1, v8
	global_store_byte v[10:11], v3, off offset:4
	s_and_b64 exec, exec, vcc
	s_cbranch_execz .LBB97_7
; %bb.6:
	s_waitcnt lgkmcnt(0)
	v_add_f32_e32 v2, v4, v5
	v_cvt_pk_f16_f32 v2, v6, v2
	global_store_dword v[0:1], v2, off
.LBB97_7:
	s_endpgm
	.section	.rodata,"a",@progbits
	.p2align	6, 0x0
	.amdhsa_kernel _ZL13quantize_q8_1IN3c108BFloat16EEvPKT_Pvii
		.amdhsa_group_segment_fixed_size 0
		.amdhsa_private_segment_fixed_size 0
		.amdhsa_kernarg_size 280
		.amdhsa_user_sgpr_count 2
		.amdhsa_user_sgpr_dispatch_ptr 0
		.amdhsa_user_sgpr_queue_ptr 0
		.amdhsa_user_sgpr_kernarg_segment_ptr 1
		.amdhsa_user_sgpr_dispatch_id 0
		.amdhsa_user_sgpr_kernarg_preload_length 0
		.amdhsa_user_sgpr_kernarg_preload_offset 0
		.amdhsa_user_sgpr_private_segment_size 0
		.amdhsa_uses_dynamic_stack 0
		.amdhsa_enable_private_segment 0
		.amdhsa_system_sgpr_workgroup_id_x 1
		.amdhsa_system_sgpr_workgroup_id_y 1
		.amdhsa_system_sgpr_workgroup_id_z 0
		.amdhsa_system_sgpr_workgroup_info 0
		.amdhsa_system_vgpr_workitem_id 1
		.amdhsa_next_free_vgpr 12
		.amdhsa_next_free_sgpr 10
		.amdhsa_accum_offset 12
		.amdhsa_reserve_vcc 1
		.amdhsa_float_round_mode_32 0
		.amdhsa_float_round_mode_16_64 0
		.amdhsa_float_denorm_mode_32 3
		.amdhsa_float_denorm_mode_16_64 3
		.amdhsa_dx10_clamp 1
		.amdhsa_ieee_mode 1
		.amdhsa_fp16_overflow 0
		.amdhsa_tg_split 0
		.amdhsa_exception_fp_ieee_invalid_op 0
		.amdhsa_exception_fp_denorm_src 0
		.amdhsa_exception_fp_ieee_div_zero 0
		.amdhsa_exception_fp_ieee_overflow 0
		.amdhsa_exception_fp_ieee_underflow 0
		.amdhsa_exception_fp_ieee_inexact 0
		.amdhsa_exception_int_div_zero 0
	.end_amdhsa_kernel
	.section	.text._ZL13quantize_q8_1IN3c108BFloat16EEvPKT_Pvii,"axG",@progbits,_ZL13quantize_q8_1IN3c108BFloat16EEvPKT_Pvii,comdat
.Lfunc_end97:
	.size	_ZL13quantize_q8_1IN3c108BFloat16EEvPKT_Pvii, .Lfunc_end97-_ZL13quantize_q8_1IN3c108BFloat16EEvPKT_Pvii
                                        ; -- End function
	.set _ZL13quantize_q8_1IN3c108BFloat16EEvPKT_Pvii.num_vgpr, 12
	.set _ZL13quantize_q8_1IN3c108BFloat16EEvPKT_Pvii.num_agpr, 0
	.set _ZL13quantize_q8_1IN3c108BFloat16EEvPKT_Pvii.numbered_sgpr, 10
	.set _ZL13quantize_q8_1IN3c108BFloat16EEvPKT_Pvii.num_named_barrier, 0
	.set _ZL13quantize_q8_1IN3c108BFloat16EEvPKT_Pvii.private_seg_size, 0
	.set _ZL13quantize_q8_1IN3c108BFloat16EEvPKT_Pvii.uses_vcc, 1
	.set _ZL13quantize_q8_1IN3c108BFloat16EEvPKT_Pvii.uses_flat_scratch, 0
	.set _ZL13quantize_q8_1IN3c108BFloat16EEvPKT_Pvii.has_dyn_sized_stack, 0
	.set _ZL13quantize_q8_1IN3c108BFloat16EEvPKT_Pvii.has_recursion, 0
	.set _ZL13quantize_q8_1IN3c108BFloat16EEvPKT_Pvii.has_indirect_call, 0
	.section	.AMDGPU.csdata,"",@progbits
; Kernel info:
; codeLenInByte = 792
; TotalNumSgprs: 16
; NumVgprs: 12
; NumAgprs: 0
; TotalNumVgprs: 12
; ScratchSize: 0
; MemoryBound: 0
; FloatMode: 240
; IeeeMode: 1
; LDSByteSize: 0 bytes/workgroup (compile time only)
; SGPRBlocks: 1
; VGPRBlocks: 1
; NumSGPRsForWavesPerEU: 16
; NumVGPRsForWavesPerEU: 12
; AccumOffset: 12
; Occupancy: 8
; WaveLimiterHint : 0
; COMPUTE_PGM_RSRC2:SCRATCH_EN: 0
; COMPUTE_PGM_RSRC2:USER_SGPR: 2
; COMPUTE_PGM_RSRC2:TRAP_HANDLER: 0
; COMPUTE_PGM_RSRC2:TGID_X_EN: 1
; COMPUTE_PGM_RSRC2:TGID_Y_EN: 1
; COMPUTE_PGM_RSRC2:TGID_Z_EN: 0
; COMPUTE_PGM_RSRC2:TIDIG_COMP_CNT: 1
; COMPUTE_PGM_RSRC3_GFX90A:ACCUM_OFFSET: 2
; COMPUTE_PGM_RSRC3_GFX90A:TG_SPLIT: 0
	.section	.text._ZL13mul_mat_vec_qIN3c108BFloat16ELi32ELi4E10block_q4_0Li2EXadL_ZL17vec_dot_q4_0_q8_1PKvPK10block_q8_1RKiEEEvS4_S4_PT_iii,"axG",@progbits,_ZL13mul_mat_vec_qIN3c108BFloat16ELi32ELi4E10block_q4_0Li2EXadL_ZL17vec_dot_q4_0_q8_1PKvPK10block_q8_1RKiEEEvS4_S4_PT_iii,comdat
	.globl	_ZL13mul_mat_vec_qIN3c108BFloat16ELi32ELi4E10block_q4_0Li2EXadL_ZL17vec_dot_q4_0_q8_1PKvPK10block_q8_1RKiEEEvS4_S4_PT_iii ; -- Begin function _ZL13mul_mat_vec_qIN3c108BFloat16ELi32ELi4E10block_q4_0Li2EXadL_ZL17vec_dot_q4_0_q8_1PKvPK10block_q8_1RKiEEEvS4_S4_PT_iii
	.p2align	8
	.type	_ZL13mul_mat_vec_qIN3c108BFloat16ELi32ELi4E10block_q4_0Li2EXadL_ZL17vec_dot_q4_0_q8_1PKvPK10block_q8_1RKiEEEvS4_S4_PT_iii,@function
_ZL13mul_mat_vec_qIN3c108BFloat16ELi32ELi4E10block_q4_0Li2EXadL_ZL17vec_dot_q4_0_q8_1PKvPK10block_q8_1RKiEEEvS4_S4_PT_iii: ; @_ZL13mul_mat_vec_qIN3c108BFloat16ELi32ELi4E10block_q4_0Li2EXadL_ZL17vec_dot_q4_0_q8_1PKvPK10block_q8_1RKiEEEvS4_S4_PT_iii
; %bb.0:
	s_load_dword s8, s[0:1], 0x34
	s_load_dwordx4 s[4:7], s[0:1], 0x18
	v_bfe_u32 v1, v0, 10, 10
	s_waitcnt lgkmcnt(0)
	s_lshr_b32 s7, s8, 16
	s_mul_i32 s2, s2, s7
	v_add_u32_e32 v4, s2, v1
	s_cmp_lt_u32 s3, s6
	v_cmp_gt_u32_e32 vcc, s5, v4
	s_cselect_b64 s[6:7], -1, 0
	s_and_b64 s[6:7], s[6:7], vcc
	s_and_saveexec_b64 s[8:9], s[6:7]
	s_cbranch_execz .LBB98_7
; %bb.1:
	s_load_dwordx2 s[6:7], s[0:1], 0x10
	s_ashr_i32 s2, s4, 31
	s_lshr_b32 s2, s2, 27
	s_add_i32 s2, s4, s2
	s_ashr_i32 s2, s2, 5
	v_bfe_u32 v7, v0, 1, 9
	v_and_b32_e32 v5, 0x3ff, v0
	v_cmp_gt_u32_e32 vcc, s2, v7
	v_mov_b32_e32 v6, 0
	s_and_saveexec_b64 s[12:13], vcc
	s_cbranch_execz .LBB98_5
; %bb.2:
	s_load_dwordx4 s[8:11], s[0:1], 0x0
	s_add_i32 s0, s4, 0x1ff
	s_ashr_i32 s1, s0, 31
	s_lshr_b32 s1, s1, 23
	s_add_i32 s0, s0, s1
	s_ashr_i32 s0, s0, 9
	s_mul_i32 s0, s3, s0
	v_lshlrev_b32_e32 v0, 3, v5
	v_mov_b32_e32 v1, 0
	v_mul_lo_u32 v8, v4, s2
	s_lshl_b32 s4, s0, 4
	v_and_b32_e32 v0, 8, v0
	s_mov_b64 s[0:1], 0
	v_mov_b32_e32 v3, 4.0
	v_mov_b32_e32 v6, v1
.LBB98_3:                               ; =>This Inner Loop Header: Depth=1
	v_add_u32_e32 v2, v8, v7
	v_add_u32_e32 v9, s4, v7
	s_waitcnt lgkmcnt(0)
	v_mad_i64_i32 v[10:11], s[14:15], v2, 18, s[8:9]
	v_mad_i64_i32 v[12:13], s[14:15], v9, 36, s[10:11]
	v_lshl_add_u64 v[14:15], v[10:11], 0, v[0:1]
	v_lshl_add_u64 v[16:17], v[12:13], 0, v[0:1]
	global_load_dwordx2 v[18:19], v[14:15], off offset:2
	global_load_dwordx2 v[20:21], v[16:17], off offset:4
	;; [unrolled: 1-line block ×3, first 2 shown]
	global_load_dword v2, v[12:13], off
	global_load_ushort v9, v[10:11], off
	v_mov_b32_e32 v12, 0
	v_add_u32_e32 v7, 32, v7
	v_cmp_le_u32_e32 vcc, s2, v7
	s_or_b64 s[0:1], vcc, s[0:1]
	s_waitcnt vmcnt(4)
	v_lshrrev_b32_e32 v13, 4, v18
	v_and_b32_e32 v13, 0xf0f0f0f, v13
	v_and_b32_e32 v14, 0xf0f0f0f, v19
	s_waitcnt vmcnt(1)
	v_cvt_f32_f16_e32 v10, v2
	v_cvt_f32_f16_sdwa v11, v2 dst_sel:DWORD dst_unused:UNUSED_PAD src0_sel:WORD_1
	v_and_b32_e32 v2, 0xf0f0f0f, v18
	v_dot4c_i32_i8_e32 v12, v2, v20
	v_lshrrev_b32_e32 v15, 4, v19
	v_dot4c_i32_i8_e32 v12, v13, v22
	v_and_b32_e32 v2, 0xf0f0f0f, v15
	v_dot4c_i32_i8_e32 v12, v14, v21
	v_dot4c_i32_i8_e32 v12, v2, v23
	s_nop 2
	v_cvt_f32_i32_e32 v2, v12
	v_pk_mul_f32 v[10:11], v[2:3], v[10:11]
	s_nop 0
	v_sub_f32_e32 v2, v10, v11
	s_waitcnt vmcnt(0)
	v_fma_mix_f32 v6, v2, v9, v6 op_sel_hi:[0,1,0]
	s_andn2_b64 exec, exec, s[0:1]
	s_cbranch_execnz .LBB98_3
; %bb.4:
	s_or_b64 exec, exec, s[0:1]
.LBB98_5:
	s_or_b64 exec, exec, s[12:13]
	v_mbcnt_lo_u32_b32 v0, -1, 0
	v_mbcnt_hi_u32_b32 v1, -1, v0
	v_and_b32_e32 v0, 64, v1
	v_add_u32_e32 v2, 64, v0
	v_xor_b32_e32 v0, 32, v1
	v_cmp_lt_i32_e32 vcc, v0, v2
	v_xor_b32_e32 v3, 16, v1
	s_nop 0
	v_cndmask_b32_e32 v0, v1, v0, vcc
	v_lshlrev_b32_e32 v0, 2, v0
	ds_bpermute_b32 v0, v0, v6
	v_cmp_lt_i32_e32 vcc, v3, v2
	s_waitcnt lgkmcnt(0)
	v_add_f32_e32 v0, v6, v0
	v_cndmask_b32_e32 v3, v1, v3, vcc
	v_lshlrev_b32_e32 v3, 2, v3
	ds_bpermute_b32 v3, v3, v0
	v_xor_b32_e32 v6, 8, v1
	v_cmp_lt_i32_e32 vcc, v6, v2
	s_waitcnt lgkmcnt(0)
	v_add_f32_e32 v0, v0, v3
	v_cndmask_b32_e32 v3, v1, v6, vcc
	v_lshlrev_b32_e32 v3, 2, v3
	ds_bpermute_b32 v3, v3, v0
	v_xor_b32_e32 v6, 4, v1
	;; [unrolled: 7-line block ×4, first 2 shown]
	v_cmp_lt_i32_e32 vcc, v6, v2
	s_waitcnt lgkmcnt(0)
	v_add_f32_e32 v0, v0, v3
	v_cndmask_b32_e32 v1, v1, v6, vcc
	v_lshlrev_b32_e32 v1, 2, v1
	ds_bpermute_b32 v1, v1, v0
	v_cmp_eq_u32_e32 vcc, 0, v5
	s_and_b64 exec, exec, vcc
	s_cbranch_execz .LBB98_7
; %bb.6:
	s_waitcnt lgkmcnt(0)
	v_add_f32_e32 v0, v0, v1
	v_bfe_u32 v1, v0, 16, 1
	s_movk_i32 s0, 0x7fff
	v_add3_u32 v1, v0, v1, s0
	v_cmp_o_f32_e32 vcc, v0, v0
	v_mov_b32_e32 v0, 0x7fc0
	s_mul_i32 s0, s5, s3
	v_cndmask_b32_sdwa v2, v0, v1, vcc dst_sel:DWORD dst_unused:UNUSED_PAD src0_sel:DWORD src1_sel:WORD_1
	v_add_u32_e32 v0, s0, v4
	v_mov_b32_e32 v1, 0
	v_lshl_add_u64 v[0:1], v[0:1], 1, s[6:7]
	global_store_short v[0:1], v2, off
.LBB98_7:
	s_endpgm
	.section	.rodata,"a",@progbits
	.p2align	6, 0x0
	.amdhsa_kernel _ZL13mul_mat_vec_qIN3c108BFloat16ELi32ELi4E10block_q4_0Li2EXadL_ZL17vec_dot_q4_0_q8_1PKvPK10block_q8_1RKiEEEvS4_S4_PT_iii
		.amdhsa_group_segment_fixed_size 0
		.amdhsa_private_segment_fixed_size 0
		.amdhsa_kernarg_size 296
		.amdhsa_user_sgpr_count 2
		.amdhsa_user_sgpr_dispatch_ptr 0
		.amdhsa_user_sgpr_queue_ptr 0
		.amdhsa_user_sgpr_kernarg_segment_ptr 1
		.amdhsa_user_sgpr_dispatch_id 0
		.amdhsa_user_sgpr_kernarg_preload_length 0
		.amdhsa_user_sgpr_kernarg_preload_offset 0
		.amdhsa_user_sgpr_private_segment_size 0
		.amdhsa_uses_dynamic_stack 0
		.amdhsa_enable_private_segment 0
		.amdhsa_system_sgpr_workgroup_id_x 1
		.amdhsa_system_sgpr_workgroup_id_y 1
		.amdhsa_system_sgpr_workgroup_id_z 0
		.amdhsa_system_sgpr_workgroup_info 0
		.amdhsa_system_vgpr_workitem_id 1
		.amdhsa_next_free_vgpr 24
		.amdhsa_next_free_sgpr 16
		.amdhsa_accum_offset 24
		.amdhsa_reserve_vcc 1
		.amdhsa_float_round_mode_32 0
		.amdhsa_float_round_mode_16_64 0
		.amdhsa_float_denorm_mode_32 3
		.amdhsa_float_denorm_mode_16_64 3
		.amdhsa_dx10_clamp 1
		.amdhsa_ieee_mode 1
		.amdhsa_fp16_overflow 0
		.amdhsa_tg_split 0
		.amdhsa_exception_fp_ieee_invalid_op 0
		.amdhsa_exception_fp_denorm_src 0
		.amdhsa_exception_fp_ieee_div_zero 0
		.amdhsa_exception_fp_ieee_overflow 0
		.amdhsa_exception_fp_ieee_underflow 0
		.amdhsa_exception_fp_ieee_inexact 0
		.amdhsa_exception_int_div_zero 0
	.end_amdhsa_kernel
	.section	.text._ZL13mul_mat_vec_qIN3c108BFloat16ELi32ELi4E10block_q4_0Li2EXadL_ZL17vec_dot_q4_0_q8_1PKvPK10block_q8_1RKiEEEvS4_S4_PT_iii,"axG",@progbits,_ZL13mul_mat_vec_qIN3c108BFloat16ELi32ELi4E10block_q4_0Li2EXadL_ZL17vec_dot_q4_0_q8_1PKvPK10block_q8_1RKiEEEvS4_S4_PT_iii,comdat
.Lfunc_end98:
	.size	_ZL13mul_mat_vec_qIN3c108BFloat16ELi32ELi4E10block_q4_0Li2EXadL_ZL17vec_dot_q4_0_q8_1PKvPK10block_q8_1RKiEEEvS4_S4_PT_iii, .Lfunc_end98-_ZL13mul_mat_vec_qIN3c108BFloat16ELi32ELi4E10block_q4_0Li2EXadL_ZL17vec_dot_q4_0_q8_1PKvPK10block_q8_1RKiEEEvS4_S4_PT_iii
                                        ; -- End function
	.set _ZL13mul_mat_vec_qIN3c108BFloat16ELi32ELi4E10block_q4_0Li2EXadL_ZL17vec_dot_q4_0_q8_1PKvPK10block_q8_1RKiEEEvS4_S4_PT_iii.num_vgpr, 24
	.set _ZL13mul_mat_vec_qIN3c108BFloat16ELi32ELi4E10block_q4_0Li2EXadL_ZL17vec_dot_q4_0_q8_1PKvPK10block_q8_1RKiEEEvS4_S4_PT_iii.num_agpr, 0
	.set _ZL13mul_mat_vec_qIN3c108BFloat16ELi32ELi4E10block_q4_0Li2EXadL_ZL17vec_dot_q4_0_q8_1PKvPK10block_q8_1RKiEEEvS4_S4_PT_iii.numbered_sgpr, 16
	.set _ZL13mul_mat_vec_qIN3c108BFloat16ELi32ELi4E10block_q4_0Li2EXadL_ZL17vec_dot_q4_0_q8_1PKvPK10block_q8_1RKiEEEvS4_S4_PT_iii.num_named_barrier, 0
	.set _ZL13mul_mat_vec_qIN3c108BFloat16ELi32ELi4E10block_q4_0Li2EXadL_ZL17vec_dot_q4_0_q8_1PKvPK10block_q8_1RKiEEEvS4_S4_PT_iii.private_seg_size, 0
	.set _ZL13mul_mat_vec_qIN3c108BFloat16ELi32ELi4E10block_q4_0Li2EXadL_ZL17vec_dot_q4_0_q8_1PKvPK10block_q8_1RKiEEEvS4_S4_PT_iii.uses_vcc, 1
	.set _ZL13mul_mat_vec_qIN3c108BFloat16ELi32ELi4E10block_q4_0Li2EXadL_ZL17vec_dot_q4_0_q8_1PKvPK10block_q8_1RKiEEEvS4_S4_PT_iii.uses_flat_scratch, 0
	.set _ZL13mul_mat_vec_qIN3c108BFloat16ELi32ELi4E10block_q4_0Li2EXadL_ZL17vec_dot_q4_0_q8_1PKvPK10block_q8_1RKiEEEvS4_S4_PT_iii.has_dyn_sized_stack, 0
	.set _ZL13mul_mat_vec_qIN3c108BFloat16ELi32ELi4E10block_q4_0Li2EXadL_ZL17vec_dot_q4_0_q8_1PKvPK10block_q8_1RKiEEEvS4_S4_PT_iii.has_recursion, 0
	.set _ZL13mul_mat_vec_qIN3c108BFloat16ELi32ELi4E10block_q4_0Li2EXadL_ZL17vec_dot_q4_0_q8_1PKvPK10block_q8_1RKiEEEvS4_S4_PT_iii.has_indirect_call, 0
	.section	.AMDGPU.csdata,"",@progbits
; Kernel info:
; codeLenInByte = 724
; TotalNumSgprs: 22
; NumVgprs: 24
; NumAgprs: 0
; TotalNumVgprs: 24
; ScratchSize: 0
; MemoryBound: 0
; FloatMode: 240
; IeeeMode: 1
; LDSByteSize: 0 bytes/workgroup (compile time only)
; SGPRBlocks: 2
; VGPRBlocks: 2
; NumSGPRsForWavesPerEU: 22
; NumVGPRsForWavesPerEU: 24
; AccumOffset: 24
; Occupancy: 8
; WaveLimiterHint : 0
; COMPUTE_PGM_RSRC2:SCRATCH_EN: 0
; COMPUTE_PGM_RSRC2:USER_SGPR: 2
; COMPUTE_PGM_RSRC2:TRAP_HANDLER: 0
; COMPUTE_PGM_RSRC2:TGID_X_EN: 1
; COMPUTE_PGM_RSRC2:TGID_Y_EN: 1
; COMPUTE_PGM_RSRC2:TGID_Z_EN: 0
; COMPUTE_PGM_RSRC2:TIDIG_COMP_CNT: 1
; COMPUTE_PGM_RSRC3_GFX90A:ACCUM_OFFSET: 5
; COMPUTE_PGM_RSRC3_GFX90A:TG_SPLIT: 0
	.section	.text._ZL13mul_mat_vec_qIN3c108BFloat16ELi32ELi4E10block_q4_1Li2EXadL_ZL17vec_dot_q4_1_q8_1PKvPK10block_q8_1RKiEEEvS4_S4_PT_iii,"axG",@progbits,_ZL13mul_mat_vec_qIN3c108BFloat16ELi32ELi4E10block_q4_1Li2EXadL_ZL17vec_dot_q4_1_q8_1PKvPK10block_q8_1RKiEEEvS4_S4_PT_iii,comdat
	.globl	_ZL13mul_mat_vec_qIN3c108BFloat16ELi32ELi4E10block_q4_1Li2EXadL_ZL17vec_dot_q4_1_q8_1PKvPK10block_q8_1RKiEEEvS4_S4_PT_iii ; -- Begin function _ZL13mul_mat_vec_qIN3c108BFloat16ELi32ELi4E10block_q4_1Li2EXadL_ZL17vec_dot_q4_1_q8_1PKvPK10block_q8_1RKiEEEvS4_S4_PT_iii
	.p2align	8
	.type	_ZL13mul_mat_vec_qIN3c108BFloat16ELi32ELi4E10block_q4_1Li2EXadL_ZL17vec_dot_q4_1_q8_1PKvPK10block_q8_1RKiEEEvS4_S4_PT_iii,@function
_ZL13mul_mat_vec_qIN3c108BFloat16ELi32ELi4E10block_q4_1Li2EXadL_ZL17vec_dot_q4_1_q8_1PKvPK10block_q8_1RKiEEEvS4_S4_PT_iii: ; @_ZL13mul_mat_vec_qIN3c108BFloat16ELi32ELi4E10block_q4_1Li2EXadL_ZL17vec_dot_q4_1_q8_1PKvPK10block_q8_1RKiEEEvS4_S4_PT_iii
; %bb.0:
	s_load_dword s8, s[0:1], 0x34
	s_load_dwordx4 s[4:7], s[0:1], 0x18
	v_bfe_u32 v1, v0, 10, 10
	s_waitcnt lgkmcnt(0)
	s_lshr_b32 s7, s8, 16
	s_mul_i32 s2, s2, s7
	v_add_u32_e32 v4, s2, v1
	s_cmp_lt_u32 s3, s6
	v_cmp_gt_u32_e32 vcc, s5, v4
	s_cselect_b64 s[6:7], -1, 0
	s_and_b64 s[6:7], s[6:7], vcc
	s_and_saveexec_b64 s[8:9], s[6:7]
	s_cbranch_execz .LBB99_7
; %bb.1:
	s_load_dwordx2 s[6:7], s[0:1], 0x10
	s_ashr_i32 s2, s4, 31
	s_lshr_b32 s2, s2, 27
	s_add_i32 s2, s4, s2
	s_ashr_i32 s2, s2, 5
	v_bfe_u32 v7, v0, 1, 9
	v_and_b32_e32 v5, 0x3ff, v0
	v_cmp_gt_u32_e32 vcc, s2, v7
	v_mov_b32_e32 v6, 0
	s_and_saveexec_b64 s[12:13], vcc
	s_cbranch_execz .LBB99_5
; %bb.2:
	s_load_dwordx4 s[8:11], s[0:1], 0x0
	s_add_i32 s0, s4, 0x1ff
	s_ashr_i32 s1, s0, 31
	s_lshr_b32 s1, s1, 23
	s_add_i32 s0, s0, s1
	s_ashr_i32 s0, s0, 9
	s_mul_i32 s0, s3, s0
	v_lshlrev_b32_e32 v0, 3, v5
	v_mov_b32_e32 v1, 0
	v_mul_lo_u32 v8, v4, s2
	s_lshl_b32 s4, s0, 4
	v_and_b32_e32 v0, 8, v0
	s_mov_b64 s[0:1], 0
	v_mov_b32_e32 v3, 0.5
	v_mov_b32_e32 v6, v1
.LBB99_3:                               ; =>This Inner Loop Header: Depth=1
	v_add_u32_e32 v2, v8, v7
	v_add_u32_e32 v9, s4, v7
	s_waitcnt lgkmcnt(0)
	v_mad_i64_i32 v[10:11], s[14:15], v2, 20, s[8:9]
	v_mad_i64_i32 v[12:13], s[14:15], v9, 36, s[10:11]
	v_lshl_add_u64 v[14:15], v[10:11], 0, v[0:1]
	v_lshl_add_u64 v[16:17], v[12:13], 0, v[0:1]
	global_load_dword v2, v[10:11], off
	global_load_dwordx2 v[18:19], v[14:15], off offset:4
	global_load_dwordx2 v[20:21], v[16:17], off offset:4
	;; [unrolled: 1-line block ×3, first 2 shown]
	global_load_dword v9, v[12:13], off
	v_mov_b32_e32 v12, 0
	v_add_u32_e32 v7, 32, v7
	v_cmp_le_u32_e32 vcc, s2, v7
	s_or_b64 s[0:1], vcc, s[0:1]
	s_waitcnt vmcnt(3)
	v_lshrrev_b32_e32 v13, 4, v18
	v_and_b32_e32 v14, 0xf0f0f0f, v19
	v_lshrrev_b32_e32 v15, 4, v19
	s_waitcnt vmcnt(0)
	v_pk_mul_f16 v2, v2, v9
	v_and_b32_e32 v9, 0xf0f0f0f, v18
	v_cvt_f32_f16_e32 v10, v2
	v_cvt_f32_f16_sdwa v11, v2 dst_sel:DWORD dst_unused:UNUSED_PAD src0_sel:WORD_1
	v_and_b32_e32 v2, 0xf0f0f0f, v13
	v_dot4c_i32_i8_e32 v12, v9, v20
	v_dot4c_i32_i8_e32 v12, v2, v22
	v_and_b32_e32 v9, 0xf0f0f0f, v15
	v_dot4c_i32_i8_e32 v12, v14, v21
	v_dot4c_i32_i8_e32 v12, v9, v23
	s_nop 2
	v_cvt_f32_i32_e32 v2, v12
	v_pk_mul_f32 v[10:11], v[2:3], v[10:11]
	s_nop 0
	v_add_f32_e32 v2, v11, v10
	v_add_f32_e32 v6, v6, v2
	s_andn2_b64 exec, exec, s[0:1]
	s_cbranch_execnz .LBB99_3
; %bb.4:
	s_or_b64 exec, exec, s[0:1]
.LBB99_5:
	s_or_b64 exec, exec, s[12:13]
	v_mbcnt_lo_u32_b32 v0, -1, 0
	v_mbcnt_hi_u32_b32 v1, -1, v0
	v_and_b32_e32 v0, 64, v1
	v_add_u32_e32 v2, 64, v0
	v_xor_b32_e32 v0, 32, v1
	v_cmp_lt_i32_e32 vcc, v0, v2
	v_xor_b32_e32 v3, 16, v1
	s_nop 0
	v_cndmask_b32_e32 v0, v1, v0, vcc
	v_lshlrev_b32_e32 v0, 2, v0
	ds_bpermute_b32 v0, v0, v6
	v_cmp_lt_i32_e32 vcc, v3, v2
	s_waitcnt lgkmcnt(0)
	v_add_f32_e32 v0, v6, v0
	v_cndmask_b32_e32 v3, v1, v3, vcc
	v_lshlrev_b32_e32 v3, 2, v3
	ds_bpermute_b32 v3, v3, v0
	v_xor_b32_e32 v6, 8, v1
	v_cmp_lt_i32_e32 vcc, v6, v2
	s_waitcnt lgkmcnt(0)
	v_add_f32_e32 v0, v0, v3
	v_cndmask_b32_e32 v3, v1, v6, vcc
	v_lshlrev_b32_e32 v3, 2, v3
	ds_bpermute_b32 v3, v3, v0
	v_xor_b32_e32 v6, 4, v1
	;; [unrolled: 7-line block ×4, first 2 shown]
	v_cmp_lt_i32_e32 vcc, v6, v2
	s_waitcnt lgkmcnt(0)
	v_add_f32_e32 v0, v0, v3
	v_cndmask_b32_e32 v1, v1, v6, vcc
	v_lshlrev_b32_e32 v1, 2, v1
	ds_bpermute_b32 v1, v1, v0
	v_cmp_eq_u32_e32 vcc, 0, v5
	s_and_b64 exec, exec, vcc
	s_cbranch_execz .LBB99_7
; %bb.6:
	s_waitcnt lgkmcnt(0)
	v_add_f32_e32 v0, v0, v1
	v_bfe_u32 v1, v0, 16, 1
	s_movk_i32 s0, 0x7fff
	v_add3_u32 v1, v0, v1, s0
	v_cmp_o_f32_e32 vcc, v0, v0
	v_mov_b32_e32 v0, 0x7fc0
	s_mul_i32 s0, s5, s3
	v_cndmask_b32_sdwa v2, v0, v1, vcc dst_sel:DWORD dst_unused:UNUSED_PAD src0_sel:DWORD src1_sel:WORD_1
	v_add_u32_e32 v0, s0, v4
	v_mov_b32_e32 v1, 0
	v_lshl_add_u64 v[0:1], v[0:1], 1, s[6:7]
	global_store_short v[0:1], v2, off
.LBB99_7:
	s_endpgm
	.section	.rodata,"a",@progbits
	.p2align	6, 0x0
	.amdhsa_kernel _ZL13mul_mat_vec_qIN3c108BFloat16ELi32ELi4E10block_q4_1Li2EXadL_ZL17vec_dot_q4_1_q8_1PKvPK10block_q8_1RKiEEEvS4_S4_PT_iii
		.amdhsa_group_segment_fixed_size 0
		.amdhsa_private_segment_fixed_size 0
		.amdhsa_kernarg_size 296
		.amdhsa_user_sgpr_count 2
		.amdhsa_user_sgpr_dispatch_ptr 0
		.amdhsa_user_sgpr_queue_ptr 0
		.amdhsa_user_sgpr_kernarg_segment_ptr 1
		.amdhsa_user_sgpr_dispatch_id 0
		.amdhsa_user_sgpr_kernarg_preload_length 0
		.amdhsa_user_sgpr_kernarg_preload_offset 0
		.amdhsa_user_sgpr_private_segment_size 0
		.amdhsa_uses_dynamic_stack 0
		.amdhsa_enable_private_segment 0
		.amdhsa_system_sgpr_workgroup_id_x 1
		.amdhsa_system_sgpr_workgroup_id_y 1
		.amdhsa_system_sgpr_workgroup_id_z 0
		.amdhsa_system_sgpr_workgroup_info 0
		.amdhsa_system_vgpr_workitem_id 1
		.amdhsa_next_free_vgpr 24
		.amdhsa_next_free_sgpr 16
		.amdhsa_accum_offset 24
		.amdhsa_reserve_vcc 1
		.amdhsa_float_round_mode_32 0
		.amdhsa_float_round_mode_16_64 0
		.amdhsa_float_denorm_mode_32 3
		.amdhsa_float_denorm_mode_16_64 3
		.amdhsa_dx10_clamp 1
		.amdhsa_ieee_mode 1
		.amdhsa_fp16_overflow 0
		.amdhsa_tg_split 0
		.amdhsa_exception_fp_ieee_invalid_op 0
		.amdhsa_exception_fp_denorm_src 0
		.amdhsa_exception_fp_ieee_div_zero 0
		.amdhsa_exception_fp_ieee_overflow 0
		.amdhsa_exception_fp_ieee_underflow 0
		.amdhsa_exception_fp_ieee_inexact 0
		.amdhsa_exception_int_div_zero 0
	.end_amdhsa_kernel
	.section	.text._ZL13mul_mat_vec_qIN3c108BFloat16ELi32ELi4E10block_q4_1Li2EXadL_ZL17vec_dot_q4_1_q8_1PKvPK10block_q8_1RKiEEEvS4_S4_PT_iii,"axG",@progbits,_ZL13mul_mat_vec_qIN3c108BFloat16ELi32ELi4E10block_q4_1Li2EXadL_ZL17vec_dot_q4_1_q8_1PKvPK10block_q8_1RKiEEEvS4_S4_PT_iii,comdat
.Lfunc_end99:
	.size	_ZL13mul_mat_vec_qIN3c108BFloat16ELi32ELi4E10block_q4_1Li2EXadL_ZL17vec_dot_q4_1_q8_1PKvPK10block_q8_1RKiEEEvS4_S4_PT_iii, .Lfunc_end99-_ZL13mul_mat_vec_qIN3c108BFloat16ELi32ELi4E10block_q4_1Li2EXadL_ZL17vec_dot_q4_1_q8_1PKvPK10block_q8_1RKiEEEvS4_S4_PT_iii
                                        ; -- End function
	.set _ZL13mul_mat_vec_qIN3c108BFloat16ELi32ELi4E10block_q4_1Li2EXadL_ZL17vec_dot_q4_1_q8_1PKvPK10block_q8_1RKiEEEvS4_S4_PT_iii.num_vgpr, 24
	.set _ZL13mul_mat_vec_qIN3c108BFloat16ELi32ELi4E10block_q4_1Li2EXadL_ZL17vec_dot_q4_1_q8_1PKvPK10block_q8_1RKiEEEvS4_S4_PT_iii.num_agpr, 0
	.set _ZL13mul_mat_vec_qIN3c108BFloat16ELi32ELi4E10block_q4_1Li2EXadL_ZL17vec_dot_q4_1_q8_1PKvPK10block_q8_1RKiEEEvS4_S4_PT_iii.numbered_sgpr, 16
	.set _ZL13mul_mat_vec_qIN3c108BFloat16ELi32ELi4E10block_q4_1Li2EXadL_ZL17vec_dot_q4_1_q8_1PKvPK10block_q8_1RKiEEEvS4_S4_PT_iii.num_named_barrier, 0
	.set _ZL13mul_mat_vec_qIN3c108BFloat16ELi32ELi4E10block_q4_1Li2EXadL_ZL17vec_dot_q4_1_q8_1PKvPK10block_q8_1RKiEEEvS4_S4_PT_iii.private_seg_size, 0
	.set _ZL13mul_mat_vec_qIN3c108BFloat16ELi32ELi4E10block_q4_1Li2EXadL_ZL17vec_dot_q4_1_q8_1PKvPK10block_q8_1RKiEEEvS4_S4_PT_iii.uses_vcc, 1
	.set _ZL13mul_mat_vec_qIN3c108BFloat16ELi32ELi4E10block_q4_1Li2EXadL_ZL17vec_dot_q4_1_q8_1PKvPK10block_q8_1RKiEEEvS4_S4_PT_iii.uses_flat_scratch, 0
	.set _ZL13mul_mat_vec_qIN3c108BFloat16ELi32ELi4E10block_q4_1Li2EXadL_ZL17vec_dot_q4_1_q8_1PKvPK10block_q8_1RKiEEEvS4_S4_PT_iii.has_dyn_sized_stack, 0
	.set _ZL13mul_mat_vec_qIN3c108BFloat16ELi32ELi4E10block_q4_1Li2EXadL_ZL17vec_dot_q4_1_q8_1PKvPK10block_q8_1RKiEEEvS4_S4_PT_iii.has_recursion, 0
	.set _ZL13mul_mat_vec_qIN3c108BFloat16ELi32ELi4E10block_q4_1Li2EXadL_ZL17vec_dot_q4_1_q8_1PKvPK10block_q8_1RKiEEEvS4_S4_PT_iii.has_indirect_call, 0
	.section	.AMDGPU.csdata,"",@progbits
; Kernel info:
; codeLenInByte = 724
; TotalNumSgprs: 22
; NumVgprs: 24
; NumAgprs: 0
; TotalNumVgprs: 24
; ScratchSize: 0
; MemoryBound: 0
; FloatMode: 240
; IeeeMode: 1
; LDSByteSize: 0 bytes/workgroup (compile time only)
; SGPRBlocks: 2
; VGPRBlocks: 2
; NumSGPRsForWavesPerEU: 22
; NumVGPRsForWavesPerEU: 24
; AccumOffset: 24
; Occupancy: 8
; WaveLimiterHint : 0
; COMPUTE_PGM_RSRC2:SCRATCH_EN: 0
; COMPUTE_PGM_RSRC2:USER_SGPR: 2
; COMPUTE_PGM_RSRC2:TRAP_HANDLER: 0
; COMPUTE_PGM_RSRC2:TGID_X_EN: 1
; COMPUTE_PGM_RSRC2:TGID_Y_EN: 1
; COMPUTE_PGM_RSRC2:TGID_Z_EN: 0
; COMPUTE_PGM_RSRC2:TIDIG_COMP_CNT: 1
; COMPUTE_PGM_RSRC3_GFX90A:ACCUM_OFFSET: 5
; COMPUTE_PGM_RSRC3_GFX90A:TG_SPLIT: 0
	.section	.text._ZL13mul_mat_vec_qIN3c108BFloat16ELi32ELi4E10block_q5_0Li2EXadL_ZL17vec_dot_q5_0_q8_1PKvPK10block_q8_1RKiEEEvS4_S4_PT_iii,"axG",@progbits,_ZL13mul_mat_vec_qIN3c108BFloat16ELi32ELi4E10block_q5_0Li2EXadL_ZL17vec_dot_q5_0_q8_1PKvPK10block_q8_1RKiEEEvS4_S4_PT_iii,comdat
	.globl	_ZL13mul_mat_vec_qIN3c108BFloat16ELi32ELi4E10block_q5_0Li2EXadL_ZL17vec_dot_q5_0_q8_1PKvPK10block_q8_1RKiEEEvS4_S4_PT_iii ; -- Begin function _ZL13mul_mat_vec_qIN3c108BFloat16ELi32ELi4E10block_q5_0Li2EXadL_ZL17vec_dot_q5_0_q8_1PKvPK10block_q8_1RKiEEEvS4_S4_PT_iii
	.p2align	8
	.type	_ZL13mul_mat_vec_qIN3c108BFloat16ELi32ELi4E10block_q5_0Li2EXadL_ZL17vec_dot_q5_0_q8_1PKvPK10block_q8_1RKiEEEvS4_S4_PT_iii,@function
_ZL13mul_mat_vec_qIN3c108BFloat16ELi32ELi4E10block_q5_0Li2EXadL_ZL17vec_dot_q5_0_q8_1PKvPK10block_q8_1RKiEEEvS4_S4_PT_iii: ; @_ZL13mul_mat_vec_qIN3c108BFloat16ELi32ELi4E10block_q5_0Li2EXadL_ZL17vec_dot_q5_0_q8_1PKvPK10block_q8_1RKiEEEvS4_S4_PT_iii
; %bb.0:
	s_load_dword s8, s[0:1], 0x34
	s_load_dwordx4 s[4:7], s[0:1], 0x18
	v_bfe_u32 v1, v0, 10, 10
	s_waitcnt lgkmcnt(0)
	s_lshr_b32 s7, s8, 16
	s_mul_i32 s2, s2, s7
	v_add_u32_e32 v4, s2, v1
	s_cmp_lt_u32 s3, s6
	v_cmp_gt_u32_e32 vcc, s5, v4
	s_cselect_b64 s[6:7], -1, 0
	s_and_b64 s[6:7], s[6:7], vcc
	s_and_saveexec_b64 s[8:9], s[6:7]
	s_cbranch_execz .LBB100_7
; %bb.1:
	s_load_dwordx2 s[6:7], s[0:1], 0x10
	s_ashr_i32 s2, s4, 31
	s_lshr_b32 s2, s2, 27
	s_add_i32 s2, s4, s2
	s_ashr_i32 s2, s2, 5
	v_bfe_u32 v6, v0, 1, 9
	v_and_b32_e32 v5, 0x3ff, v0
	v_cmp_gt_u32_e32 vcc, s2, v6
	v_mov_b32_e32 v7, 0
	s_and_saveexec_b64 s[12:13], vcc
	s_cbranch_execz .LBB100_5
; %bb.2:
	s_load_dwordx4 s[8:11], s[0:1], 0x0
	s_add_i32 s0, s4, 0x1ff
	s_ashr_i32 s1, s0, 31
	s_lshr_b32 s1, s1, 23
	s_add_i32 s0, s0, s1
	s_ashr_i32 s0, s0, 9
	v_lshlrev_b32_e32 v0, 3, v5
	s_mul_i32 s0, s3, s0
	v_and_b32_e32 v0, 8, v0
	v_mov_b32_e32 v1, 0
	v_mul_lo_u32 v8, v4, s2
	s_lshl_b32 s4, s0, 4
	v_or_b32_e32 v9, 4, v0
	s_mov_b64 s[0:1], 0
	v_mov_b32_e32 v3, 0x41000000
	v_mov_b32_e32 v7, v1
.LBB100_3:                              ; =>This Inner Loop Header: Depth=1
	v_add_u32_e32 v2, v8, v6
	s_waitcnt lgkmcnt(0)
	v_mad_i64_i32 v[10:11], s[14:15], v2, 22, s[8:9]
	global_load_dword v2, v[10:11], off offset:2
	v_add_u32_e32 v12, s4, v6
	v_mad_i64_i32 v[12:13], s[14:15], v12, 36, s[10:11]
	v_lshl_add_u64 v[14:15], v[10:11], 0, v[0:1]
	v_lshl_add_u64 v[16:17], v[12:13], 0, v[0:1]
	global_load_dwordx2 v[18:19], v[14:15], off offset:6
	global_load_dwordx2 v[20:21], v[16:17], off offset:4
	;; [unrolled: 1-line block ×3, first 2 shown]
	global_load_dword v24, v[12:13], off
	global_load_ushort v25, v[10:11], off
	v_mov_b32_e32 v12, 0
	v_add_u32_e32 v6, 32, v6
	v_cmp_le_u32_e32 vcc, s2, v6
	s_or_b64 s[0:1], vcc, s[0:1]
	s_waitcnt vmcnt(5)
	v_ashrrev_i32_e32 v13, v0, v2
	v_lshlrev_b32_e32 v15, 4, v13
	v_lshlrev_b32_e32 v16, 11, v13
	v_ashrrev_i32_e32 v2, v9, v2
	s_waitcnt vmcnt(4)
	v_and_b32_e32 v14, 0xf0f0f0f, v18
	s_waitcnt vmcnt(1)
	v_cvt_f32_f16_e32 v10, v24
	v_cvt_f32_f16_sdwa v11, v24 dst_sel:DWORD dst_unused:UNUSED_PAD src0_sel:WORD_1
	v_lshlrev_b32_e32 v17, 18, v13
	v_lshlrev_b32_e32 v24, 25, v13
	v_lshrrev_b32_e32 v26, 12, v13
	v_lshrrev_b32_e32 v27, 5, v13
	v_lshlrev_b32_e32 v28, 2, v13
	v_and_b32_e32 v15, 16, v15
	v_and_b32_e32 v16, 0x1000, v16
	v_lshrrev_b32_e32 v18, 4, v18
	v_lshlrev_b32_e32 v13, 9, v13
	v_lshlrev_b32_e32 v30, 4, v2
	;; [unrolled: 1-line block ×4, first 2 shown]
	v_and_b32_e32 v17, 0x100000, v17
	v_and_b32_e32 v24, 0x10000000, v24
	;; [unrolled: 1-line block ×5, first 2 shown]
	v_or3_b32 v14, v15, v14, v16
	v_lshlrev_b32_e32 v33, 25, v2
	v_lshrrev_b32_e32 v34, 12, v2
	v_lshrrev_b32_e32 v35, 5, v2
	v_lshlrev_b32_e32 v36, 2, v2
	v_and_b32_e32 v18, 0xf0f0f0f, v18
	v_and_b32_e32 v13, 0x10000000, v13
	;; [unrolled: 1-line block ×5, first 2 shown]
	v_or3_b32 v15, v27, v26, v28
	v_or3_b32 v14, v14, v17, v24
	v_and_b32_e32 v29, 0xf0f0f0f, v19
	v_lshrrev_b32_e32 v19, 4, v19
	v_lshlrev_b32_e32 v2, 9, v2
	v_and_b32_e32 v33, 0x10000000, v33
	v_and_b32_e32 v34, 16, v34
	;; [unrolled: 1-line block ×4, first 2 shown]
	v_or3_b32 v16, v31, v30, v32
	v_or3_b32 v13, v15, v13, v18
	v_dot4c_i32_i8_e32 v12, v14, v20
	v_and_b32_e32 v19, 0xf0f0f0f, v19
	v_and_b32_e32 v2, 0x10000000, v2
	v_or3_b32 v26, v35, v34, v36
	v_or3_b32 v15, v16, v33, v29
	v_dot4c_i32_i8_e32 v12, v13, v22
	v_or3_b32 v2, v26, v2, v19
	v_dot4c_i32_i8_e32 v12, v15, v21
	v_dot4c_i32_i8_e32 v12, v2, v23
	s_nop 2
	v_cvt_f32_i32_e32 v2, v12
	v_pk_mul_f32 v[10:11], v[2:3], v[10:11]
	s_nop 0
	v_sub_f32_e32 v2, v10, v11
	s_waitcnt vmcnt(0)
	v_fma_mix_f32 v7, v2, v25, v7 op_sel_hi:[0,1,0]
	s_andn2_b64 exec, exec, s[0:1]
	s_cbranch_execnz .LBB100_3
; %bb.4:
	s_or_b64 exec, exec, s[0:1]
.LBB100_5:
	s_or_b64 exec, exec, s[12:13]
	v_mbcnt_lo_u32_b32 v0, -1, 0
	v_mbcnt_hi_u32_b32 v1, -1, v0
	v_and_b32_e32 v0, 64, v1
	v_add_u32_e32 v2, 64, v0
	v_xor_b32_e32 v0, 32, v1
	v_cmp_lt_i32_e32 vcc, v0, v2
	v_xor_b32_e32 v3, 16, v1
	v_xor_b32_e32 v6, 8, v1
	v_cndmask_b32_e32 v0, v1, v0, vcc
	v_lshlrev_b32_e32 v0, 2, v0
	ds_bpermute_b32 v0, v0, v7
	v_cmp_lt_i32_e32 vcc, v3, v2
	s_waitcnt lgkmcnt(0)
	v_add_f32_e32 v0, v7, v0
	v_cndmask_b32_e32 v3, v1, v3, vcc
	v_lshlrev_b32_e32 v3, 2, v3
	ds_bpermute_b32 v3, v3, v0
	v_cmp_lt_i32_e32 vcc, v6, v2
	s_waitcnt lgkmcnt(0)
	v_add_f32_e32 v0, v0, v3
	v_cndmask_b32_e32 v3, v1, v6, vcc
	v_lshlrev_b32_e32 v3, 2, v3
	ds_bpermute_b32 v3, v3, v0
	v_xor_b32_e32 v6, 4, v1
	v_cmp_lt_i32_e32 vcc, v6, v2
	s_waitcnt lgkmcnt(0)
	v_add_f32_e32 v0, v0, v3
	v_cndmask_b32_e32 v3, v1, v6, vcc
	v_lshlrev_b32_e32 v3, 2, v3
	ds_bpermute_b32 v3, v3, v0
	v_xor_b32_e32 v6, 2, v1
	;; [unrolled: 7-line block ×3, first 2 shown]
	v_cmp_lt_i32_e32 vcc, v6, v2
	s_waitcnt lgkmcnt(0)
	v_add_f32_e32 v0, v0, v3
	v_cndmask_b32_e32 v1, v1, v6, vcc
	v_lshlrev_b32_e32 v1, 2, v1
	ds_bpermute_b32 v1, v1, v0
	v_cmp_eq_u32_e32 vcc, 0, v5
	s_and_b64 exec, exec, vcc
	s_cbranch_execz .LBB100_7
; %bb.6:
	s_waitcnt lgkmcnt(0)
	v_add_f32_e32 v0, v0, v1
	v_bfe_u32 v1, v0, 16, 1
	s_movk_i32 s0, 0x7fff
	v_add3_u32 v1, v0, v1, s0
	v_cmp_o_f32_e32 vcc, v0, v0
	v_mov_b32_e32 v0, 0x7fc0
	s_mul_i32 s0, s5, s3
	v_cndmask_b32_sdwa v2, v0, v1, vcc dst_sel:DWORD dst_unused:UNUSED_PAD src0_sel:DWORD src1_sel:WORD_1
	v_add_u32_e32 v0, s0, v4
	v_mov_b32_e32 v1, 0
	v_lshl_add_u64 v[0:1], v[0:1], 1, s[6:7]
	global_store_short v[0:1], v2, off
.LBB100_7:
	s_endpgm
	.section	.rodata,"a",@progbits
	.p2align	6, 0x0
	.amdhsa_kernel _ZL13mul_mat_vec_qIN3c108BFloat16ELi32ELi4E10block_q5_0Li2EXadL_ZL17vec_dot_q5_0_q8_1PKvPK10block_q8_1RKiEEEvS4_S4_PT_iii
		.amdhsa_group_segment_fixed_size 0
		.amdhsa_private_segment_fixed_size 0
		.amdhsa_kernarg_size 296
		.amdhsa_user_sgpr_count 2
		.amdhsa_user_sgpr_dispatch_ptr 0
		.amdhsa_user_sgpr_queue_ptr 0
		.amdhsa_user_sgpr_kernarg_segment_ptr 1
		.amdhsa_user_sgpr_dispatch_id 0
		.amdhsa_user_sgpr_kernarg_preload_length 0
		.amdhsa_user_sgpr_kernarg_preload_offset 0
		.amdhsa_user_sgpr_private_segment_size 0
		.amdhsa_uses_dynamic_stack 0
		.amdhsa_enable_private_segment 0
		.amdhsa_system_sgpr_workgroup_id_x 1
		.amdhsa_system_sgpr_workgroup_id_y 1
		.amdhsa_system_sgpr_workgroup_id_z 0
		.amdhsa_system_sgpr_workgroup_info 0
		.amdhsa_system_vgpr_workitem_id 1
		.amdhsa_next_free_vgpr 37
		.amdhsa_next_free_sgpr 16
		.amdhsa_accum_offset 40
		.amdhsa_reserve_vcc 1
		.amdhsa_float_round_mode_32 0
		.amdhsa_float_round_mode_16_64 0
		.amdhsa_float_denorm_mode_32 3
		.amdhsa_float_denorm_mode_16_64 3
		.amdhsa_dx10_clamp 1
		.amdhsa_ieee_mode 1
		.amdhsa_fp16_overflow 0
		.amdhsa_tg_split 0
		.amdhsa_exception_fp_ieee_invalid_op 0
		.amdhsa_exception_fp_denorm_src 0
		.amdhsa_exception_fp_ieee_div_zero 0
		.amdhsa_exception_fp_ieee_overflow 0
		.amdhsa_exception_fp_ieee_underflow 0
		.amdhsa_exception_fp_ieee_inexact 0
		.amdhsa_exception_int_div_zero 0
	.end_amdhsa_kernel
	.section	.text._ZL13mul_mat_vec_qIN3c108BFloat16ELi32ELi4E10block_q5_0Li2EXadL_ZL17vec_dot_q5_0_q8_1PKvPK10block_q8_1RKiEEEvS4_S4_PT_iii,"axG",@progbits,_ZL13mul_mat_vec_qIN3c108BFloat16ELi32ELi4E10block_q5_0Li2EXadL_ZL17vec_dot_q5_0_q8_1PKvPK10block_q8_1RKiEEEvS4_S4_PT_iii,comdat
.Lfunc_end100:
	.size	_ZL13mul_mat_vec_qIN3c108BFloat16ELi32ELi4E10block_q5_0Li2EXadL_ZL17vec_dot_q5_0_q8_1PKvPK10block_q8_1RKiEEEvS4_S4_PT_iii, .Lfunc_end100-_ZL13mul_mat_vec_qIN3c108BFloat16ELi32ELi4E10block_q5_0Li2EXadL_ZL17vec_dot_q5_0_q8_1PKvPK10block_q8_1RKiEEEvS4_S4_PT_iii
                                        ; -- End function
	.set _ZL13mul_mat_vec_qIN3c108BFloat16ELi32ELi4E10block_q5_0Li2EXadL_ZL17vec_dot_q5_0_q8_1PKvPK10block_q8_1RKiEEEvS4_S4_PT_iii.num_vgpr, 37
	.set _ZL13mul_mat_vec_qIN3c108BFloat16ELi32ELi4E10block_q5_0Li2EXadL_ZL17vec_dot_q5_0_q8_1PKvPK10block_q8_1RKiEEEvS4_S4_PT_iii.num_agpr, 0
	.set _ZL13mul_mat_vec_qIN3c108BFloat16ELi32ELi4E10block_q5_0Li2EXadL_ZL17vec_dot_q5_0_q8_1PKvPK10block_q8_1RKiEEEvS4_S4_PT_iii.numbered_sgpr, 16
	.set _ZL13mul_mat_vec_qIN3c108BFloat16ELi32ELi4E10block_q5_0Li2EXadL_ZL17vec_dot_q5_0_q8_1PKvPK10block_q8_1RKiEEEvS4_S4_PT_iii.num_named_barrier, 0
	.set _ZL13mul_mat_vec_qIN3c108BFloat16ELi32ELi4E10block_q5_0Li2EXadL_ZL17vec_dot_q5_0_q8_1PKvPK10block_q8_1RKiEEEvS4_S4_PT_iii.private_seg_size, 0
	.set _ZL13mul_mat_vec_qIN3c108BFloat16ELi32ELi4E10block_q5_0Li2EXadL_ZL17vec_dot_q5_0_q8_1PKvPK10block_q8_1RKiEEEvS4_S4_PT_iii.uses_vcc, 1
	.set _ZL13mul_mat_vec_qIN3c108BFloat16ELi32ELi4E10block_q5_0Li2EXadL_ZL17vec_dot_q5_0_q8_1PKvPK10block_q8_1RKiEEEvS4_S4_PT_iii.uses_flat_scratch, 0
	.set _ZL13mul_mat_vec_qIN3c108BFloat16ELi32ELi4E10block_q5_0Li2EXadL_ZL17vec_dot_q5_0_q8_1PKvPK10block_q8_1RKiEEEvS4_S4_PT_iii.has_dyn_sized_stack, 0
	.set _ZL13mul_mat_vec_qIN3c108BFloat16ELi32ELi4E10block_q5_0Li2EXadL_ZL17vec_dot_q5_0_q8_1PKvPK10block_q8_1RKiEEEvS4_S4_PT_iii.has_recursion, 0
	.set _ZL13mul_mat_vec_qIN3c108BFloat16ELi32ELi4E10block_q5_0Li2EXadL_ZL17vec_dot_q5_0_q8_1PKvPK10block_q8_1RKiEEEvS4_S4_PT_iii.has_indirect_call, 0
	.section	.AMDGPU.csdata,"",@progbits
; Kernel info:
; codeLenInByte = 988
; TotalNumSgprs: 22
; NumVgprs: 37
; NumAgprs: 0
; TotalNumVgprs: 37
; ScratchSize: 0
; MemoryBound: 0
; FloatMode: 240
; IeeeMode: 1
; LDSByteSize: 0 bytes/workgroup (compile time only)
; SGPRBlocks: 2
; VGPRBlocks: 4
; NumSGPRsForWavesPerEU: 22
; NumVGPRsForWavesPerEU: 37
; AccumOffset: 40
; Occupancy: 8
; WaveLimiterHint : 0
; COMPUTE_PGM_RSRC2:SCRATCH_EN: 0
; COMPUTE_PGM_RSRC2:USER_SGPR: 2
; COMPUTE_PGM_RSRC2:TRAP_HANDLER: 0
; COMPUTE_PGM_RSRC2:TGID_X_EN: 1
; COMPUTE_PGM_RSRC2:TGID_Y_EN: 1
; COMPUTE_PGM_RSRC2:TGID_Z_EN: 0
; COMPUTE_PGM_RSRC2:TIDIG_COMP_CNT: 1
; COMPUTE_PGM_RSRC3_GFX90A:ACCUM_OFFSET: 9
; COMPUTE_PGM_RSRC3_GFX90A:TG_SPLIT: 0
	.section	.text._ZL13mul_mat_vec_qIN3c108BFloat16ELi32ELi4E10block_q5_1Li2EXadL_ZL17vec_dot_q5_1_q8_1PKvPK10block_q8_1RKiEEEvS4_S4_PT_iii,"axG",@progbits,_ZL13mul_mat_vec_qIN3c108BFloat16ELi32ELi4E10block_q5_1Li2EXadL_ZL17vec_dot_q5_1_q8_1PKvPK10block_q8_1RKiEEEvS4_S4_PT_iii,comdat
	.globl	_ZL13mul_mat_vec_qIN3c108BFloat16ELi32ELi4E10block_q5_1Li2EXadL_ZL17vec_dot_q5_1_q8_1PKvPK10block_q8_1RKiEEEvS4_S4_PT_iii ; -- Begin function _ZL13mul_mat_vec_qIN3c108BFloat16ELi32ELi4E10block_q5_1Li2EXadL_ZL17vec_dot_q5_1_q8_1PKvPK10block_q8_1RKiEEEvS4_S4_PT_iii
	.p2align	8
	.type	_ZL13mul_mat_vec_qIN3c108BFloat16ELi32ELi4E10block_q5_1Li2EXadL_ZL17vec_dot_q5_1_q8_1PKvPK10block_q8_1RKiEEEvS4_S4_PT_iii,@function
_ZL13mul_mat_vec_qIN3c108BFloat16ELi32ELi4E10block_q5_1Li2EXadL_ZL17vec_dot_q5_1_q8_1PKvPK10block_q8_1RKiEEEvS4_S4_PT_iii: ; @_ZL13mul_mat_vec_qIN3c108BFloat16ELi32ELi4E10block_q5_1Li2EXadL_ZL17vec_dot_q5_1_q8_1PKvPK10block_q8_1RKiEEEvS4_S4_PT_iii
; %bb.0:
	s_load_dword s8, s[0:1], 0x34
	s_load_dwordx4 s[4:7], s[0:1], 0x18
	v_bfe_u32 v1, v0, 10, 10
	s_waitcnt lgkmcnt(0)
	s_lshr_b32 s7, s8, 16
	s_mul_i32 s2, s2, s7
	v_add_u32_e32 v4, s2, v1
	s_cmp_lt_u32 s3, s6
	v_cmp_gt_u32_e32 vcc, s5, v4
	s_cselect_b64 s[6:7], -1, 0
	s_and_b64 s[6:7], s[6:7], vcc
	s_and_saveexec_b64 s[8:9], s[6:7]
	s_cbranch_execz .LBB101_7
; %bb.1:
	s_load_dwordx2 s[6:7], s[0:1], 0x10
	s_ashr_i32 s2, s4, 31
	s_lshr_b32 s2, s2, 27
	s_add_i32 s2, s4, s2
	s_ashr_i32 s2, s2, 5
	v_bfe_u32 v6, v0, 1, 9
	v_and_b32_e32 v5, 0x3ff, v0
	v_cmp_gt_u32_e32 vcc, s2, v6
	v_mov_b32_e32 v7, 0
	s_and_saveexec_b64 s[12:13], vcc
	s_cbranch_execz .LBB101_5
; %bb.2:
	s_load_dwordx4 s[8:11], s[0:1], 0x0
	s_add_i32 s0, s4, 0x1ff
	s_ashr_i32 s1, s0, 31
	s_lshr_b32 s1, s1, 23
	s_add_i32 s0, s0, s1
	s_ashr_i32 s0, s0, 9
	v_lshlrev_b32_e32 v0, 3, v5
	s_mul_i32 s0, s3, s0
	v_and_b32_e32 v0, 8, v0
	v_mov_b32_e32 v1, 0
	v_mul_lo_u32 v8, v4, s2
	s_lshl_b32 s4, s0, 4
	v_or_b32_e32 v9, 4, v0
	s_mov_b64 s[0:1], 0
	v_mov_b32_e32 v3, 0.5
	v_mov_b32_e32 v7, v1
.LBB101_3:                              ; =>This Inner Loop Header: Depth=1
	v_add_u32_e32 v2, v8, v6
	v_add_u32_e32 v12, s4, v6
	s_waitcnt lgkmcnt(0)
	v_mad_i64_i32 v[10:11], s[14:15], v2, 24, s[8:9]
	v_mad_i64_i32 v[12:13], s[14:15], v12, 36, s[10:11]
	global_load_dwordx2 v[14:15], v[10:11], off
	v_lshl_add_u64 v[10:11], v[10:11], 0, v[0:1]
	v_lshl_add_u64 v[16:17], v[12:13], 0, v[0:1]
	global_load_dwordx2 v[18:19], v[10:11], off offset:8
	global_load_dwordx2 v[20:21], v[16:17], off offset:4
	;; [unrolled: 1-line block ×3, first 2 shown]
	global_load_dword v2, v[12:13], off
	v_mov_b32_e32 v12, 0
	v_add_u32_e32 v6, 32, v6
	v_cmp_le_u32_e32 vcc, s2, v6
	s_or_b64 s[0:1], vcc, s[0:1]
	s_waitcnt vmcnt(3)
	v_and_b32_e32 v13, 0xf0f0f0f, v18
	v_ashrrev_i32_e32 v10, v0, v15
	v_ashrrev_i32_e32 v11, v9, v15
	s_waitcnt vmcnt(0)
	v_pk_mul_f16 v2, v14, v2
	v_lshlrev_b32_e32 v14, 4, v10
	v_lshlrev_b32_e32 v15, 11, v10
	;; [unrolled: 1-line block ×4, first 2 shown]
	v_lshrrev_b32_e32 v18, 4, v18
	v_lshrrev_b32_e32 v24, 12, v10
	;; [unrolled: 1-line block ×3, first 2 shown]
	v_lshlrev_b32_e32 v26, 2, v10
	v_lshlrev_b32_e32 v27, 9, v10
	;; [unrolled: 1-line block ×6, first 2 shown]
	v_lshrrev_b32_e32 v33, 12, v11
	v_lshrrev_b32_e32 v34, 5, v11
	v_lshlrev_b32_e32 v35, 2, v11
	v_lshlrev_b32_e32 v36, 9, v11
	v_cvt_f32_f16_e32 v10, v2
	v_cvt_f32_f16_sdwa v11, v2 dst_sel:DWORD dst_unused:UNUSED_PAD src0_sel:WORD_1
	v_and_b32_e32 v2, 16, v14
	v_and_b32_e32 v14, 0x1000, v15
	;; [unrolled: 1-line block ×8, first 2 shown]
	v_or3_b32 v2, v2, v13, v14
	v_and_b32_e32 v26, 0x10000000, v27
	v_and_b32_e32 v27, 16, v29
	;; [unrolled: 1-line block ×4, first 2 shown]
	v_or3_b32 v13, v24, v18, v25
	v_or3_b32 v2, v2, v15, v16
	v_and_b32_e32 v28, 0xf0f0f0f, v19
	v_lshrrev_b32_e32 v19, 4, v19
	v_and_b32_e32 v31, 0x10000000, v32
	v_and_b32_e32 v32, 16, v33
	;; [unrolled: 1-line block ×4, first 2 shown]
	v_or3_b32 v14, v29, v27, v30
	v_or3_b32 v13, v13, v26, v17
	v_dot4c_i32_i8_e32 v12, v2, v20
	v_and_b32_e32 v19, 0xf0f0f0f, v19
	v_and_b32_e32 v35, 0x10000000, v36
	v_or3_b32 v18, v33, v32, v34
	v_or3_b32 v14, v14, v31, v28
	v_dot4c_i32_i8_e32 v12, v13, v22
	v_or3_b32 v15, v18, v35, v19
	v_dot4c_i32_i8_e32 v12, v14, v21
	v_dot4c_i32_i8_e32 v12, v15, v23
	s_nop 2
	v_cvt_f32_i32_e32 v2, v12
	v_pk_mul_f32 v[10:11], v[2:3], v[10:11]
	s_nop 0
	v_add_f32_e32 v2, v11, v10
	v_add_f32_e32 v7, v7, v2
	s_andn2_b64 exec, exec, s[0:1]
	s_cbranch_execnz .LBB101_3
; %bb.4:
	s_or_b64 exec, exec, s[0:1]
.LBB101_5:
	s_or_b64 exec, exec, s[12:13]
	v_mbcnt_lo_u32_b32 v0, -1, 0
	v_mbcnt_hi_u32_b32 v1, -1, v0
	v_and_b32_e32 v0, 64, v1
	v_add_u32_e32 v2, 64, v0
	v_xor_b32_e32 v0, 32, v1
	v_cmp_lt_i32_e32 vcc, v0, v2
	v_xor_b32_e32 v3, 16, v1
	v_xor_b32_e32 v6, 8, v1
	v_cndmask_b32_e32 v0, v1, v0, vcc
	v_lshlrev_b32_e32 v0, 2, v0
	ds_bpermute_b32 v0, v0, v7
	v_cmp_lt_i32_e32 vcc, v3, v2
	s_waitcnt lgkmcnt(0)
	v_add_f32_e32 v0, v7, v0
	v_cndmask_b32_e32 v3, v1, v3, vcc
	v_lshlrev_b32_e32 v3, 2, v3
	ds_bpermute_b32 v3, v3, v0
	v_cmp_lt_i32_e32 vcc, v6, v2
	s_waitcnt lgkmcnt(0)
	v_add_f32_e32 v0, v0, v3
	v_cndmask_b32_e32 v3, v1, v6, vcc
	v_lshlrev_b32_e32 v3, 2, v3
	ds_bpermute_b32 v3, v3, v0
	v_xor_b32_e32 v6, 4, v1
	v_cmp_lt_i32_e32 vcc, v6, v2
	s_waitcnt lgkmcnt(0)
	v_add_f32_e32 v0, v0, v3
	v_cndmask_b32_e32 v3, v1, v6, vcc
	v_lshlrev_b32_e32 v3, 2, v3
	ds_bpermute_b32 v3, v3, v0
	v_xor_b32_e32 v6, 2, v1
	;; [unrolled: 7-line block ×3, first 2 shown]
	v_cmp_lt_i32_e32 vcc, v6, v2
	s_waitcnt lgkmcnt(0)
	v_add_f32_e32 v0, v0, v3
	v_cndmask_b32_e32 v1, v1, v6, vcc
	v_lshlrev_b32_e32 v1, 2, v1
	ds_bpermute_b32 v1, v1, v0
	v_cmp_eq_u32_e32 vcc, 0, v5
	s_and_b64 exec, exec, vcc
	s_cbranch_execz .LBB101_7
; %bb.6:
	s_waitcnt lgkmcnt(0)
	v_add_f32_e32 v0, v0, v1
	v_bfe_u32 v1, v0, 16, 1
	s_movk_i32 s0, 0x7fff
	v_add3_u32 v1, v0, v1, s0
	v_cmp_o_f32_e32 vcc, v0, v0
	v_mov_b32_e32 v0, 0x7fc0
	s_mul_i32 s0, s5, s3
	v_cndmask_b32_sdwa v2, v0, v1, vcc dst_sel:DWORD dst_unused:UNUSED_PAD src0_sel:DWORD src1_sel:WORD_1
	v_add_u32_e32 v0, s0, v4
	v_mov_b32_e32 v1, 0
	v_lshl_add_u64 v[0:1], v[0:1], 1, s[6:7]
	global_store_short v[0:1], v2, off
.LBB101_7:
	s_endpgm
	.section	.rodata,"a",@progbits
	.p2align	6, 0x0
	.amdhsa_kernel _ZL13mul_mat_vec_qIN3c108BFloat16ELi32ELi4E10block_q5_1Li2EXadL_ZL17vec_dot_q5_1_q8_1PKvPK10block_q8_1RKiEEEvS4_S4_PT_iii
		.amdhsa_group_segment_fixed_size 0
		.amdhsa_private_segment_fixed_size 0
		.amdhsa_kernarg_size 296
		.amdhsa_user_sgpr_count 2
		.amdhsa_user_sgpr_dispatch_ptr 0
		.amdhsa_user_sgpr_queue_ptr 0
		.amdhsa_user_sgpr_kernarg_segment_ptr 1
		.amdhsa_user_sgpr_dispatch_id 0
		.amdhsa_user_sgpr_kernarg_preload_length 0
		.amdhsa_user_sgpr_kernarg_preload_offset 0
		.amdhsa_user_sgpr_private_segment_size 0
		.amdhsa_uses_dynamic_stack 0
		.amdhsa_enable_private_segment 0
		.amdhsa_system_sgpr_workgroup_id_x 1
		.amdhsa_system_sgpr_workgroup_id_y 1
		.amdhsa_system_sgpr_workgroup_id_z 0
		.amdhsa_system_sgpr_workgroup_info 0
		.amdhsa_system_vgpr_workitem_id 1
		.amdhsa_next_free_vgpr 37
		.amdhsa_next_free_sgpr 16
		.amdhsa_accum_offset 40
		.amdhsa_reserve_vcc 1
		.amdhsa_float_round_mode_32 0
		.amdhsa_float_round_mode_16_64 0
		.amdhsa_float_denorm_mode_32 3
		.amdhsa_float_denorm_mode_16_64 3
		.amdhsa_dx10_clamp 1
		.amdhsa_ieee_mode 1
		.amdhsa_fp16_overflow 0
		.amdhsa_tg_split 0
		.amdhsa_exception_fp_ieee_invalid_op 0
		.amdhsa_exception_fp_denorm_src 0
		.amdhsa_exception_fp_ieee_div_zero 0
		.amdhsa_exception_fp_ieee_overflow 0
		.amdhsa_exception_fp_ieee_underflow 0
		.amdhsa_exception_fp_ieee_inexact 0
		.amdhsa_exception_int_div_zero 0
	.end_amdhsa_kernel
	.section	.text._ZL13mul_mat_vec_qIN3c108BFloat16ELi32ELi4E10block_q5_1Li2EXadL_ZL17vec_dot_q5_1_q8_1PKvPK10block_q8_1RKiEEEvS4_S4_PT_iii,"axG",@progbits,_ZL13mul_mat_vec_qIN3c108BFloat16ELi32ELi4E10block_q5_1Li2EXadL_ZL17vec_dot_q5_1_q8_1PKvPK10block_q8_1RKiEEEvS4_S4_PT_iii,comdat
.Lfunc_end101:
	.size	_ZL13mul_mat_vec_qIN3c108BFloat16ELi32ELi4E10block_q5_1Li2EXadL_ZL17vec_dot_q5_1_q8_1PKvPK10block_q8_1RKiEEEvS4_S4_PT_iii, .Lfunc_end101-_ZL13mul_mat_vec_qIN3c108BFloat16ELi32ELi4E10block_q5_1Li2EXadL_ZL17vec_dot_q5_1_q8_1PKvPK10block_q8_1RKiEEEvS4_S4_PT_iii
                                        ; -- End function
	.set _ZL13mul_mat_vec_qIN3c108BFloat16ELi32ELi4E10block_q5_1Li2EXadL_ZL17vec_dot_q5_1_q8_1PKvPK10block_q8_1RKiEEEvS4_S4_PT_iii.num_vgpr, 37
	.set _ZL13mul_mat_vec_qIN3c108BFloat16ELi32ELi4E10block_q5_1Li2EXadL_ZL17vec_dot_q5_1_q8_1PKvPK10block_q8_1RKiEEEvS4_S4_PT_iii.num_agpr, 0
	.set _ZL13mul_mat_vec_qIN3c108BFloat16ELi32ELi4E10block_q5_1Li2EXadL_ZL17vec_dot_q5_1_q8_1PKvPK10block_q8_1RKiEEEvS4_S4_PT_iii.numbered_sgpr, 16
	.set _ZL13mul_mat_vec_qIN3c108BFloat16ELi32ELi4E10block_q5_1Li2EXadL_ZL17vec_dot_q5_1_q8_1PKvPK10block_q8_1RKiEEEvS4_S4_PT_iii.num_named_barrier, 0
	.set _ZL13mul_mat_vec_qIN3c108BFloat16ELi32ELi4E10block_q5_1Li2EXadL_ZL17vec_dot_q5_1_q8_1PKvPK10block_q8_1RKiEEEvS4_S4_PT_iii.private_seg_size, 0
	.set _ZL13mul_mat_vec_qIN3c108BFloat16ELi32ELi4E10block_q5_1Li2EXadL_ZL17vec_dot_q5_1_q8_1PKvPK10block_q8_1RKiEEEvS4_S4_PT_iii.uses_vcc, 1
	.set _ZL13mul_mat_vec_qIN3c108BFloat16ELi32ELi4E10block_q5_1Li2EXadL_ZL17vec_dot_q5_1_q8_1PKvPK10block_q8_1RKiEEEvS4_S4_PT_iii.uses_flat_scratch, 0
	.set _ZL13mul_mat_vec_qIN3c108BFloat16ELi32ELi4E10block_q5_1Li2EXadL_ZL17vec_dot_q5_1_q8_1PKvPK10block_q8_1RKiEEEvS4_S4_PT_iii.has_dyn_sized_stack, 0
	.set _ZL13mul_mat_vec_qIN3c108BFloat16ELi32ELi4E10block_q5_1Li2EXadL_ZL17vec_dot_q5_1_q8_1PKvPK10block_q8_1RKiEEEvS4_S4_PT_iii.has_recursion, 0
	.set _ZL13mul_mat_vec_qIN3c108BFloat16ELi32ELi4E10block_q5_1Li2EXadL_ZL17vec_dot_q5_1_q8_1PKvPK10block_q8_1RKiEEEvS4_S4_PT_iii.has_indirect_call, 0
	.section	.AMDGPU.csdata,"",@progbits
; Kernel info:
; codeLenInByte = 972
; TotalNumSgprs: 22
; NumVgprs: 37
; NumAgprs: 0
; TotalNumVgprs: 37
; ScratchSize: 0
; MemoryBound: 0
; FloatMode: 240
; IeeeMode: 1
; LDSByteSize: 0 bytes/workgroup (compile time only)
; SGPRBlocks: 2
; VGPRBlocks: 4
; NumSGPRsForWavesPerEU: 22
; NumVGPRsForWavesPerEU: 37
; AccumOffset: 40
; Occupancy: 8
; WaveLimiterHint : 0
; COMPUTE_PGM_RSRC2:SCRATCH_EN: 0
; COMPUTE_PGM_RSRC2:USER_SGPR: 2
; COMPUTE_PGM_RSRC2:TRAP_HANDLER: 0
; COMPUTE_PGM_RSRC2:TGID_X_EN: 1
; COMPUTE_PGM_RSRC2:TGID_Y_EN: 1
; COMPUTE_PGM_RSRC2:TGID_Z_EN: 0
; COMPUTE_PGM_RSRC2:TIDIG_COMP_CNT: 1
; COMPUTE_PGM_RSRC3_GFX90A:ACCUM_OFFSET: 9
; COMPUTE_PGM_RSRC3_GFX90A:TG_SPLIT: 0
	.section	.text._ZL13mul_mat_vec_qIN3c108BFloat16ELi32ELi8E10block_q8_0Li2EXadL_ZL17vec_dot_q8_0_q8_1PKvPK10block_q8_1RKiEEEvS4_S4_PT_iii,"axG",@progbits,_ZL13mul_mat_vec_qIN3c108BFloat16ELi32ELi8E10block_q8_0Li2EXadL_ZL17vec_dot_q8_0_q8_1PKvPK10block_q8_1RKiEEEvS4_S4_PT_iii,comdat
	.globl	_ZL13mul_mat_vec_qIN3c108BFloat16ELi32ELi8E10block_q8_0Li2EXadL_ZL17vec_dot_q8_0_q8_1PKvPK10block_q8_1RKiEEEvS4_S4_PT_iii ; -- Begin function _ZL13mul_mat_vec_qIN3c108BFloat16ELi32ELi8E10block_q8_0Li2EXadL_ZL17vec_dot_q8_0_q8_1PKvPK10block_q8_1RKiEEEvS4_S4_PT_iii
	.p2align	8
	.type	_ZL13mul_mat_vec_qIN3c108BFloat16ELi32ELi8E10block_q8_0Li2EXadL_ZL17vec_dot_q8_0_q8_1PKvPK10block_q8_1RKiEEEvS4_S4_PT_iii,@function
_ZL13mul_mat_vec_qIN3c108BFloat16ELi32ELi8E10block_q8_0Li2EXadL_ZL17vec_dot_q8_0_q8_1PKvPK10block_q8_1RKiEEEvS4_S4_PT_iii: ; @_ZL13mul_mat_vec_qIN3c108BFloat16ELi32ELi8E10block_q8_0Li2EXadL_ZL17vec_dot_q8_0_q8_1PKvPK10block_q8_1RKiEEEvS4_S4_PT_iii
; %bb.0:
	s_load_dword s8, s[0:1], 0x34
	s_load_dwordx4 s[4:7], s[0:1], 0x18
	v_bfe_u32 v1, v0, 10, 10
	s_waitcnt lgkmcnt(0)
	s_lshr_b32 s7, s8, 16
	s_mul_i32 s2, s2, s7
	v_add_u32_e32 v2, s2, v1
	s_cmp_lt_u32 s3, s6
	v_cmp_gt_u32_e32 vcc, s5, v2
	s_cselect_b64 s[6:7], -1, 0
	s_and_b64 s[6:7], s[6:7], vcc
	s_and_saveexec_b64 s[8:9], s[6:7]
	s_cbranch_execz .LBB102_7
; %bb.1:
	s_load_dwordx2 s[6:7], s[0:1], 0x10
	s_ashr_i32 s2, s4, 31
	s_lshr_b32 s2, s2, 27
	s_add_i32 s2, s4, s2
	s_ashr_i32 s2, s2, 5
	v_bfe_u32 v5, v0, 2, 8
	v_and_b32_e32 v3, 0x3ff, v0
	v_cmp_gt_u32_e32 vcc, s2, v5
	v_mov_b32_e32 v4, 0
	s_and_saveexec_b64 s[12:13], vcc
	s_cbranch_execz .LBB102_5
; %bb.2:
	s_load_dwordx4 s[8:11], s[0:1], 0x0
	s_add_i32 s0, s4, 0x1ff
	s_ashr_i32 s1, s0, 31
	s_lshr_b32 s1, s1, 23
	s_add_i32 s0, s0, s1
	s_ashr_i32 s0, s0, 9
	s_mul_i32 s0, s3, s0
	v_lshlrev_b32_e32 v0, 3, v3
	v_mov_b32_e32 v1, 0
	v_mul_lo_u32 v6, v2, s2
	s_lshl_b32 s4, s0, 4
	v_and_b32_e32 v0, 24, v0
	s_mov_b64 s[0:1], 0
	v_mov_b32_e32 v4, v1
.LBB102_3:                              ; =>This Inner Loop Header: Depth=1
	v_add_u32_e32 v7, v6, v5
	v_add_u32_e32 v10, s4, v5
	s_waitcnt lgkmcnt(0)
	v_mad_i64_i32 v[8:9], s[14:15], v7, 34, s[8:9]
	v_mad_i64_i32 v[10:11], s[14:15], v10, 36, s[10:11]
	v_lshl_add_u64 v[12:13], v[8:9], 0, v[0:1]
	v_lshl_add_u64 v[14:15], v[10:11], 0, v[0:1]
	global_load_ushort v7, v[8:9], off
	global_load_dwordx2 v[16:17], v[12:13], off offset:2
	global_load_dwordx2 v[18:19], v[14:15], off offset:4
	global_load_dword v20, v[10:11], off
	v_mov_b32_e32 v8, 0
	v_add_u32_e32 v5, 16, v5
	v_cmp_le_u32_e32 vcc, s2, v5
	s_or_b64 s[0:1], vcc, s[0:1]
	s_waitcnt vmcnt(3)
	v_cvt_f32_f16_e32 v7, v7
	s_waitcnt vmcnt(1)
	v_dot4c_i32_i8_e32 v8, v16, v18
	s_waitcnt vmcnt(0)
	v_cvt_f32_f16_e32 v9, v20
	v_dot4c_i32_i8_e32 v8, v17, v19
	v_mul_f32_e32 v7, v7, v9
	s_nop 1
	v_cvt_f32_i32_e32 v8, v8
	v_fmac_f32_e32 v4, v7, v8
	s_andn2_b64 exec, exec, s[0:1]
	s_cbranch_execnz .LBB102_3
; %bb.4:
	s_or_b64 exec, exec, s[0:1]
.LBB102_5:
	s_or_b64 exec, exec, s[12:13]
	v_mbcnt_lo_u32_b32 v0, -1, 0
	v_mbcnt_hi_u32_b32 v1, -1, v0
	v_and_b32_e32 v0, 64, v1
	v_add_u32_e32 v5, 64, v0
	v_xor_b32_e32 v0, 32, v1
	v_cmp_lt_i32_e32 vcc, v0, v5
	v_xor_b32_e32 v6, 16, v1
	s_nop 0
	v_cndmask_b32_e32 v0, v1, v0, vcc
	v_lshlrev_b32_e32 v0, 2, v0
	ds_bpermute_b32 v0, v0, v4
	v_cmp_lt_i32_e32 vcc, v6, v5
	s_waitcnt lgkmcnt(0)
	v_add_f32_e32 v0, v4, v0
	v_cndmask_b32_e32 v4, v1, v6, vcc
	v_lshlrev_b32_e32 v4, 2, v4
	ds_bpermute_b32 v4, v4, v0
	v_xor_b32_e32 v6, 8, v1
	v_cmp_lt_i32_e32 vcc, v6, v5
	s_waitcnt lgkmcnt(0)
	v_add_f32_e32 v0, v0, v4
	v_cndmask_b32_e32 v4, v1, v6, vcc
	v_lshlrev_b32_e32 v4, 2, v4
	ds_bpermute_b32 v4, v4, v0
	v_xor_b32_e32 v6, 4, v1
	;; [unrolled: 7-line block ×4, first 2 shown]
	v_cmp_lt_i32_e32 vcc, v6, v5
	s_waitcnt lgkmcnt(0)
	v_add_f32_e32 v0, v0, v4
	v_cndmask_b32_e32 v1, v1, v6, vcc
	v_lshlrev_b32_e32 v1, 2, v1
	ds_bpermute_b32 v1, v1, v0
	v_cmp_eq_u32_e32 vcc, 0, v3
	s_and_b64 exec, exec, vcc
	s_cbranch_execz .LBB102_7
; %bb.6:
	s_waitcnt lgkmcnt(0)
	v_add_f32_e32 v0, v0, v1
	v_bfe_u32 v1, v0, 16, 1
	s_movk_i32 s0, 0x7fff
	v_add3_u32 v1, v0, v1, s0
	v_cmp_o_f32_e32 vcc, v0, v0
	v_mov_b32_e32 v0, 0x7fc0
	s_mul_i32 s0, s5, s3
	v_cndmask_b32_sdwa v3, v0, v1, vcc dst_sel:DWORD dst_unused:UNUSED_PAD src0_sel:DWORD src1_sel:WORD_1
	v_add_u32_e32 v0, s0, v2
	v_mov_b32_e32 v1, 0
	v_lshl_add_u64 v[0:1], v[0:1], 1, s[6:7]
	global_store_short v[0:1], v3, off
.LBB102_7:
	s_endpgm
	.section	.rodata,"a",@progbits
	.p2align	6, 0x0
	.amdhsa_kernel _ZL13mul_mat_vec_qIN3c108BFloat16ELi32ELi8E10block_q8_0Li2EXadL_ZL17vec_dot_q8_0_q8_1PKvPK10block_q8_1RKiEEEvS4_S4_PT_iii
		.amdhsa_group_segment_fixed_size 0
		.amdhsa_private_segment_fixed_size 0
		.amdhsa_kernarg_size 296
		.amdhsa_user_sgpr_count 2
		.amdhsa_user_sgpr_dispatch_ptr 0
		.amdhsa_user_sgpr_queue_ptr 0
		.amdhsa_user_sgpr_kernarg_segment_ptr 1
		.amdhsa_user_sgpr_dispatch_id 0
		.amdhsa_user_sgpr_kernarg_preload_length 0
		.amdhsa_user_sgpr_kernarg_preload_offset 0
		.amdhsa_user_sgpr_private_segment_size 0
		.amdhsa_uses_dynamic_stack 0
		.amdhsa_enable_private_segment 0
		.amdhsa_system_sgpr_workgroup_id_x 1
		.amdhsa_system_sgpr_workgroup_id_y 1
		.amdhsa_system_sgpr_workgroup_id_z 0
		.amdhsa_system_sgpr_workgroup_info 0
		.amdhsa_system_vgpr_workitem_id 1
		.amdhsa_next_free_vgpr 21
		.amdhsa_next_free_sgpr 16
		.amdhsa_accum_offset 24
		.amdhsa_reserve_vcc 1
		.amdhsa_float_round_mode_32 0
		.amdhsa_float_round_mode_16_64 0
		.amdhsa_float_denorm_mode_32 3
		.amdhsa_float_denorm_mode_16_64 3
		.amdhsa_dx10_clamp 1
		.amdhsa_ieee_mode 1
		.amdhsa_fp16_overflow 0
		.amdhsa_tg_split 0
		.amdhsa_exception_fp_ieee_invalid_op 0
		.amdhsa_exception_fp_denorm_src 0
		.amdhsa_exception_fp_ieee_div_zero 0
		.amdhsa_exception_fp_ieee_overflow 0
		.amdhsa_exception_fp_ieee_underflow 0
		.amdhsa_exception_fp_ieee_inexact 0
		.amdhsa_exception_int_div_zero 0
	.end_amdhsa_kernel
	.section	.text._ZL13mul_mat_vec_qIN3c108BFloat16ELi32ELi8E10block_q8_0Li2EXadL_ZL17vec_dot_q8_0_q8_1PKvPK10block_q8_1RKiEEEvS4_S4_PT_iii,"axG",@progbits,_ZL13mul_mat_vec_qIN3c108BFloat16ELi32ELi8E10block_q8_0Li2EXadL_ZL17vec_dot_q8_0_q8_1PKvPK10block_q8_1RKiEEEvS4_S4_PT_iii,comdat
.Lfunc_end102:
	.size	_ZL13mul_mat_vec_qIN3c108BFloat16ELi32ELi8E10block_q8_0Li2EXadL_ZL17vec_dot_q8_0_q8_1PKvPK10block_q8_1RKiEEEvS4_S4_PT_iii, .Lfunc_end102-_ZL13mul_mat_vec_qIN3c108BFloat16ELi32ELi8E10block_q8_0Li2EXadL_ZL17vec_dot_q8_0_q8_1PKvPK10block_q8_1RKiEEEvS4_S4_PT_iii
                                        ; -- End function
	.set _ZL13mul_mat_vec_qIN3c108BFloat16ELi32ELi8E10block_q8_0Li2EXadL_ZL17vec_dot_q8_0_q8_1PKvPK10block_q8_1RKiEEEvS4_S4_PT_iii.num_vgpr, 21
	.set _ZL13mul_mat_vec_qIN3c108BFloat16ELi32ELi8E10block_q8_0Li2EXadL_ZL17vec_dot_q8_0_q8_1PKvPK10block_q8_1RKiEEEvS4_S4_PT_iii.num_agpr, 0
	.set _ZL13mul_mat_vec_qIN3c108BFloat16ELi32ELi8E10block_q8_0Li2EXadL_ZL17vec_dot_q8_0_q8_1PKvPK10block_q8_1RKiEEEvS4_S4_PT_iii.numbered_sgpr, 16
	.set _ZL13mul_mat_vec_qIN3c108BFloat16ELi32ELi8E10block_q8_0Li2EXadL_ZL17vec_dot_q8_0_q8_1PKvPK10block_q8_1RKiEEEvS4_S4_PT_iii.num_named_barrier, 0
	.set _ZL13mul_mat_vec_qIN3c108BFloat16ELi32ELi8E10block_q8_0Li2EXadL_ZL17vec_dot_q8_0_q8_1PKvPK10block_q8_1RKiEEEvS4_S4_PT_iii.private_seg_size, 0
	.set _ZL13mul_mat_vec_qIN3c108BFloat16ELi32ELi8E10block_q8_0Li2EXadL_ZL17vec_dot_q8_0_q8_1PKvPK10block_q8_1RKiEEEvS4_S4_PT_iii.uses_vcc, 1
	.set _ZL13mul_mat_vec_qIN3c108BFloat16ELi32ELi8E10block_q8_0Li2EXadL_ZL17vec_dot_q8_0_q8_1PKvPK10block_q8_1RKiEEEvS4_S4_PT_iii.uses_flat_scratch, 0
	.set _ZL13mul_mat_vec_qIN3c108BFloat16ELi32ELi8E10block_q8_0Li2EXadL_ZL17vec_dot_q8_0_q8_1PKvPK10block_q8_1RKiEEEvS4_S4_PT_iii.has_dyn_sized_stack, 0
	.set _ZL13mul_mat_vec_qIN3c108BFloat16ELi32ELi8E10block_q8_0Li2EXadL_ZL17vec_dot_q8_0_q8_1PKvPK10block_q8_1RKiEEEvS4_S4_PT_iii.has_recursion, 0
	.set _ZL13mul_mat_vec_qIN3c108BFloat16ELi32ELi8E10block_q8_0Li2EXadL_ZL17vec_dot_q8_0_q8_1PKvPK10block_q8_1RKiEEEvS4_S4_PT_iii.has_indirect_call, 0
	.section	.AMDGPU.csdata,"",@progbits
; Kernel info:
; codeLenInByte = 644
; TotalNumSgprs: 22
; NumVgprs: 21
; NumAgprs: 0
; TotalNumVgprs: 21
; ScratchSize: 0
; MemoryBound: 0
; FloatMode: 240
; IeeeMode: 1
; LDSByteSize: 0 bytes/workgroup (compile time only)
; SGPRBlocks: 2
; VGPRBlocks: 2
; NumSGPRsForWavesPerEU: 22
; NumVGPRsForWavesPerEU: 21
; AccumOffset: 24
; Occupancy: 8
; WaveLimiterHint : 0
; COMPUTE_PGM_RSRC2:SCRATCH_EN: 0
; COMPUTE_PGM_RSRC2:USER_SGPR: 2
; COMPUTE_PGM_RSRC2:TRAP_HANDLER: 0
; COMPUTE_PGM_RSRC2:TGID_X_EN: 1
; COMPUTE_PGM_RSRC2:TGID_Y_EN: 1
; COMPUTE_PGM_RSRC2:TGID_Z_EN: 0
; COMPUTE_PGM_RSRC2:TIDIG_COMP_CNT: 1
; COMPUTE_PGM_RSRC3_GFX90A:ACCUM_OFFSET: 5
; COMPUTE_PGM_RSRC3_GFX90A:TG_SPLIT: 0
	.section	.text._ZL13mul_mat_vec_qIN3c108BFloat16ELi256ELi16E10block_q2_KLi1EXadL_ZL17vec_dot_q2_K_q8_1PKvPK10block_q8_1RKiEEEvS4_S4_PT_iii,"axG",@progbits,_ZL13mul_mat_vec_qIN3c108BFloat16ELi256ELi16E10block_q2_KLi1EXadL_ZL17vec_dot_q2_K_q8_1PKvPK10block_q8_1RKiEEEvS4_S4_PT_iii,comdat
	.globl	_ZL13mul_mat_vec_qIN3c108BFloat16ELi256ELi16E10block_q2_KLi1EXadL_ZL17vec_dot_q2_K_q8_1PKvPK10block_q8_1RKiEEEvS4_S4_PT_iii ; -- Begin function _ZL13mul_mat_vec_qIN3c108BFloat16ELi256ELi16E10block_q2_KLi1EXadL_ZL17vec_dot_q2_K_q8_1PKvPK10block_q8_1RKiEEEvS4_S4_PT_iii
	.p2align	8
	.type	_ZL13mul_mat_vec_qIN3c108BFloat16ELi256ELi16E10block_q2_KLi1EXadL_ZL17vec_dot_q2_K_q8_1PKvPK10block_q8_1RKiEEEvS4_S4_PT_iii,@function
_ZL13mul_mat_vec_qIN3c108BFloat16ELi256ELi16E10block_q2_KLi1EXadL_ZL17vec_dot_q2_K_q8_1PKvPK10block_q8_1RKiEEEvS4_S4_PT_iii: ; @_ZL13mul_mat_vec_qIN3c108BFloat16ELi256ELi16E10block_q2_KLi1EXadL_ZL17vec_dot_q2_K_q8_1PKvPK10block_q8_1RKiEEEvS4_S4_PT_iii
; %bb.0:
	s_load_dword s8, s[0:1], 0x34
	s_load_dwordx4 s[4:7], s[0:1], 0x18
	v_bfe_u32 v1, v0, 10, 10
	s_waitcnt lgkmcnt(0)
	s_lshr_b32 s7, s8, 16
	s_mul_i32 s2, s2, s7
	v_add_u32_e32 v10, s2, v1
	s_cmp_lt_u32 s3, s6
	v_cmp_gt_u32_e32 vcc, s5, v10
	s_cselect_b64 s[6:7], -1, 0
	s_and_b64 s[6:7], s[6:7], vcc
	s_and_saveexec_b64 s[8:9], s[6:7]
	s_cbranch_execz .LBB103_7
; %bb.1:
	s_load_dwordx2 s[6:7], s[0:1], 0x10
	s_ashr_i32 s2, s4, 31
	s_lshr_b32 s2, s2, 24
	s_add_i32 s2, s4, s2
	s_ashr_i32 s2, s2, 8
	v_bfe_u32 v12, v0, 4, 6
	v_and_b32_e32 v11, 0x3ff, v0
	v_cmp_gt_u32_e32 vcc, s2, v12
	v_mov_b32_e32 v14, 0
	s_and_saveexec_b64 s[8:9], vcc
	s_cbranch_execz .LBB103_5
; %bb.2:
	s_load_dwordx4 s[12:15], s[0:1], 0x0
	s_add_i32 s0, s4, 0x1ff
	s_ashr_i32 s1, s0, 31
	v_and_b32_e32 v8, 15, v11
	s_lshr_b32 s1, s1, 23
	v_mov_b32_e32 v1, 0
	v_subrev_co_u32_e32 v2, vcc, 8, v8
	s_add_i32 s0, s0, s1
	v_lshrrev_b32_e32 v0, 1, v11
	v_cndmask_b32_e32 v6, v2, v8, vcc
	v_mov_b32_e32 v7, v1
	s_ashr_i32 s0, s0, 9
	v_and_b32_e32 v4, 4, v0
	v_lshlrev_b64 v[2:3], 2, v[6:7]
	v_sub_u32_e32 v7, v8, v6
	v_cmp_lt_u32_e32 vcc, 3, v6
	s_mul_i32 s4, s3, s0
	v_lshlrev_b32_e32 v0, 2, v8
	s_waitcnt lgkmcnt(0)
	v_mad_u64_u32 v[4:5], s[0:1], v4, 36, s[14:15]
	v_addc_co_u32_e32 v6, vcc, 0, v7, vcc
	v_lshlrev_b32_e32 v8, 3, v12
	v_mul_lo_u32 v13, v10, s2
	v_ashrrev_i32_e32 v7, 31, v6
	v_lshl_add_u32 v15, s4, 4, v8
	s_mov_b64 s[0:1], 0
	s_movk_i32 s4, 0x54
	v_mov_b64_e32 v[8:9], s[12:13]
	s_mov_b32 s10, 0x1010101
	v_mov_b32_e32 v14, v1
.LBB103_3:                              ; =>This Inner Loop Header: Depth=1
	v_mad_i64_i32 v[16:17], s[12:13], v15, 36, v[4:5]
	v_add_u32_e32 v18, v13, v12
	v_lshl_add_u64 v[20:21], v[16:17], 0, v[2:3]
	v_mad_i64_i32 v[18:19], s[12:13], v18, s4, v[8:9]
	global_load_dword v24, v[16:17], off
	global_load_dword v25, v[16:17], off offset:36
	global_load_dword v26, v[16:17], off offset:72
	global_load_dword v27, v[20:21], off offset:4
	global_load_dword v28, v[20:21], off offset:40
	global_load_dword v29, v[20:21], off offset:76
	global_load_dword v30, v[20:21], off offset:112
	global_load_dword v31, v[16:17], off offset:108
	v_lshl_add_u64 v[22:23], v[18:19], 0, v[0:1]
	v_lshl_add_u64 v[16:17], v[18:19], 0, v[6:7]
	global_load_dword v21, v[22:23], off offset:16
	global_load_ubyte v32, v[16:17], off
	global_load_ubyte v33, v[16:17], off offset:2
	global_load_ubyte v34, v[16:17], off offset:4
	;; [unrolled: 1-line block ×3, first 2 shown]
	global_load_dword v36, v[18:19], off offset:80
	v_mov_b32_e32 v17, 0
	v_mov_b32_e32 v19, 0
	;; [unrolled: 1-line block ×8, first 2 shown]
	v_add_u32_e32 v12, 4, v12
	v_cmp_le_u32_e32 vcc, s2, v12
	v_add_u32_e32 v15, 32, v15
	s_or_b64 s[0:1], vcc, s[0:1]
	s_waitcnt vmcnt(13)
	v_cvt_f32_f16_e32 v16, v24
	s_waitcnt vmcnt(5)
	v_lshrrev_b32_e32 v42, 2, v21
	v_cvt_f32_f16_e32 v20, v26
	v_cvt_f32_f16_e32 v22, v31
	v_and_b32_e32 v26, 0x3030303, v21
	s_waitcnt vmcnt(4)
	v_and_b32_e32 v31, 15, v32
	v_lshrrev_b32_e32 v32, 4, v32
	s_waitcnt vmcnt(3)
	v_and_b32_e32 v43, 15, v33
	v_lshrrev_b32_e32 v33, 4, v33
	v_lshrrev_b32_e32 v44, 4, v21
	v_lshrrev_b32_e32 v21, 6, v21
	v_dot4c_i32_i8_e32 v17, v26, v27
	v_mul_lo_u32 v26, v32, s10
	v_and_b32_e32 v32, 0x3030303, v42
	v_cvt_f32_f16_e32 v18, v25
	s_waitcnt vmcnt(2)
	v_and_b32_e32 v45, 15, v34
	v_lshrrev_b32_e32 v34, 4, v34
	s_waitcnt vmcnt(0)
	v_cvt_f32_f16_e32 v24, v36
	v_cvt_f32_f16_sdwa v25, v36 dst_sel:DWORD dst_unused:UNUSED_PAD src0_sel:WORD_1
	v_mul_lo_u32 v33, v33, s10
	v_and_b32_e32 v36, 0x3030303, v44
	v_and_b32_e32 v21, 0x3030303, v21
	v_mul_lo_u32 v17, v31, v17
	v_dot4c_i32_i8_e32 v19, v26, v27
	v_dot4c_i32_i8_e32 v23, v32, v28
	v_and_b32_e32 v46, 15, v35
	v_lshrrev_b32_e32 v35, 4, v35
	v_mul_lo_u32 v34, v34, s10
	v_dot4c_i32_i8_e32 v37, v33, v28
	v_dot4c_i32_i8_e32 v38, v36, v29
	;; [unrolled: 1-line block ×3, first 2 shown]
	v_mul_lo_u32 v21, v43, v23
	v_cvt_f32_i32_e32 v27, v19
	v_cvt_f32_i32_e32 v26, v17
	v_mul_lo_u32 v35, v35, s10
	v_dot4c_i32_i8_e32 v39, v34, v29
	v_mul_lo_u32 v23, v45, v38
	v_cvt_f32_i32_e32 v29, v37
	v_cvt_f32_i32_e32 v28, v21
	v_dot4c_i32_i8_e32 v41, v35, v30
	v_mul_lo_u32 v32, v46, v40
	v_cvt_f32_i32_e32 v31, v39
	v_cvt_f32_i32_e32 v30, v23
	;; [unrolled: 1-line block ×4, first 2 shown]
	v_pk_fma_f32 v[16:17], v[16:17], v[26:27], 0 op_sel_hi:[0,1,0]
	v_pk_fma_f32 v[16:17], v[18:19], v[28:29], v[16:17] op_sel_hi:[0,1,1]
	;; [unrolled: 1-line block ×4, first 2 shown]
	v_pk_mul_f32 v[16:17], v[16:17], v[24:25]
	s_nop 0
	v_sub_f32_e32 v16, v16, v17
	v_add_f32_e32 v14, v14, v16
	s_andn2_b64 exec, exec, s[0:1]
	s_cbranch_execnz .LBB103_3
; %bb.4:
	s_or_b64 exec, exec, s[0:1]
.LBB103_5:
	s_or_b64 exec, exec, s[8:9]
	v_mbcnt_lo_u32_b32 v0, -1, 0
	v_mbcnt_hi_u32_b32 v1, -1, v0
	v_and_b32_e32 v0, 64, v1
	v_add_u32_e32 v2, 64, v0
	v_xor_b32_e32 v0, 32, v1
	v_cmp_lt_i32_e32 vcc, v0, v2
	v_xor_b32_e32 v3, 16, v1
	v_xor_b32_e32 v4, 8, v1
	v_cndmask_b32_e32 v0, v1, v0, vcc
	v_lshlrev_b32_e32 v0, 2, v0
	ds_bpermute_b32 v0, v0, v14
	v_cmp_lt_i32_e32 vcc, v3, v2
	s_waitcnt lgkmcnt(0)
	v_add_f32_e32 v0, v14, v0
	v_cndmask_b32_e32 v3, v1, v3, vcc
	v_lshlrev_b32_e32 v3, 2, v3
	ds_bpermute_b32 v3, v3, v0
	v_cmp_lt_i32_e32 vcc, v4, v2
	s_waitcnt lgkmcnt(0)
	v_add_f32_e32 v0, v0, v3
	v_cndmask_b32_e32 v3, v1, v4, vcc
	v_lshlrev_b32_e32 v3, 2, v3
	ds_bpermute_b32 v3, v3, v0
	v_xor_b32_e32 v4, 4, v1
	v_cmp_lt_i32_e32 vcc, v4, v2
	s_waitcnt lgkmcnt(0)
	v_add_f32_e32 v0, v0, v3
	v_cndmask_b32_e32 v3, v1, v4, vcc
	v_lshlrev_b32_e32 v3, 2, v3
	ds_bpermute_b32 v3, v3, v0
	v_xor_b32_e32 v4, 2, v1
	;; [unrolled: 7-line block ×3, first 2 shown]
	v_cmp_lt_i32_e32 vcc, v4, v2
	s_waitcnt lgkmcnt(0)
	v_add_f32_e32 v0, v0, v3
	v_cndmask_b32_e32 v1, v1, v4, vcc
	v_lshlrev_b32_e32 v1, 2, v1
	ds_bpermute_b32 v1, v1, v0
	v_cmp_eq_u32_e32 vcc, 0, v11
	s_and_b64 exec, exec, vcc
	s_cbranch_execz .LBB103_7
; %bb.6:
	s_waitcnt lgkmcnt(0)
	v_add_f32_e32 v0, v0, v1
	v_bfe_u32 v1, v0, 16, 1
	s_movk_i32 s0, 0x7fff
	v_add3_u32 v1, v0, v1, s0
	v_cmp_o_f32_e32 vcc, v0, v0
	v_mov_b32_e32 v0, 0x7fc0
	s_mul_i32 s0, s5, s3
	v_cndmask_b32_sdwa v2, v0, v1, vcc dst_sel:DWORD dst_unused:UNUSED_PAD src0_sel:DWORD src1_sel:WORD_1
	v_add_u32_e32 v0, s0, v10
	v_mov_b32_e32 v1, 0
	v_lshl_add_u64 v[0:1], v[0:1], 1, s[6:7]
	global_store_short v[0:1], v2, off
.LBB103_7:
	s_endpgm
	.section	.rodata,"a",@progbits
	.p2align	6, 0x0
	.amdhsa_kernel _ZL13mul_mat_vec_qIN3c108BFloat16ELi256ELi16E10block_q2_KLi1EXadL_ZL17vec_dot_q2_K_q8_1PKvPK10block_q8_1RKiEEEvS4_S4_PT_iii
		.amdhsa_group_segment_fixed_size 0
		.amdhsa_private_segment_fixed_size 0
		.amdhsa_kernarg_size 296
		.amdhsa_user_sgpr_count 2
		.amdhsa_user_sgpr_dispatch_ptr 0
		.amdhsa_user_sgpr_queue_ptr 0
		.amdhsa_user_sgpr_kernarg_segment_ptr 1
		.amdhsa_user_sgpr_dispatch_id 0
		.amdhsa_user_sgpr_kernarg_preload_length 0
		.amdhsa_user_sgpr_kernarg_preload_offset 0
		.amdhsa_user_sgpr_private_segment_size 0
		.amdhsa_uses_dynamic_stack 0
		.amdhsa_enable_private_segment 0
		.amdhsa_system_sgpr_workgroup_id_x 1
		.amdhsa_system_sgpr_workgroup_id_y 1
		.amdhsa_system_sgpr_workgroup_id_z 0
		.amdhsa_system_sgpr_workgroup_info 0
		.amdhsa_system_vgpr_workitem_id 1
		.amdhsa_next_free_vgpr 47
		.amdhsa_next_free_sgpr 16
		.amdhsa_accum_offset 48
		.amdhsa_reserve_vcc 1
		.amdhsa_float_round_mode_32 0
		.amdhsa_float_round_mode_16_64 0
		.amdhsa_float_denorm_mode_32 3
		.amdhsa_float_denorm_mode_16_64 3
		.amdhsa_dx10_clamp 1
		.amdhsa_ieee_mode 1
		.amdhsa_fp16_overflow 0
		.amdhsa_tg_split 0
		.amdhsa_exception_fp_ieee_invalid_op 0
		.amdhsa_exception_fp_denorm_src 0
		.amdhsa_exception_fp_ieee_div_zero 0
		.amdhsa_exception_fp_ieee_overflow 0
		.amdhsa_exception_fp_ieee_underflow 0
		.amdhsa_exception_fp_ieee_inexact 0
		.amdhsa_exception_int_div_zero 0
	.end_amdhsa_kernel
	.section	.text._ZL13mul_mat_vec_qIN3c108BFloat16ELi256ELi16E10block_q2_KLi1EXadL_ZL17vec_dot_q2_K_q8_1PKvPK10block_q8_1RKiEEEvS4_S4_PT_iii,"axG",@progbits,_ZL13mul_mat_vec_qIN3c108BFloat16ELi256ELi16E10block_q2_KLi1EXadL_ZL17vec_dot_q2_K_q8_1PKvPK10block_q8_1RKiEEEvS4_S4_PT_iii,comdat
.Lfunc_end103:
	.size	_ZL13mul_mat_vec_qIN3c108BFloat16ELi256ELi16E10block_q2_KLi1EXadL_ZL17vec_dot_q2_K_q8_1PKvPK10block_q8_1RKiEEEvS4_S4_PT_iii, .Lfunc_end103-_ZL13mul_mat_vec_qIN3c108BFloat16ELi256ELi16E10block_q2_KLi1EXadL_ZL17vec_dot_q2_K_q8_1PKvPK10block_q8_1RKiEEEvS4_S4_PT_iii
                                        ; -- End function
	.set _ZL13mul_mat_vec_qIN3c108BFloat16ELi256ELi16E10block_q2_KLi1EXadL_ZL17vec_dot_q2_K_q8_1PKvPK10block_q8_1RKiEEEvS4_S4_PT_iii.num_vgpr, 47
	.set _ZL13mul_mat_vec_qIN3c108BFloat16ELi256ELi16E10block_q2_KLi1EXadL_ZL17vec_dot_q2_K_q8_1PKvPK10block_q8_1RKiEEEvS4_S4_PT_iii.num_agpr, 0
	.set _ZL13mul_mat_vec_qIN3c108BFloat16ELi256ELi16E10block_q2_KLi1EXadL_ZL17vec_dot_q2_K_q8_1PKvPK10block_q8_1RKiEEEvS4_S4_PT_iii.numbered_sgpr, 16
	.set _ZL13mul_mat_vec_qIN3c108BFloat16ELi256ELi16E10block_q2_KLi1EXadL_ZL17vec_dot_q2_K_q8_1PKvPK10block_q8_1RKiEEEvS4_S4_PT_iii.num_named_barrier, 0
	.set _ZL13mul_mat_vec_qIN3c108BFloat16ELi256ELi16E10block_q2_KLi1EXadL_ZL17vec_dot_q2_K_q8_1PKvPK10block_q8_1RKiEEEvS4_S4_PT_iii.private_seg_size, 0
	.set _ZL13mul_mat_vec_qIN3c108BFloat16ELi256ELi16E10block_q2_KLi1EXadL_ZL17vec_dot_q2_K_q8_1PKvPK10block_q8_1RKiEEEvS4_S4_PT_iii.uses_vcc, 1
	.set _ZL13mul_mat_vec_qIN3c108BFloat16ELi256ELi16E10block_q2_KLi1EXadL_ZL17vec_dot_q2_K_q8_1PKvPK10block_q8_1RKiEEEvS4_S4_PT_iii.uses_flat_scratch, 0
	.set _ZL13mul_mat_vec_qIN3c108BFloat16ELi256ELi16E10block_q2_KLi1EXadL_ZL17vec_dot_q2_K_q8_1PKvPK10block_q8_1RKiEEEvS4_S4_PT_iii.has_dyn_sized_stack, 0
	.set _ZL13mul_mat_vec_qIN3c108BFloat16ELi256ELi16E10block_q2_KLi1EXadL_ZL17vec_dot_q2_K_q8_1PKvPK10block_q8_1RKiEEEvS4_S4_PT_iii.has_recursion, 0
	.set _ZL13mul_mat_vec_qIN3c108BFloat16ELi256ELi16E10block_q2_KLi1EXadL_ZL17vec_dot_q2_K_q8_1PKvPK10block_q8_1RKiEEEvS4_S4_PT_iii.has_indirect_call, 0
	.section	.AMDGPU.csdata,"",@progbits
; Kernel info:
; codeLenInByte = 1096
; TotalNumSgprs: 22
; NumVgprs: 47
; NumAgprs: 0
; TotalNumVgprs: 47
; ScratchSize: 0
; MemoryBound: 0
; FloatMode: 240
; IeeeMode: 1
; LDSByteSize: 0 bytes/workgroup (compile time only)
; SGPRBlocks: 2
; VGPRBlocks: 5
; NumSGPRsForWavesPerEU: 22
; NumVGPRsForWavesPerEU: 47
; AccumOffset: 48
; Occupancy: 8
; WaveLimiterHint : 0
; COMPUTE_PGM_RSRC2:SCRATCH_EN: 0
; COMPUTE_PGM_RSRC2:USER_SGPR: 2
; COMPUTE_PGM_RSRC2:TRAP_HANDLER: 0
; COMPUTE_PGM_RSRC2:TGID_X_EN: 1
; COMPUTE_PGM_RSRC2:TGID_Y_EN: 1
; COMPUTE_PGM_RSRC2:TGID_Z_EN: 0
; COMPUTE_PGM_RSRC2:TIDIG_COMP_CNT: 1
; COMPUTE_PGM_RSRC3_GFX90A:ACCUM_OFFSET: 11
; COMPUTE_PGM_RSRC3_GFX90A:TG_SPLIT: 0
	.section	.text._ZL13mul_mat_vec_qIN3c108BFloat16ELi256ELi16E10block_q3_KLi1EXadL_ZL17vec_dot_q3_K_q8_1PKvPK10block_q8_1RKiEEEvS4_S4_PT_iii,"axG",@progbits,_ZL13mul_mat_vec_qIN3c108BFloat16ELi256ELi16E10block_q3_KLi1EXadL_ZL17vec_dot_q3_K_q8_1PKvPK10block_q8_1RKiEEEvS4_S4_PT_iii,comdat
	.globl	_ZL13mul_mat_vec_qIN3c108BFloat16ELi256ELi16E10block_q3_KLi1EXadL_ZL17vec_dot_q3_K_q8_1PKvPK10block_q8_1RKiEEEvS4_S4_PT_iii ; -- Begin function _ZL13mul_mat_vec_qIN3c108BFloat16ELi256ELi16E10block_q3_KLi1EXadL_ZL17vec_dot_q3_K_q8_1PKvPK10block_q8_1RKiEEEvS4_S4_PT_iii
	.p2align	8
	.type	_ZL13mul_mat_vec_qIN3c108BFloat16ELi256ELi16E10block_q3_KLi1EXadL_ZL17vec_dot_q3_K_q8_1PKvPK10block_q8_1RKiEEEvS4_S4_PT_iii,@function
_ZL13mul_mat_vec_qIN3c108BFloat16ELi256ELi16E10block_q3_KLi1EXadL_ZL17vec_dot_q3_K_q8_1PKvPK10block_q8_1RKiEEEvS4_S4_PT_iii: ; @_ZL13mul_mat_vec_qIN3c108BFloat16ELi256ELi16E10block_q3_KLi1EXadL_ZL17vec_dot_q3_K_q8_1PKvPK10block_q8_1RKiEEEvS4_S4_PT_iii
; %bb.0:
	s_load_dword s8, s[0:1], 0x34
	s_load_dwordx4 s[4:7], s[0:1], 0x18
	v_bfe_u32 v1, v0, 10, 10
	s_waitcnt lgkmcnt(0)
	s_lshr_b32 s7, s8, 16
	s_mul_i32 s2, s2, s7
	v_add_u32_e32 v24, s2, v1
	s_cmp_lt_u32 s3, s6
	v_cmp_gt_u32_e32 vcc, s5, v24
	s_cselect_b64 s[6:7], -1, 0
	s_and_b64 s[6:7], s[6:7], vcc
	s_and_saveexec_b64 s[8:9], s[6:7]
	s_cbranch_execz .LBB104_7
; %bb.1:
	s_load_dwordx2 s[6:7], s[0:1], 0x10
	s_ashr_i32 s2, s4, 31
	s_lshr_b32 s2, s2, 24
	s_add_i32 s2, s4, s2
	s_ashr_i32 s2, s2, 8
	v_bfe_u32 v26, v0, 4, 6
	v_and_b32_e32 v25, 0x3ff, v0
	v_cmp_gt_u32_e32 vcc, s2, v26
	v_mov_b32_e32 v35, 0
	s_and_saveexec_b64 s[12:13], vcc
	s_cbranch_execz .LBB104_5
; %bb.2:
	v_and_b32_e32 v8, 15, v25
	v_lshrrev_b32_e32 v0, 1, v25
	v_and_b32_e32 v28, 4, v0
	v_subrev_co_u32_e32 v0, vcc, 8, v8
	v_mov_b32_e32 v1, 0
	s_nop 0
	v_cndmask_b32_e32 v6, v0, v8, vcc
	v_mov_b32_e32 v7, v1
	v_lshlrev_b64 v[2:3], 2, v[6:7]
	v_sub_u32_e32 v7, v8, v6
	v_cmp_lt_u32_e32 vcc, 3, v6
	v_mov_b32_e32 v19, 7
	v_lshlrev_b32_e32 v0, 2, v8
	v_addc_co_u32_e32 v18, vcc, 0, v7, vcc
	v_add_u16_e32 v12, 2, v18
	v_lshrrev_b16_sdwa v8, v19, sext(v18) dst_sel:DWORD dst_unused:UNUSED_PAD src0_sel:DWORD src1_sel:BYTE_0
	v_mov_b32_e32 v20, 5
	v_mov_b32_e32 v23, 6
	v_lshrrev_b16_sdwa v13, v19, sext(v12) dst_sel:DWORD dst_unused:UNUSED_PAD src0_sel:DWORD src1_sel:BYTE_0
	v_lshrrev_b16_sdwa v6, v20, v8 dst_sel:DWORD dst_unused:UNUSED_PAD src0_sel:DWORD src1_sel:BYTE_0
	v_lshrrev_b16_sdwa v8, v23, v8 dst_sel:DWORD dst_unused:UNUSED_PAD src0_sel:DWORD src1_sel:BYTE_0
	;; [unrolled: 1-line block ×4, first 2 shown]
	v_add_u16_e32 v6, v18, v6
	v_mov_b32_e32 v21, 3
	v_mov_b32_e32 v22, 2
	v_add_u16_e32 v8, v18, v8
	v_add_u16_e32 v13, v12, v13
	v_add_u16_e32 v16, 4, v18
	v_add_u16_e32 v37, 6, v18
	s_load_dwordx4 s[8:11], s[0:1], 0x0
	s_add_i32 s0, s4, 0x1ff
	v_lshrrev_b16_sdwa v7, v21, sext(v6) dst_sel:DWORD dst_unused:UNUSED_PAD src0_sel:DWORD src1_sel:BYTE_0
	v_and_b32_e32 v6, 0xf8, v6
	v_ashrrev_i16_sdwa v9, v22, sext(v8) dst_sel:DWORD dst_unused:UNUSED_PAD src0_sel:DWORD src1_sel:BYTE_0
	v_and_b32_e32 v8, 0xfc, v8
	v_mov_b32_e32 v35, 1
	v_ashrrev_i16_sdwa v14, v22, sext(v13) dst_sel:DWORD dst_unused:UNUSED_PAD src0_sel:DWORD src1_sel:BYTE_0
	v_lshrrev_b16_sdwa v17, v19, sext(v16) dst_sel:DWORD dst_unused:UNUSED_PAD src0_sel:DWORD src1_sel:BYTE_0
	v_lshrrev_b16_sdwa v38, v19, sext(v37) dst_sel:DWORD dst_unused:UNUSED_PAD src0_sel:DWORD src1_sel:BYTE_0
	s_ashr_i32 s1, s0, 31
	v_sub_u16_e32 v6, v18, v6
	v_sub_u16_e32 v8, v18, v8
	v_lshlrev_b32_sdwa v32, v35, sext(v14) dst_sel:DWORD dst_unused:UNUSED_PAD src0_sel:DWORD src1_sel:WORD_0
	v_lshrrev_b16_sdwa v14, v20, v17 dst_sel:DWORD dst_unused:UNUSED_PAD src0_sel:DWORD src1_sel:BYTE_0
	v_lshrrev_b16_sdwa v17, v23, v17 dst_sel:DWORD dst_unused:UNUSED_PAD src0_sel:DWORD src1_sel:BYTE_0
	;; [unrolled: 1-line block ×4, first 2 shown]
	s_lshr_b32 s1, s1, 23
	v_add_u16_e32 v10, v12, v10
	v_add_u16_e32 v14, v16, v14
	;; [unrolled: 1-line block ×5, first 2 shown]
	s_add_i32 s0, s0, s1
	v_lshrrev_b16_sdwa v11, v21, sext(v10) dst_sel:DWORD dst_unused:UNUSED_PAD src0_sel:DWORD src1_sel:BYTE_0
	v_and_b32_e32 v10, 0xf8, v10
	v_and_b32_e32 v13, 0xfc, v13
	v_lshrrev_b16_sdwa v15, v21, sext(v14) dst_sel:DWORD dst_unused:UNUSED_PAD src0_sel:DWORD src1_sel:BYTE_0
	v_and_b32_e32 v14, 0xf8, v14
	v_lshrrev_b16_sdwa v34, v22, sext(v17) dst_sel:DWORD dst_unused:UNUSED_PAD src0_sel:DWORD src1_sel:BYTE_0
	;; [unrolled: 2-line block ×4, first 2 shown]
	v_and_b32_e32 v20, 0xfc, v20
	s_ashr_i32 s0, s0, 9
	v_sub_u16_e32 v10, v12, v10
	v_sub_u16_e32 v12, v12, v13
	;; [unrolled: 1-line block ×6, first 2 shown]
	s_mul_i32 s14, s3, s0
	s_waitcnt lgkmcnt(0)
	v_mad_u64_u32 v[4:5], s[0:1], v28, 36, s[10:11]
	v_lshlrev_b32_sdwa v29, v22, v7 dst_sel:DWORD dst_unused:UNUSED_PAD src0_sel:DWORD src1_sel:BYTE_0
	v_bfe_i32 v6, v6, 0, 8
	v_bfe_i32 v8, v8, 0, 8
	v_lshlrev_b32_sdwa v31, v22, v11 dst_sel:DWORD dst_unused:UNUSED_PAD src0_sel:DWORD src1_sel:BYTE_0
	v_bfe_i32 v10, v10, 0, 8
	v_bfe_i32 v12, v12, 0, 8
	;; [unrolled: 3-line block ×4, first 2 shown]
	v_lshlrev_b32_e32 v22, 3, v26
	v_mul_lo_u32 v27, v24, s2
	s_movk_i32 s4, 0xff
	v_ashrrev_i32_e32 v7, 31, v6
	v_lshlrev_b32_sdwa v30, v35, sext(v9) dst_sel:DWORD dst_unused:UNUSED_PAD src0_sel:DWORD src1_sel:WORD_0
	v_ashrrev_i32_e32 v9, 31, v8
	v_ashrrev_i32_e32 v11, 31, v10
	v_ashrrev_i32_e32 v13, 31, v12
	v_ashrrev_i32_e32 v15, 31, v14
	v_lshlrev_b32_sdwa v34, v35, v34 dst_sel:DWORD dst_unused:UNUSED_PAD src0_sel:DWORD src1_sel:BYTE_0
	v_ashrrev_i32_e32 v17, 31, v16
	v_ashrrev_i32_e32 v19, 31, v18
	v_lshlrev_b32_sdwa v37, v35, v21 dst_sel:DWORD dst_unused:UNUSED_PAD src0_sel:DWORD src1_sel:BYTE_0
	v_ashrrev_i32_e32 v21, 31, v20
	v_lshl_add_u32 v38, s14, 4, v22
	s_mov_b64 s[0:1], 0
	s_movk_i32 s10, 0x6e
	s_mov_b32 s11, 0x4040404
	v_mov_b32_e32 v35, v1
.LBB104_3:                              ; =>This Inner Loop Header: Depth=1
	v_add_u32_e32 v39, v27, v26
	v_mov_b64_e32 v[22:23], s[8:9]
	v_mad_i64_i32 v[22:23], s[14:15], v39, s10, v[22:23]
	v_lshl_add_u64 v[40:41], v[22:23], 0, v[0:1]
	global_load_dword v44, v[40:41], off offset:32
	v_lshl_add_u64 v[40:41], v[22:23], 0, v[2:3]
	global_load_ushort v39, v[22:23], off offset:108
	global_load_dword v45, v[40:41], off
	v_mad_i64_i32 v[40:41], s[14:15], v38, 36, v[4:5]
	v_lshl_add_u64 v[42:43], v[40:41], 0, v[2:3]
	global_load_dword v46, v[42:43], off offset:4
	global_load_dword v47, v[40:41], off
	global_load_dword v48, v[42:43], off offset:40
	global_load_dword v49, v[40:41], off offset:36
	;; [unrolled: 1-line block ×6, first 2 shown]
	v_lshl_add_u64 v[40:41], v[22:23], 0, v[6:7]
	global_load_ubyte v40, v[40:41], off offset:96
	v_add_u32_e32 v26, 4, v26
	v_cmp_le_u32_e32 vcc, s2, v26
	v_add_u32_e32 v38, 32, v38
	s_or_b64 s[0:1], vcc, s[0:1]
	s_waitcnt vmcnt(9)
	v_ashrrev_i32_e32 v42, v28, v45
	v_not_b32_e32 v43, v42
	v_lshlrev_b32_e32 v54, 2, v43
	v_and_b32_e32 v54, 0x4040404, v54
	v_bitop3_b32 v42, v42, s11, v42 bitop3:0xc
	s_waitcnt vmcnt(0)
	v_bfe_u32 v45, v40, v29, 4
	v_lshl_add_u64 v[40:41], v[22:23], 0, v[8:9]
	global_load_ubyte v40, v[40:41], off offset:104
	v_bfe_u32 v41, v44, 24, 2
	v_sub_u16_sdwa v41, v41, v54 dst_sel:BYTE_1 dst_unused:UNUSED_PAD src0_sel:DWORD src1_sel:BYTE_3
	s_waitcnt vmcnt(0)
	v_lshrrev_b32_e32 v40, v30, v40
	v_lshlrev_b32_e32 v40, 4, v40
	v_and_or_b32 v40, v40, 48, v45
	v_and_b32_e32 v45, 0x3030303, v44
	v_sub_u16_e32 v55, v45, v54
	v_sub_u16_sdwa v56, v45, v54 dst_sel:BYTE_1 dst_unused:UNUSED_PAD src0_sel:BYTE_1 src1_sel:BYTE_1
	v_sub_u16_sdwa v45, v45, v54 dst_sel:DWORD dst_unused:UNUSED_PAD src0_sel:WORD_1 src1_sel:WORD_1
	v_bitop3_b16 v41, v45, v41, s4 bitop3:0xec
	v_bitop3_b16 v55, v55, v56, s4 bitop3:0xec
	v_lshlrev_b32_e32 v41, 16, v41
	v_or_b32_sdwa v41, v55, v41 dst_sel:DWORD dst_unused:UNUSED_PAD src0_sel:WORD_0 src1_sel:DWORD
	v_mov_b32_e32 v45, 0
	v_subrev_u32_e32 v40, 32, v40
	v_dot4c_i32_i8_e32 v45, v41, v46
	s_nop 2
	v_mul_lo_u32 v40, v40, v45
	v_cvt_f32_i32_e32 v40, v40
	v_fma_mix_f32 v45, v47, v40, 0 op_sel_hi:[1,0,0]
	v_lshl_add_u64 v[40:41], v[22:23], 0, v[10:11]
	global_load_ubyte v40, v[40:41], off offset:96
	v_lshlrev_b32_e32 v47, 1, v43
	v_and_b32_e32 v47, 0x4040404, v47
	s_waitcnt vmcnt(0)
	v_bfe_u32 v46, v40, v31, 4
	v_lshl_add_u64 v[40:41], v[22:23], 0, v[12:13]
	global_load_ubyte v40, v[40:41], off offset:104
	v_lshrrev_b32_e32 v41, 2, v44
	s_waitcnt vmcnt(0)
	v_lshrrev_b32_e32 v40, v32, v40
	v_lshlrev_b32_e32 v40, 4, v40
	v_and_or_b32 v40, v40, 48, v46
	v_bfe_u32 v46, v41, 24, 2
	v_and_b32_e32 v41, 0x3030303, v41
	v_sub_u16_e32 v54, v41, v47
	v_sub_u16_sdwa v55, v41, v47 dst_sel:BYTE_1 dst_unused:UNUSED_PAD src0_sel:BYTE_1 src1_sel:BYTE_1
	v_sub_u16_sdwa v41, v41, v47 dst_sel:DWORD dst_unused:UNUSED_PAD src0_sel:WORD_1 src1_sel:WORD_1
	v_sub_u16_sdwa v46, v46, v47 dst_sel:BYTE_1 dst_unused:UNUSED_PAD src0_sel:DWORD src1_sel:BYTE_3
	v_bitop3_b16 v54, v54, v55, s4 bitop3:0xec
	v_bitop3_b16 v41, v41, v46, s4 bitop3:0xec
	v_lshlrev_b32_e32 v41, 16, v41
	v_or_b32_sdwa v41, v54, v41 dst_sel:DWORD dst_unused:UNUSED_PAD src0_sel:WORD_0 src1_sel:DWORD
	v_mov_b32_e32 v46, 0
	v_subrev_u32_e32 v40, 32, v40
	v_dot4c_i32_i8_e32 v46, v41, v48
	s_nop 2
	v_mul_lo_u32 v40, v40, v46
	v_cvt_f32_i32_e32 v40, v40
	v_fma_mix_f32 v45, v49, v40, v45 op_sel_hi:[1,0,0]
	v_lshl_add_u64 v[40:41], v[22:23], 0, v[14:15]
	global_load_ubyte v40, v[40:41], off offset:96
	s_waitcnt vmcnt(0)
	v_bfe_u32 v46, v40, v33, 4
	v_lshl_add_u64 v[40:41], v[22:23], 0, v[16:17]
	global_load_ubyte v40, v[40:41], off offset:104
	v_lshrrev_b32_e32 v41, 4, v44
	s_waitcnt vmcnt(0)
	v_lshrrev_b32_e32 v40, v34, v40
	v_lshlrev_b32_e32 v40, 4, v40
	v_and_or_b32 v40, v40, 48, v46
	v_bfe_u32 v46, v41, 24, 2
	v_and_b32_e32 v41, 0x3030303, v41
	v_sub_u16_e32 v47, v41, v42
	v_sub_u16_sdwa v48, v41, v42 dst_sel:BYTE_1 dst_unused:UNUSED_PAD src0_sel:BYTE_1 src1_sel:BYTE_1
	v_sub_u16_sdwa v41, v41, v42 dst_sel:DWORD dst_unused:UNUSED_PAD src0_sel:WORD_1 src1_sel:WORD_1
	v_sub_u16_sdwa v42, v46, v42 dst_sel:BYTE_1 dst_unused:UNUSED_PAD src0_sel:DWORD src1_sel:BYTE_3
	v_bitop3_b16 v47, v47, v48, s4 bitop3:0xec
	v_bitop3_b16 v41, v41, v42, s4 bitop3:0xec
	v_lshlrev_b32_e32 v41, 16, v41
	v_or_b32_sdwa v41, v47, v41 dst_sel:DWORD dst_unused:UNUSED_PAD src0_sel:WORD_0 src1_sel:DWORD
	v_mov_b32_e32 v42, 0
	v_subrev_u32_e32 v40, 32, v40
	v_dot4c_i32_i8_e32 v42, v41, v50
	s_nop 2
	v_mul_lo_u32 v40, v40, v42
	v_cvt_f32_i32_e32 v40, v40
	v_fma_mix_f32 v42, v51, v40, v45 op_sel_hi:[1,0,0]
	v_lshl_add_u64 v[40:41], v[22:23], 0, v[18:19]
	v_lshl_add_u64 v[22:23], v[22:23], 0, v[20:21]
	global_load_ubyte v40, v[40:41], off offset:96
	s_nop 0
	global_load_ubyte v22, v[22:23], off offset:104
	v_lshrrev_b32_e32 v23, 6, v44
	v_lshrrev_b32_e32 v41, 1, v43
	v_and_b32_e32 v23, 0x3030303, v23
	v_and_b32_e32 v41, 0x4040404, v41
	v_sub_u16_e32 v43, v23, v41
	s_waitcnt vmcnt(1)
	v_bfe_u32 v40, v40, v36, 4
	s_waitcnt vmcnt(0)
	v_lshrrev_b32_e32 v22, v37, v22
	v_lshlrev_b32_e32 v22, 4, v22
	v_and_or_b32 v22, v22, 48, v40
	v_lshrrev_b32_e32 v40, 30, v44
	v_sub_u16_sdwa v44, v23, v41 dst_sel:BYTE_1 dst_unused:UNUSED_PAD src0_sel:BYTE_1 src1_sel:BYTE_1
	v_sub_u16_sdwa v23, v23, v41 dst_sel:DWORD dst_unused:UNUSED_PAD src0_sel:WORD_1 src1_sel:WORD_1
	v_sub_u16_sdwa v40, v40, v41 dst_sel:BYTE_1 dst_unused:UNUSED_PAD src0_sel:DWORD src1_sel:BYTE_3
	v_bitop3_b16 v43, v43, v44, s4 bitop3:0xec
	v_bitop3_b16 v23, v23, v40, s4 bitop3:0xec
	v_lshlrev_b32_e32 v23, 16, v23
	v_or_b32_sdwa v23, v43, v23 dst_sel:DWORD dst_unused:UNUSED_PAD src0_sel:WORD_0 src1_sel:DWORD
	v_mov_b32_e32 v40, 0
	v_subrev_u32_e32 v22, 32, v22
	v_dot4c_i32_i8_e32 v40, v23, v52
	s_nop 2
	v_mul_lo_u32 v22, v22, v40
	v_cvt_f32_i32_e32 v22, v22
	v_fma_mix_f32 v22, v53, v22, v42 op_sel_hi:[1,0,0]
	s_nop 0
	v_fma_mix_f32 v35, v22, v39, v35 op_sel_hi:[0,1,0]
	s_andn2_b64 exec, exec, s[0:1]
	s_cbranch_execnz .LBB104_3
; %bb.4:
	s_or_b64 exec, exec, s[0:1]
.LBB104_5:
	s_or_b64 exec, exec, s[12:13]
	v_mbcnt_lo_u32_b32 v0, -1, 0
	v_mbcnt_hi_u32_b32 v1, -1, v0
	v_and_b32_e32 v0, 64, v1
	v_add_u32_e32 v2, 64, v0
	v_xor_b32_e32 v0, 32, v1
	v_cmp_lt_i32_e32 vcc, v0, v2
	v_xor_b32_e32 v3, 16, v1
	v_xor_b32_e32 v4, 8, v1
	v_cndmask_b32_e32 v0, v1, v0, vcc
	v_lshlrev_b32_e32 v0, 2, v0
	ds_bpermute_b32 v0, v0, v35
	v_cmp_lt_i32_e32 vcc, v3, v2
	s_waitcnt lgkmcnt(0)
	v_add_f32_e32 v0, v35, v0
	v_cndmask_b32_e32 v3, v1, v3, vcc
	v_lshlrev_b32_e32 v3, 2, v3
	ds_bpermute_b32 v3, v3, v0
	v_cmp_lt_i32_e32 vcc, v4, v2
	s_waitcnt lgkmcnt(0)
	v_add_f32_e32 v0, v0, v3
	v_cndmask_b32_e32 v3, v1, v4, vcc
	v_lshlrev_b32_e32 v3, 2, v3
	ds_bpermute_b32 v3, v3, v0
	v_xor_b32_e32 v4, 4, v1
	v_cmp_lt_i32_e32 vcc, v4, v2
	s_waitcnt lgkmcnt(0)
	v_add_f32_e32 v0, v0, v3
	v_cndmask_b32_e32 v3, v1, v4, vcc
	v_lshlrev_b32_e32 v3, 2, v3
	ds_bpermute_b32 v3, v3, v0
	v_xor_b32_e32 v4, 2, v1
	;; [unrolled: 7-line block ×3, first 2 shown]
	v_cmp_lt_i32_e32 vcc, v4, v2
	s_waitcnt lgkmcnt(0)
	v_add_f32_e32 v0, v0, v3
	v_cndmask_b32_e32 v1, v1, v4, vcc
	v_lshlrev_b32_e32 v1, 2, v1
	ds_bpermute_b32 v1, v1, v0
	v_cmp_eq_u32_e32 vcc, 0, v25
	s_and_b64 exec, exec, vcc
	s_cbranch_execz .LBB104_7
; %bb.6:
	s_waitcnt lgkmcnt(0)
	v_add_f32_e32 v0, v0, v1
	v_bfe_u32 v1, v0, 16, 1
	s_movk_i32 s0, 0x7fff
	v_add3_u32 v1, v0, v1, s0
	v_cmp_o_f32_e32 vcc, v0, v0
	v_mov_b32_e32 v0, 0x7fc0
	s_mul_i32 s0, s5, s3
	v_cndmask_b32_sdwa v2, v0, v1, vcc dst_sel:DWORD dst_unused:UNUSED_PAD src0_sel:DWORD src1_sel:WORD_1
	v_add_u32_e32 v0, s0, v24
	v_mov_b32_e32 v1, 0
	v_lshl_add_u64 v[0:1], v[0:1], 1, s[6:7]
	global_store_short v[0:1], v2, off
.LBB104_7:
	s_endpgm
	.section	.rodata,"a",@progbits
	.p2align	6, 0x0
	.amdhsa_kernel _ZL13mul_mat_vec_qIN3c108BFloat16ELi256ELi16E10block_q3_KLi1EXadL_ZL17vec_dot_q3_K_q8_1PKvPK10block_q8_1RKiEEEvS4_S4_PT_iii
		.amdhsa_group_segment_fixed_size 0
		.amdhsa_private_segment_fixed_size 0
		.amdhsa_kernarg_size 296
		.amdhsa_user_sgpr_count 2
		.amdhsa_user_sgpr_dispatch_ptr 0
		.amdhsa_user_sgpr_queue_ptr 0
		.amdhsa_user_sgpr_kernarg_segment_ptr 1
		.amdhsa_user_sgpr_dispatch_id 0
		.amdhsa_user_sgpr_kernarg_preload_length 0
		.amdhsa_user_sgpr_kernarg_preload_offset 0
		.amdhsa_user_sgpr_private_segment_size 0
		.amdhsa_uses_dynamic_stack 0
		.amdhsa_enable_private_segment 0
		.amdhsa_system_sgpr_workgroup_id_x 1
		.amdhsa_system_sgpr_workgroup_id_y 1
		.amdhsa_system_sgpr_workgroup_id_z 0
		.amdhsa_system_sgpr_workgroup_info 0
		.amdhsa_system_vgpr_workitem_id 1
		.amdhsa_next_free_vgpr 57
		.amdhsa_next_free_sgpr 16
		.amdhsa_accum_offset 60
		.amdhsa_reserve_vcc 1
		.amdhsa_float_round_mode_32 0
		.amdhsa_float_round_mode_16_64 0
		.amdhsa_float_denorm_mode_32 3
		.amdhsa_float_denorm_mode_16_64 3
		.amdhsa_dx10_clamp 1
		.amdhsa_ieee_mode 1
		.amdhsa_fp16_overflow 0
		.amdhsa_tg_split 0
		.amdhsa_exception_fp_ieee_invalid_op 0
		.amdhsa_exception_fp_denorm_src 0
		.amdhsa_exception_fp_ieee_div_zero 0
		.amdhsa_exception_fp_ieee_overflow 0
		.amdhsa_exception_fp_ieee_underflow 0
		.amdhsa_exception_fp_ieee_inexact 0
		.amdhsa_exception_int_div_zero 0
	.end_amdhsa_kernel
	.section	.text._ZL13mul_mat_vec_qIN3c108BFloat16ELi256ELi16E10block_q3_KLi1EXadL_ZL17vec_dot_q3_K_q8_1PKvPK10block_q8_1RKiEEEvS4_S4_PT_iii,"axG",@progbits,_ZL13mul_mat_vec_qIN3c108BFloat16ELi256ELi16E10block_q3_KLi1EXadL_ZL17vec_dot_q3_K_q8_1PKvPK10block_q8_1RKiEEEvS4_S4_PT_iii,comdat
.Lfunc_end104:
	.size	_ZL13mul_mat_vec_qIN3c108BFloat16ELi256ELi16E10block_q3_KLi1EXadL_ZL17vec_dot_q3_K_q8_1PKvPK10block_q8_1RKiEEEvS4_S4_PT_iii, .Lfunc_end104-_ZL13mul_mat_vec_qIN3c108BFloat16ELi256ELi16E10block_q3_KLi1EXadL_ZL17vec_dot_q3_K_q8_1PKvPK10block_q8_1RKiEEEvS4_S4_PT_iii
                                        ; -- End function
	.set _ZL13mul_mat_vec_qIN3c108BFloat16ELi256ELi16E10block_q3_KLi1EXadL_ZL17vec_dot_q3_K_q8_1PKvPK10block_q8_1RKiEEEvS4_S4_PT_iii.num_vgpr, 57
	.set _ZL13mul_mat_vec_qIN3c108BFloat16ELi256ELi16E10block_q3_KLi1EXadL_ZL17vec_dot_q3_K_q8_1PKvPK10block_q8_1RKiEEEvS4_S4_PT_iii.num_agpr, 0
	.set _ZL13mul_mat_vec_qIN3c108BFloat16ELi256ELi16E10block_q3_KLi1EXadL_ZL17vec_dot_q3_K_q8_1PKvPK10block_q8_1RKiEEEvS4_S4_PT_iii.numbered_sgpr, 16
	.set _ZL13mul_mat_vec_qIN3c108BFloat16ELi256ELi16E10block_q3_KLi1EXadL_ZL17vec_dot_q3_K_q8_1PKvPK10block_q8_1RKiEEEvS4_S4_PT_iii.num_named_barrier, 0
	.set _ZL13mul_mat_vec_qIN3c108BFloat16ELi256ELi16E10block_q3_KLi1EXadL_ZL17vec_dot_q3_K_q8_1PKvPK10block_q8_1RKiEEEvS4_S4_PT_iii.private_seg_size, 0
	.set _ZL13mul_mat_vec_qIN3c108BFloat16ELi256ELi16E10block_q3_KLi1EXadL_ZL17vec_dot_q3_K_q8_1PKvPK10block_q8_1RKiEEEvS4_S4_PT_iii.uses_vcc, 1
	.set _ZL13mul_mat_vec_qIN3c108BFloat16ELi256ELi16E10block_q3_KLi1EXadL_ZL17vec_dot_q3_K_q8_1PKvPK10block_q8_1RKiEEEvS4_S4_PT_iii.uses_flat_scratch, 0
	.set _ZL13mul_mat_vec_qIN3c108BFloat16ELi256ELi16E10block_q3_KLi1EXadL_ZL17vec_dot_q3_K_q8_1PKvPK10block_q8_1RKiEEEvS4_S4_PT_iii.has_dyn_sized_stack, 0
	.set _ZL13mul_mat_vec_qIN3c108BFloat16ELi256ELi16E10block_q3_KLi1EXadL_ZL17vec_dot_q3_K_q8_1PKvPK10block_q8_1RKiEEEvS4_S4_PT_iii.has_recursion, 0
	.set _ZL13mul_mat_vec_qIN3c108BFloat16ELi256ELi16E10block_q3_KLi1EXadL_ZL17vec_dot_q3_K_q8_1PKvPK10block_q8_1RKiEEEvS4_S4_PT_iii.has_indirect_call, 0
	.section	.AMDGPU.csdata,"",@progbits
; Kernel info:
; codeLenInByte = 1988
; TotalNumSgprs: 22
; NumVgprs: 57
; NumAgprs: 0
; TotalNumVgprs: 57
; ScratchSize: 0
; MemoryBound: 0
; FloatMode: 240
; IeeeMode: 1
; LDSByteSize: 0 bytes/workgroup (compile time only)
; SGPRBlocks: 2
; VGPRBlocks: 7
; NumSGPRsForWavesPerEU: 22
; NumVGPRsForWavesPerEU: 57
; AccumOffset: 60
; Occupancy: 8
; WaveLimiterHint : 0
; COMPUTE_PGM_RSRC2:SCRATCH_EN: 0
; COMPUTE_PGM_RSRC2:USER_SGPR: 2
; COMPUTE_PGM_RSRC2:TRAP_HANDLER: 0
; COMPUTE_PGM_RSRC2:TGID_X_EN: 1
; COMPUTE_PGM_RSRC2:TGID_Y_EN: 1
; COMPUTE_PGM_RSRC2:TGID_Z_EN: 0
; COMPUTE_PGM_RSRC2:TIDIG_COMP_CNT: 1
; COMPUTE_PGM_RSRC3_GFX90A:ACCUM_OFFSET: 14
; COMPUTE_PGM_RSRC3_GFX90A:TG_SPLIT: 0
	.section	.text._ZL13mul_mat_vec_qIN3c108BFloat16ELi256ELi32E10block_q4_KLi2EXadL_ZL17vec_dot_q4_K_q8_1PKvPK10block_q8_1RKiEEEvS4_S4_PT_iii,"axG",@progbits,_ZL13mul_mat_vec_qIN3c108BFloat16ELi256ELi32E10block_q4_KLi2EXadL_ZL17vec_dot_q4_K_q8_1PKvPK10block_q8_1RKiEEEvS4_S4_PT_iii,comdat
	.globl	_ZL13mul_mat_vec_qIN3c108BFloat16ELi256ELi32E10block_q4_KLi2EXadL_ZL17vec_dot_q4_K_q8_1PKvPK10block_q8_1RKiEEEvS4_S4_PT_iii ; -- Begin function _ZL13mul_mat_vec_qIN3c108BFloat16ELi256ELi32E10block_q4_KLi2EXadL_ZL17vec_dot_q4_K_q8_1PKvPK10block_q8_1RKiEEEvS4_S4_PT_iii
	.p2align	8
	.type	_ZL13mul_mat_vec_qIN3c108BFloat16ELi256ELi32E10block_q4_KLi2EXadL_ZL17vec_dot_q4_K_q8_1PKvPK10block_q8_1RKiEEEvS4_S4_PT_iii,@function
_ZL13mul_mat_vec_qIN3c108BFloat16ELi256ELi32E10block_q4_KLi2EXadL_ZL17vec_dot_q4_K_q8_1PKvPK10block_q8_1RKiEEEvS4_S4_PT_iii: ; @_ZL13mul_mat_vec_qIN3c108BFloat16ELi256ELi32E10block_q4_KLi2EXadL_ZL17vec_dot_q4_K_q8_1PKvPK10block_q8_1RKiEEEvS4_S4_PT_iii
; %bb.0:
	s_load_dword s8, s[0:1], 0x34
	s_load_dwordx4 s[4:7], s[0:1], 0x18
	v_bfe_u32 v1, v0, 10, 10
	s_waitcnt lgkmcnt(0)
	s_lshr_b32 s7, s8, 16
	s_mul_i32 s2, s2, s7
	v_add_u32_e32 v16, s2, v1
	s_cmp_lt_u32 s3, s6
	v_cmp_gt_u32_e32 vcc, s5, v16
	s_cselect_b64 s[6:7], -1, 0
	s_and_b64 s[6:7], s[6:7], vcc
	s_and_saveexec_b64 s[8:9], s[6:7]
	s_cbranch_execz .LBB105_11
; %bb.1:
	s_load_dwordx2 s[6:7], s[0:1], 0x10
	s_ashr_i32 s2, s4, 31
	s_lshr_b32 s2, s2, 24
	s_add_i32 s2, s4, s2
	s_ashr_i32 s2, s2, 8
	v_bfe_u32 v18, v0, 4, 6
	v_and_b32_e32 v17, 0x3ff, v0
	v_cmp_gt_u32_e32 vcc, s2, v18
	v_mov_b32_e32 v20, 0
	s_and_saveexec_b64 s[8:9], vcc
	s_cbranch_execz .LBB105_9
; %bb.2:
	s_load_dwordx4 s[12:15], s[0:1], 0x0
	s_add_i32 s0, s4, 0x1ff
	s_ashr_i32 s1, s0, 31
	s_lshr_b32 s1, s1, 23
	s_add_i32 s0, s0, s1
	v_lshlrev_b32_e32 v0, 1, v17
	s_ashr_i32 s0, s0, 9
	v_and_b32_e32 v4, 30, v0
	v_bfe_u32 v8, v0, 3, 2
	s_mul_i32 s4, s3, s0
	v_mov_b32_e32 v1, 0
	v_and_b32_e32 v10, 3, v17
	v_cmp_lt_u32_e32 vcc, 15, v4
	v_lshlrev_b32_e32 v4, 1, v8
	v_lshlrev_b32_e32 v6, 3, v18
	v_mul_lo_u32 v19, v16, s2
	v_lshlrev_b32_e32 v0, 5, v8
	v_lshlrev_b32_e32 v2, 2, v10
	v_mov_b32_e32 v3, v1
	s_waitcnt lgkmcnt(0)
	v_mad_u64_u32 v[4:5], s[0:1], v4, 36, s[14:15]
	v_lshl_add_u32 v21, s4, 4, v6
	s_mov_b64 s[10:11], 0
	s_movk_i32 s4, 0x90
	v_mov_b64_e32 v[6:7], s[12:13]
	v_lshlrev_b32_e32 v8, 1, v8
	v_mov_b32_e32 v9, v1
	s_mov_b32 s12, 0x5040100
	s_mov_b32 s13, 0x30303030
	v_lshlrev_b32_e32 v10, 2, v10
	v_mov_b32_e32 v11, v1
	s_movk_i32 s14, 0xff
	v_mov_b32_e32 v22, 0xff00ff
	v_mov_b32_e32 v20, v1
	s_branch .LBB105_4
.LBB105_3:                              ;   in Loop: Header=BB105_4 Depth=1
	s_or_b64 exec, exec, s[0:1]
	v_mad_i64_i32 v[14:15], s[0:1], v21, 36, v[4:5]
	v_lshl_add_u64 v[26:27], v[14:15], 0, v[10:11]
	global_load_dword v30, v[12:13], off
	global_load_dword v28, v[14:15], off
	global_load_dword v29, v[26:27], off offset:20
	global_load_dword v31, v[26:27], off offset:40
	;; [unrolled: 1-line block ×5, first 2 shown]
	s_waitcnt vmcnt(8)
	v_and_b32_e32 v15, 0xf0f0f0f, v24
	v_mov_b32_e32 v27, 0
	v_mov_b32_e32 v35, 0
	v_lshrrev_b32_e32 v14, 4, v24
	s_waitcnt vmcnt(7)
	v_and_b32_e32 v26, 0xf0f0f0f, v23
	v_and_b32_e32 v13, 0xff00ff, v25
	v_lshrrev_b32_e32 v23, 4, v23
	v_mov_b32_e32 v36, 0
	v_mov_b32_e32 v37, 0
	v_and_b32_e32 v38, 0xf0f0f0f, v14
	v_pk_lshrrev_b16 v12, 8, v25 op_sel_hi:[0,1]
	v_bitop3_b32 v25, v25, s14, v22 bitop3:0x80
	v_and_b32_e32 v23, 0xf0f0f0f, v23
	v_lshrrev_b32_e32 v40, 16, v13
	v_lshrrev_b32_e32 v39, 16, v12
	v_and_b32_e32 v12, 0xff, v12
	v_add_u32_e32 v18, 4, v18
	v_cmp_le_u32_e64 s[0:1], s2, v18
	s_or_b64 s[10:11], s[0:1], s[10:11]
	v_add_u32_e32 v21, 32, v21
	s_waitcnt vmcnt(6)
	v_cvt_f32_f16_sdwa v13, v30 dst_sel:DWORD dst_unused:UNUSED_PAD src0_sel:WORD_1
	s_waitcnt vmcnt(5)
	v_cvt_f32_f16_e32 v14, v28
	s_waitcnt vmcnt(3)
	v_dot4c_i32_i8_e32 v36, v38, v31
	v_dot4c_i32_i8_e32 v37, 0x1010101, v31
	s_waitcnt vmcnt(2)
	v_dot4c_i32_i8_e32 v36, v23, v32
	s_waitcnt vmcnt(0)
	v_dot4c_i32_i8_e32 v27, v15, v34
	v_dot4c_i32_i8_e32 v35, 0x1010101, v34
	;; [unrolled: 1-line block ×5, first 2 shown]
	v_mul_lo_u32 v12, v36, v12
	v_mul_lo_u32 v15, v27, v25
	;; [unrolled: 1-line block ×4, first 2 shown]
	v_cvt_f32_i32_e32 v27, v23
	v_cvt_f32_i32_e32 v26, v15
	v_cvt_f32_f16_e32 v24, v33
	v_cvt_f32_i32_e32 v29, v25
	v_cvt_f32_i32_e32 v28, v12
	v_cvt_f32_f16_e32 v12, v30
	v_pk_fma_f32 v[14:15], v[14:15], v[26:27], 0 op_sel_hi:[0,1,0]
	v_pk_fma_f32 v[14:15], v[24:25], v[28:29], v[14:15] op_sel_hi:[0,1,1]
	v_pk_mul_f32 v[12:13], v[14:15], v[12:13]
	s_nop 0
	v_sub_f32_e32 v12, v12, v13
	v_add_f32_e32 v20, v20, v12
	s_andn2_b64 exec, exec, s[10:11]
	s_cbranch_execz .LBB105_8
.LBB105_4:                              ; =>This Inner Loop Header: Depth=1
	v_add_u32_e32 v12, v19, v18
	v_mad_i64_i32 v[12:13], s[0:1], v12, s4, v[6:7]
	v_lshl_add_u64 v[14:15], v[12:13], 0, v[0:1]
	v_lshl_add_u64 v[14:15], v[14:15], 0, v[2:3]
	global_load_dword v24, v[14:15], off offset:16
	global_load_dword v23, v[14:15], off offset:32
	v_lshl_add_u64 v[14:15], v[12:13], 0, v[8:9]
                                        ; implicit-def: $vgpr25
	s_and_saveexec_b64 s[0:1], vcc
	s_xor_b64 s[0:1], exec, s[0:1]
	s_cbranch_execz .LBB105_6
; %bb.5:                                ;   in Loop: Header=BB105_4 Depth=1
	global_load_ushort v25, v[14:15], off
	global_load_ushort v26, v[14:15], off offset:8
	global_load_ushort v27, v[14:15], off offset:4
	s_waitcnt vmcnt(1)
	v_pk_lshrrev_b16 v14, 4, v26 op_sel:[1,0] op_sel_hi:[0,0]
	s_waitcnt vmcnt(0)
	v_perm_b32 v15, v27, v25, s12
	v_and_b32_e32 v14, 0xf0f0f0f, v14
	v_pk_lshrrev_b16 v15, 2, v15 op_sel_hi:[0,1]
	v_and_or_b32 v25, v15, s13, v14
                                        ; implicit-def: $vgpr14_vgpr15
.LBB105_6:                              ;   in Loop: Header=BB105_4 Depth=1
	s_andn2_saveexec_b64 s[0:1], s[0:1]
	s_cbranch_execz .LBB105_3
; %bb.7:                                ;   in Loop: Header=BB105_4 Depth=1
	global_load_ushort v25, v[14:15], off offset:4
	global_load_ushort v26, v[14:15], off offset:8
	s_waitcnt vmcnt(0)
	v_perm_b32 v14, v26, v25, s12
	v_and_b32_e32 v25, 0x3f3f3f3f, v14
	s_branch .LBB105_3
.LBB105_8:
	s_or_b64 exec, exec, s[10:11]
.LBB105_9:
	s_or_b64 exec, exec, s[8:9]
	v_mbcnt_lo_u32_b32 v0, -1, 0
	v_mbcnt_hi_u32_b32 v1, -1, v0
	v_and_b32_e32 v0, 64, v1
	v_add_u32_e32 v2, 64, v0
	v_xor_b32_e32 v0, 32, v1
	v_cmp_lt_i32_e32 vcc, v0, v2
	v_xor_b32_e32 v3, 16, v1
	v_xor_b32_e32 v4, 8, v1
	v_cndmask_b32_e32 v0, v1, v0, vcc
	v_lshlrev_b32_e32 v0, 2, v0
	ds_bpermute_b32 v0, v0, v20
	v_cmp_lt_i32_e32 vcc, v3, v2
	s_waitcnt lgkmcnt(0)
	v_add_f32_e32 v0, v20, v0
	v_cndmask_b32_e32 v3, v1, v3, vcc
	v_lshlrev_b32_e32 v3, 2, v3
	ds_bpermute_b32 v3, v3, v0
	v_cmp_lt_i32_e32 vcc, v4, v2
	s_waitcnt lgkmcnt(0)
	v_add_f32_e32 v0, v0, v3
	v_cndmask_b32_e32 v3, v1, v4, vcc
	v_lshlrev_b32_e32 v3, 2, v3
	ds_bpermute_b32 v3, v3, v0
	v_xor_b32_e32 v4, 4, v1
	v_cmp_lt_i32_e32 vcc, v4, v2
	s_waitcnt lgkmcnt(0)
	v_add_f32_e32 v0, v0, v3
	v_cndmask_b32_e32 v3, v1, v4, vcc
	v_lshlrev_b32_e32 v3, 2, v3
	ds_bpermute_b32 v3, v3, v0
	v_xor_b32_e32 v4, 2, v1
	;; [unrolled: 7-line block ×3, first 2 shown]
	v_cmp_lt_i32_e32 vcc, v4, v2
	s_waitcnt lgkmcnt(0)
	v_add_f32_e32 v0, v0, v3
	v_cndmask_b32_e32 v1, v1, v4, vcc
	v_lshlrev_b32_e32 v1, 2, v1
	ds_bpermute_b32 v1, v1, v0
	v_cmp_eq_u32_e32 vcc, 0, v17
	s_and_b64 exec, exec, vcc
	s_cbranch_execz .LBB105_11
; %bb.10:
	s_waitcnt lgkmcnt(0)
	v_add_f32_e32 v0, v0, v1
	v_bfe_u32 v1, v0, 16, 1
	s_movk_i32 s0, 0x7fff
	v_add3_u32 v1, v0, v1, s0
	v_cmp_o_f32_e32 vcc, v0, v0
	v_mov_b32_e32 v0, 0x7fc0
	s_mul_i32 s0, s5, s3
	v_cndmask_b32_sdwa v2, v0, v1, vcc dst_sel:DWORD dst_unused:UNUSED_PAD src0_sel:DWORD src1_sel:WORD_1
	v_add_u32_e32 v0, s0, v16
	v_mov_b32_e32 v1, 0
	v_lshl_add_u64 v[0:1], v[0:1], 1, s[6:7]
	global_store_short v[0:1], v2, off
.LBB105_11:
	s_endpgm
	.section	.rodata,"a",@progbits
	.p2align	6, 0x0
	.amdhsa_kernel _ZL13mul_mat_vec_qIN3c108BFloat16ELi256ELi32E10block_q4_KLi2EXadL_ZL17vec_dot_q4_K_q8_1PKvPK10block_q8_1RKiEEEvS4_S4_PT_iii
		.amdhsa_group_segment_fixed_size 0
		.amdhsa_private_segment_fixed_size 0
		.amdhsa_kernarg_size 296
		.amdhsa_user_sgpr_count 2
		.amdhsa_user_sgpr_dispatch_ptr 0
		.amdhsa_user_sgpr_queue_ptr 0
		.amdhsa_user_sgpr_kernarg_segment_ptr 1
		.amdhsa_user_sgpr_dispatch_id 0
		.amdhsa_user_sgpr_kernarg_preload_length 0
		.amdhsa_user_sgpr_kernarg_preload_offset 0
		.amdhsa_user_sgpr_private_segment_size 0
		.amdhsa_uses_dynamic_stack 0
		.amdhsa_enable_private_segment 0
		.amdhsa_system_sgpr_workgroup_id_x 1
		.amdhsa_system_sgpr_workgroup_id_y 1
		.amdhsa_system_sgpr_workgroup_id_z 0
		.amdhsa_system_sgpr_workgroup_info 0
		.amdhsa_system_vgpr_workitem_id 1
		.amdhsa_next_free_vgpr 41
		.amdhsa_next_free_sgpr 16
		.amdhsa_accum_offset 44
		.amdhsa_reserve_vcc 1
		.amdhsa_float_round_mode_32 0
		.amdhsa_float_round_mode_16_64 0
		.amdhsa_float_denorm_mode_32 3
		.amdhsa_float_denorm_mode_16_64 3
		.amdhsa_dx10_clamp 1
		.amdhsa_ieee_mode 1
		.amdhsa_fp16_overflow 0
		.amdhsa_tg_split 0
		.amdhsa_exception_fp_ieee_invalid_op 0
		.amdhsa_exception_fp_denorm_src 0
		.amdhsa_exception_fp_ieee_div_zero 0
		.amdhsa_exception_fp_ieee_overflow 0
		.amdhsa_exception_fp_ieee_underflow 0
		.amdhsa_exception_fp_ieee_inexact 0
		.amdhsa_exception_int_div_zero 0
	.end_amdhsa_kernel
	.section	.text._ZL13mul_mat_vec_qIN3c108BFloat16ELi256ELi32E10block_q4_KLi2EXadL_ZL17vec_dot_q4_K_q8_1PKvPK10block_q8_1RKiEEEvS4_S4_PT_iii,"axG",@progbits,_ZL13mul_mat_vec_qIN3c108BFloat16ELi256ELi32E10block_q4_KLi2EXadL_ZL17vec_dot_q4_K_q8_1PKvPK10block_q8_1RKiEEEvS4_S4_PT_iii,comdat
.Lfunc_end105:
	.size	_ZL13mul_mat_vec_qIN3c108BFloat16ELi256ELi32E10block_q4_KLi2EXadL_ZL17vec_dot_q4_K_q8_1PKvPK10block_q8_1RKiEEEvS4_S4_PT_iii, .Lfunc_end105-_ZL13mul_mat_vec_qIN3c108BFloat16ELi256ELi32E10block_q4_KLi2EXadL_ZL17vec_dot_q4_K_q8_1PKvPK10block_q8_1RKiEEEvS4_S4_PT_iii
                                        ; -- End function
	.set _ZL13mul_mat_vec_qIN3c108BFloat16ELi256ELi32E10block_q4_KLi2EXadL_ZL17vec_dot_q4_K_q8_1PKvPK10block_q8_1RKiEEEvS4_S4_PT_iii.num_vgpr, 41
	.set _ZL13mul_mat_vec_qIN3c108BFloat16ELi256ELi32E10block_q4_KLi2EXadL_ZL17vec_dot_q4_K_q8_1PKvPK10block_q8_1RKiEEEvS4_S4_PT_iii.num_agpr, 0
	.set _ZL13mul_mat_vec_qIN3c108BFloat16ELi256ELi32E10block_q4_KLi2EXadL_ZL17vec_dot_q4_K_q8_1PKvPK10block_q8_1RKiEEEvS4_S4_PT_iii.numbered_sgpr, 16
	.set _ZL13mul_mat_vec_qIN3c108BFloat16ELi256ELi32E10block_q4_KLi2EXadL_ZL17vec_dot_q4_K_q8_1PKvPK10block_q8_1RKiEEEvS4_S4_PT_iii.num_named_barrier, 0
	.set _ZL13mul_mat_vec_qIN3c108BFloat16ELi256ELi32E10block_q4_KLi2EXadL_ZL17vec_dot_q4_K_q8_1PKvPK10block_q8_1RKiEEEvS4_S4_PT_iii.private_seg_size, 0
	.set _ZL13mul_mat_vec_qIN3c108BFloat16ELi256ELi32E10block_q4_KLi2EXadL_ZL17vec_dot_q4_K_q8_1PKvPK10block_q8_1RKiEEEvS4_S4_PT_iii.uses_vcc, 1
	.set _ZL13mul_mat_vec_qIN3c108BFloat16ELi256ELi32E10block_q4_KLi2EXadL_ZL17vec_dot_q4_K_q8_1PKvPK10block_q8_1RKiEEEvS4_S4_PT_iii.uses_flat_scratch, 0
	.set _ZL13mul_mat_vec_qIN3c108BFloat16ELi256ELi32E10block_q4_KLi2EXadL_ZL17vec_dot_q4_K_q8_1PKvPK10block_q8_1RKiEEEvS4_S4_PT_iii.has_dyn_sized_stack, 0
	.set _ZL13mul_mat_vec_qIN3c108BFloat16ELi256ELi32E10block_q4_KLi2EXadL_ZL17vec_dot_q4_K_q8_1PKvPK10block_q8_1RKiEEEvS4_S4_PT_iii.has_recursion, 0
	.set _ZL13mul_mat_vec_qIN3c108BFloat16ELi256ELi32E10block_q4_KLi2EXadL_ZL17vec_dot_q4_K_q8_1PKvPK10block_q8_1RKiEEEvS4_S4_PT_iii.has_indirect_call, 0
	.section	.AMDGPU.csdata,"",@progbits
; Kernel info:
; codeLenInByte = 1168
; TotalNumSgprs: 22
; NumVgprs: 41
; NumAgprs: 0
; TotalNumVgprs: 41
; ScratchSize: 0
; MemoryBound: 0
; FloatMode: 240
; IeeeMode: 1
; LDSByteSize: 0 bytes/workgroup (compile time only)
; SGPRBlocks: 2
; VGPRBlocks: 5
; NumSGPRsForWavesPerEU: 22
; NumVGPRsForWavesPerEU: 41
; AccumOffset: 44
; Occupancy: 8
; WaveLimiterHint : 0
; COMPUTE_PGM_RSRC2:SCRATCH_EN: 0
; COMPUTE_PGM_RSRC2:USER_SGPR: 2
; COMPUTE_PGM_RSRC2:TRAP_HANDLER: 0
; COMPUTE_PGM_RSRC2:TGID_X_EN: 1
; COMPUTE_PGM_RSRC2:TGID_Y_EN: 1
; COMPUTE_PGM_RSRC2:TGID_Z_EN: 0
; COMPUTE_PGM_RSRC2:TIDIG_COMP_CNT: 1
; COMPUTE_PGM_RSRC3_GFX90A:ACCUM_OFFSET: 10
; COMPUTE_PGM_RSRC3_GFX90A:TG_SPLIT: 0
	.section	.text._ZL13mul_mat_vec_qIN3c108BFloat16ELi256ELi32E10block_q5_KLi2EXadL_ZL17vec_dot_q5_K_q8_1PKvPK10block_q8_1RKiEEEvS4_S4_PT_iii,"axG",@progbits,_ZL13mul_mat_vec_qIN3c108BFloat16ELi256ELi32E10block_q5_KLi2EXadL_ZL17vec_dot_q5_K_q8_1PKvPK10block_q8_1RKiEEEvS4_S4_PT_iii,comdat
	.globl	_ZL13mul_mat_vec_qIN3c108BFloat16ELi256ELi32E10block_q5_KLi2EXadL_ZL17vec_dot_q5_K_q8_1PKvPK10block_q8_1RKiEEEvS4_S4_PT_iii ; -- Begin function _ZL13mul_mat_vec_qIN3c108BFloat16ELi256ELi32E10block_q5_KLi2EXadL_ZL17vec_dot_q5_K_q8_1PKvPK10block_q8_1RKiEEEvS4_S4_PT_iii
	.p2align	8
	.type	_ZL13mul_mat_vec_qIN3c108BFloat16ELi256ELi32E10block_q5_KLi2EXadL_ZL17vec_dot_q5_K_q8_1PKvPK10block_q8_1RKiEEEvS4_S4_PT_iii,@function
_ZL13mul_mat_vec_qIN3c108BFloat16ELi256ELi32E10block_q5_KLi2EXadL_ZL17vec_dot_q5_K_q8_1PKvPK10block_q8_1RKiEEEvS4_S4_PT_iii: ; @_ZL13mul_mat_vec_qIN3c108BFloat16ELi256ELi32E10block_q5_KLi2EXadL_ZL17vec_dot_q5_K_q8_1PKvPK10block_q8_1RKiEEEvS4_S4_PT_iii
; %bb.0:
	s_load_dword s8, s[0:1], 0x34
	s_load_dwordx4 s[4:7], s[0:1], 0x18
	v_bfe_u32 v1, v0, 10, 10
	s_waitcnt lgkmcnt(0)
	s_lshr_b32 s7, s8, 16
	s_mul_i32 s2, s2, s7
	v_add_u32_e32 v16, s2, v1
	s_cmp_lt_u32 s3, s6
	v_cmp_gt_u32_e32 vcc, s5, v16
	s_cselect_b64 s[6:7], -1, 0
	s_and_b64 s[6:7], s[6:7], vcc
	s_and_saveexec_b64 s[8:9], s[6:7]
	s_cbranch_execz .LBB106_11
; %bb.1:
	s_load_dwordx2 s[6:7], s[0:1], 0x10
	s_ashr_i32 s2, s4, 31
	s_lshr_b32 s2, s2, 24
	s_add_i32 s2, s4, s2
	s_ashr_i32 s2, s2, 8
	v_bfe_u32 v18, v0, 4, 6
	v_and_b32_e32 v17, 0x3ff, v0
	v_cmp_gt_u32_e32 vcc, s2, v18
	v_mov_b32_e32 v20, 0
	s_and_saveexec_b64 s[8:9], vcc
	s_cbranch_execz .LBB106_9
; %bb.2:
	s_load_dwordx4 s[12:15], s[0:1], 0x0
	s_add_i32 s0, s4, 0x1ff
	s_ashr_i32 s1, s0, 31
	s_lshr_b32 s1, s1, 23
	s_add_i32 s0, s0, s1
	v_lshlrev_b32_e32 v0, 1, v17
	s_ashr_i32 s0, s0, 9
	v_bfe_u32 v8, v0, 3, 2
	s_mul_i32 s4, s3, s0
	v_and_b32_e32 v4, 30, v0
	v_mov_b32_e32 v1, 0
	v_and_b32_e32 v10, 3, v17
	v_lshlrev_b32_e32 v21, 1, v8
	v_lshlrev_b32_e32 v6, 3, v18
	v_mul_lo_u32 v19, v16, s2
	v_lshlrev_b32_e32 v0, 5, v8
	v_lshlrev_b32_e32 v2, 2, v10
	v_mov_b32_e32 v3, v1
	v_cmp_lt_u32_e32 vcc, 15, v4
	s_waitcnt lgkmcnt(0)
	v_mad_u64_u32 v[4:5], s[0:1], v21, 36, s[14:15]
	v_lshl_add_u32 v22, s4, 4, v6
	s_mov_b64 s[10:11], 0
	s_movk_i32 s4, 0xb0
	v_mov_b64_e32 v[6:7], s[12:13]
	v_lshlrev_b32_e32 v8, 1, v8
	v_mov_b32_e32 v9, v1
	s_mov_b32 s12, 0x5040100
	s_mov_b32 s13, 0x30303030
	v_lshlrev_b32_e32 v10, 2, v10
	v_mov_b32_e32 v11, v1
	s_mov_b32 s14, 0x10101010
	s_movk_i32 s15, 0xff
	v_mov_b32_e32 v23, 0xff00ff
	v_mov_b32_e32 v20, v1
	s_branch .LBB106_4
.LBB106_3:                              ;   in Loop: Header=BB106_4 Depth=1
	s_or_b64 exec, exec, s[0:1]
	v_mad_i64_i32 v[14:15], s[0:1], v22, 36, v[4:5]
	v_lshl_add_u64 v[30:31], v[14:15], 0, v[10:11]
	global_load_dword v32, v[12:13], off
	global_load_dword v29, v[14:15], off
	global_load_dword v33, v[30:31], off offset:20
	global_load_dword v34, v[30:31], off offset:40
	;; [unrolled: 1-line block ×5, first 2 shown]
	s_waitcnt vmcnt(7)
	v_ashrrev_i32_e32 v13, v21, v28
	v_ashrrev_i32_e32 v14, v21, v27
	v_and_b32_e32 v27, 0xf0f0f0f, v24
	v_lshrrev_b32_e32 v24, 4, v24
	v_lshlrev_b32_e32 v41, 4, v13
	v_and_b32_e32 v15, 0xf0f0f0f, v25
	v_mov_b32_e32 v28, 0
	v_mov_b32_e32 v30, 0
	v_lshrrev_b32_e32 v25, 4, v25
	v_lshlrev_b32_e32 v40, 4, v14
	v_and_b32_e32 v24, 0xf0f0f0f, v24
	v_lshlrev_b32_e32 v13, 3, v13
	v_and_or_b32 v27, v41, s14, v27
	v_and_b32_e32 v31, 0xff00ff, v26
	v_mov_b32_e32 v38, 0
	v_mov_b32_e32 v39, 0
	v_and_b32_e32 v25, 0xf0f0f0f, v25
	v_lshlrev_b32_e32 v14, 3, v14
	v_and_or_b32 v15, v40, s14, v15
	v_and_or_b32 v40, v13, s14, v24
	v_pk_lshrrev_b16 v12, 8, v26 op_sel_hi:[0,1]
	v_bitop3_b32 v26, v26, s15, v23 bitop3:0x80
	v_lshrrev_b32_e32 v31, 16, v31
	v_and_or_b32 v25, v14, s14, v25
	v_lshrrev_b32_e32 v42, 16, v12
	v_and_b32_e32 v12, 0xff, v12
	v_add_u32_e32 v18, 4, v18
	v_cmp_le_u32_e64 s[0:1], s2, v18
	s_or_b64 s[10:11], s[0:1], s[10:11]
	v_add_u32_e32 v22, 32, v22
	s_waitcnt vmcnt(6)
	v_cvt_f32_f16_sdwa v13, v32 dst_sel:DWORD dst_unused:UNUSED_PAD src0_sel:WORD_1
	s_waitcnt vmcnt(5)
	v_cvt_f32_f16_e32 v14, v29
	s_waitcnt vmcnt(4)
	v_dot4c_i32_i8_e32 v28, v27, v33
	v_dot4c_i32_i8_e32 v30, 0x1010101, v33
	s_waitcnt vmcnt(2)
	v_dot4c_i32_i8_e32 v38, v40, v35
	v_dot4c_i32_i8_e32 v39, 0x1010101, v35
	;; [unrolled: 3-line block ×3, first 2 shown]
	v_dot4c_i32_i8_e32 v38, v25, v34
	v_dot4c_i32_i8_e32 v39, 0x1010101, v34
	v_mul_lo_u32 v15, v28, v26
	v_mul_lo_u32 v25, v30, v31
	;; [unrolled: 1-line block ×4, first 2 shown]
	v_cvt_f32_i32_e32 v27, v25
	v_cvt_f32_i32_e32 v26, v15
	v_cvt_f32_f16_e32 v24, v36
	v_cvt_f32_i32_e32 v29, v28
	v_cvt_f32_i32_e32 v28, v12
	v_cvt_f32_f16_e32 v12, v32
	v_pk_fma_f32 v[14:15], v[14:15], v[26:27], 0 op_sel_hi:[0,1,0]
	v_pk_fma_f32 v[14:15], v[24:25], v[28:29], v[14:15] op_sel_hi:[0,1,1]
	v_pk_mul_f32 v[12:13], v[14:15], v[12:13]
	s_nop 0
	v_sub_f32_e32 v12, v12, v13
	v_add_f32_e32 v20, v20, v12
	s_andn2_b64 exec, exec, s[10:11]
	s_cbranch_execz .LBB106_8
.LBB106_4:                              ; =>This Inner Loop Header: Depth=1
	v_add_u32_e32 v12, v19, v18
	v_mad_i64_i32 v[12:13], s[0:1], v12, s4, v[6:7]
	v_lshl_add_u64 v[14:15], v[12:13], 0, v[0:1]
	v_lshl_add_u64 v[14:15], v[14:15], 0, v[2:3]
	;; [unrolled: 1-line block ×3, first 2 shown]
	global_load_dword v25, v[14:15], off offset:48
	global_load_dword v24, v[14:15], off offset:64
	global_load_dword v27, v[30:31], off offset:16
	global_load_dword v28, v[30:31], off offset:32
	v_lshl_add_u64 v[14:15], v[12:13], 0, v[8:9]
                                        ; implicit-def: $vgpr26
	s_and_saveexec_b64 s[0:1], vcc
	s_xor_b64 s[0:1], exec, s[0:1]
	s_cbranch_execz .LBB106_6
; %bb.5:                                ;   in Loop: Header=BB106_4 Depth=1
	global_load_ushort v26, v[14:15], off
	global_load_ushort v29, v[14:15], off offset:8
	global_load_ushort v30, v[14:15], off offset:4
	s_waitcnt vmcnt(1)
	v_pk_lshrrev_b16 v14, 4, v29 op_sel:[1,0] op_sel_hi:[0,0]
	s_waitcnt vmcnt(0)
	v_perm_b32 v15, v30, v26, s12
	v_and_b32_e32 v14, 0xf0f0f0f, v14
	v_pk_lshrrev_b16 v15, 2, v15 op_sel_hi:[0,1]
	v_and_or_b32 v26, v15, s13, v14
                                        ; implicit-def: $vgpr14_vgpr15
.LBB106_6:                              ;   in Loop: Header=BB106_4 Depth=1
	s_andn2_saveexec_b64 s[0:1], s[0:1]
	s_cbranch_execz .LBB106_3
; %bb.7:                                ;   in Loop: Header=BB106_4 Depth=1
	global_load_ushort v26, v[14:15], off offset:4
	global_load_ushort v29, v[14:15], off offset:8
	s_waitcnt vmcnt(0)
	v_perm_b32 v14, v29, v26, s12
	v_and_b32_e32 v26, 0x3f3f3f3f, v14
	s_branch .LBB106_3
.LBB106_8:
	s_or_b64 exec, exec, s[10:11]
.LBB106_9:
	s_or_b64 exec, exec, s[8:9]
	v_mbcnt_lo_u32_b32 v0, -1, 0
	v_mbcnt_hi_u32_b32 v1, -1, v0
	v_and_b32_e32 v0, 64, v1
	v_add_u32_e32 v2, 64, v0
	v_xor_b32_e32 v0, 32, v1
	v_cmp_lt_i32_e32 vcc, v0, v2
	v_xor_b32_e32 v3, 16, v1
	v_xor_b32_e32 v4, 8, v1
	v_cndmask_b32_e32 v0, v1, v0, vcc
	v_lshlrev_b32_e32 v0, 2, v0
	ds_bpermute_b32 v0, v0, v20
	v_cmp_lt_i32_e32 vcc, v3, v2
	s_waitcnt lgkmcnt(0)
	v_add_f32_e32 v0, v20, v0
	v_cndmask_b32_e32 v3, v1, v3, vcc
	v_lshlrev_b32_e32 v3, 2, v3
	ds_bpermute_b32 v3, v3, v0
	v_cmp_lt_i32_e32 vcc, v4, v2
	s_waitcnt lgkmcnt(0)
	v_add_f32_e32 v0, v0, v3
	v_cndmask_b32_e32 v3, v1, v4, vcc
	v_lshlrev_b32_e32 v3, 2, v3
	ds_bpermute_b32 v3, v3, v0
	v_xor_b32_e32 v4, 4, v1
	v_cmp_lt_i32_e32 vcc, v4, v2
	s_waitcnt lgkmcnt(0)
	v_add_f32_e32 v0, v0, v3
	v_cndmask_b32_e32 v3, v1, v4, vcc
	v_lshlrev_b32_e32 v3, 2, v3
	ds_bpermute_b32 v3, v3, v0
	v_xor_b32_e32 v4, 2, v1
	;; [unrolled: 7-line block ×3, first 2 shown]
	v_cmp_lt_i32_e32 vcc, v4, v2
	s_waitcnt lgkmcnt(0)
	v_add_f32_e32 v0, v0, v3
	v_cndmask_b32_e32 v1, v1, v4, vcc
	v_lshlrev_b32_e32 v1, 2, v1
	ds_bpermute_b32 v1, v1, v0
	v_cmp_eq_u32_e32 vcc, 0, v17
	s_and_b64 exec, exec, vcc
	s_cbranch_execz .LBB106_11
; %bb.10:
	s_waitcnt lgkmcnt(0)
	v_add_f32_e32 v0, v0, v1
	v_bfe_u32 v1, v0, 16, 1
	s_movk_i32 s0, 0x7fff
	v_add3_u32 v1, v0, v1, s0
	v_cmp_o_f32_e32 vcc, v0, v0
	v_mov_b32_e32 v0, 0x7fc0
	s_mul_i32 s0, s5, s3
	v_cndmask_b32_sdwa v2, v0, v1, vcc dst_sel:DWORD dst_unused:UNUSED_PAD src0_sel:DWORD src1_sel:WORD_1
	v_add_u32_e32 v0, s0, v16
	v_mov_b32_e32 v1, 0
	v_lshl_add_u64 v[0:1], v[0:1], 1, s[6:7]
	global_store_short v[0:1], v2, off
.LBB106_11:
	s_endpgm
	.section	.rodata,"a",@progbits
	.p2align	6, 0x0
	.amdhsa_kernel _ZL13mul_mat_vec_qIN3c108BFloat16ELi256ELi32E10block_q5_KLi2EXadL_ZL17vec_dot_q5_K_q8_1PKvPK10block_q8_1RKiEEEvS4_S4_PT_iii
		.amdhsa_group_segment_fixed_size 0
		.amdhsa_private_segment_fixed_size 0
		.amdhsa_kernarg_size 296
		.amdhsa_user_sgpr_count 2
		.amdhsa_user_sgpr_dispatch_ptr 0
		.amdhsa_user_sgpr_queue_ptr 0
		.amdhsa_user_sgpr_kernarg_segment_ptr 1
		.amdhsa_user_sgpr_dispatch_id 0
		.amdhsa_user_sgpr_kernarg_preload_length 0
		.amdhsa_user_sgpr_kernarg_preload_offset 0
		.amdhsa_user_sgpr_private_segment_size 0
		.amdhsa_uses_dynamic_stack 0
		.amdhsa_enable_private_segment 0
		.amdhsa_system_sgpr_workgroup_id_x 1
		.amdhsa_system_sgpr_workgroup_id_y 1
		.amdhsa_system_sgpr_workgroup_id_z 0
		.amdhsa_system_sgpr_workgroup_info 0
		.amdhsa_system_vgpr_workitem_id 1
		.amdhsa_next_free_vgpr 43
		.amdhsa_next_free_sgpr 16
		.amdhsa_accum_offset 44
		.amdhsa_reserve_vcc 1
		.amdhsa_float_round_mode_32 0
		.amdhsa_float_round_mode_16_64 0
		.amdhsa_float_denorm_mode_32 3
		.amdhsa_float_denorm_mode_16_64 3
		.amdhsa_dx10_clamp 1
		.amdhsa_ieee_mode 1
		.amdhsa_fp16_overflow 0
		.amdhsa_tg_split 0
		.amdhsa_exception_fp_ieee_invalid_op 0
		.amdhsa_exception_fp_denorm_src 0
		.amdhsa_exception_fp_ieee_div_zero 0
		.amdhsa_exception_fp_ieee_overflow 0
		.amdhsa_exception_fp_ieee_underflow 0
		.amdhsa_exception_fp_ieee_inexact 0
		.amdhsa_exception_int_div_zero 0
	.end_amdhsa_kernel
	.section	.text._ZL13mul_mat_vec_qIN3c108BFloat16ELi256ELi32E10block_q5_KLi2EXadL_ZL17vec_dot_q5_K_q8_1PKvPK10block_q8_1RKiEEEvS4_S4_PT_iii,"axG",@progbits,_ZL13mul_mat_vec_qIN3c108BFloat16ELi256ELi32E10block_q5_KLi2EXadL_ZL17vec_dot_q5_K_q8_1PKvPK10block_q8_1RKiEEEvS4_S4_PT_iii,comdat
.Lfunc_end106:
	.size	_ZL13mul_mat_vec_qIN3c108BFloat16ELi256ELi32E10block_q5_KLi2EXadL_ZL17vec_dot_q5_K_q8_1PKvPK10block_q8_1RKiEEEvS4_S4_PT_iii, .Lfunc_end106-_ZL13mul_mat_vec_qIN3c108BFloat16ELi256ELi32E10block_q5_KLi2EXadL_ZL17vec_dot_q5_K_q8_1PKvPK10block_q8_1RKiEEEvS4_S4_PT_iii
                                        ; -- End function
	.set _ZL13mul_mat_vec_qIN3c108BFloat16ELi256ELi32E10block_q5_KLi2EXadL_ZL17vec_dot_q5_K_q8_1PKvPK10block_q8_1RKiEEEvS4_S4_PT_iii.num_vgpr, 43
	.set _ZL13mul_mat_vec_qIN3c108BFloat16ELi256ELi32E10block_q5_KLi2EXadL_ZL17vec_dot_q5_K_q8_1PKvPK10block_q8_1RKiEEEvS4_S4_PT_iii.num_agpr, 0
	.set _ZL13mul_mat_vec_qIN3c108BFloat16ELi256ELi32E10block_q5_KLi2EXadL_ZL17vec_dot_q5_K_q8_1PKvPK10block_q8_1RKiEEEvS4_S4_PT_iii.numbered_sgpr, 16
	.set _ZL13mul_mat_vec_qIN3c108BFloat16ELi256ELi32E10block_q5_KLi2EXadL_ZL17vec_dot_q5_K_q8_1PKvPK10block_q8_1RKiEEEvS4_S4_PT_iii.num_named_barrier, 0
	.set _ZL13mul_mat_vec_qIN3c108BFloat16ELi256ELi32E10block_q5_KLi2EXadL_ZL17vec_dot_q5_K_q8_1PKvPK10block_q8_1RKiEEEvS4_S4_PT_iii.private_seg_size, 0
	.set _ZL13mul_mat_vec_qIN3c108BFloat16ELi256ELi32E10block_q5_KLi2EXadL_ZL17vec_dot_q5_K_q8_1PKvPK10block_q8_1RKiEEEvS4_S4_PT_iii.uses_vcc, 1
	.set _ZL13mul_mat_vec_qIN3c108BFloat16ELi256ELi32E10block_q5_KLi2EXadL_ZL17vec_dot_q5_K_q8_1PKvPK10block_q8_1RKiEEEvS4_S4_PT_iii.uses_flat_scratch, 0
	.set _ZL13mul_mat_vec_qIN3c108BFloat16ELi256ELi32E10block_q5_KLi2EXadL_ZL17vec_dot_q5_K_q8_1PKvPK10block_q8_1RKiEEEvS4_S4_PT_iii.has_dyn_sized_stack, 0
	.set _ZL13mul_mat_vec_qIN3c108BFloat16ELi256ELi32E10block_q5_KLi2EXadL_ZL17vec_dot_q5_K_q8_1PKvPK10block_q8_1RKiEEEvS4_S4_PT_iii.has_recursion, 0
	.set _ZL13mul_mat_vec_qIN3c108BFloat16ELi256ELi32E10block_q5_KLi2EXadL_ZL17vec_dot_q5_K_q8_1PKvPK10block_q8_1RKiEEEvS4_S4_PT_iii.has_indirect_call, 0
	.section	.AMDGPU.csdata,"",@progbits
; Kernel info:
; codeLenInByte = 1252
; TotalNumSgprs: 22
; NumVgprs: 43
; NumAgprs: 0
; TotalNumVgprs: 43
; ScratchSize: 0
; MemoryBound: 0
; FloatMode: 240
; IeeeMode: 1
; LDSByteSize: 0 bytes/workgroup (compile time only)
; SGPRBlocks: 2
; VGPRBlocks: 5
; NumSGPRsForWavesPerEU: 22
; NumVGPRsForWavesPerEU: 43
; AccumOffset: 44
; Occupancy: 8
; WaveLimiterHint : 0
; COMPUTE_PGM_RSRC2:SCRATCH_EN: 0
; COMPUTE_PGM_RSRC2:USER_SGPR: 2
; COMPUTE_PGM_RSRC2:TRAP_HANDLER: 0
; COMPUTE_PGM_RSRC2:TGID_X_EN: 1
; COMPUTE_PGM_RSRC2:TGID_Y_EN: 1
; COMPUTE_PGM_RSRC2:TGID_Z_EN: 0
; COMPUTE_PGM_RSRC2:TIDIG_COMP_CNT: 1
; COMPUTE_PGM_RSRC3_GFX90A:ACCUM_OFFSET: 10
; COMPUTE_PGM_RSRC3_GFX90A:TG_SPLIT: 0
	.section	.text._ZL13mul_mat_vec_qIN3c108BFloat16ELi256ELi32E10block_q6_KLi1EXadL_ZL17vec_dot_q6_K_q8_1PKvPK10block_q8_1RKiEEEvS4_S4_PT_iii,"axG",@progbits,_ZL13mul_mat_vec_qIN3c108BFloat16ELi256ELi32E10block_q6_KLi1EXadL_ZL17vec_dot_q6_K_q8_1PKvPK10block_q8_1RKiEEEvS4_S4_PT_iii,comdat
	.globl	_ZL13mul_mat_vec_qIN3c108BFloat16ELi256ELi32E10block_q6_KLi1EXadL_ZL17vec_dot_q6_K_q8_1PKvPK10block_q8_1RKiEEEvS4_S4_PT_iii ; -- Begin function _ZL13mul_mat_vec_qIN3c108BFloat16ELi256ELi32E10block_q6_KLi1EXadL_ZL17vec_dot_q6_K_q8_1PKvPK10block_q8_1RKiEEEvS4_S4_PT_iii
	.p2align	8
	.type	_ZL13mul_mat_vec_qIN3c108BFloat16ELi256ELi32E10block_q6_KLi1EXadL_ZL17vec_dot_q6_K_q8_1PKvPK10block_q8_1RKiEEEvS4_S4_PT_iii,@function
_ZL13mul_mat_vec_qIN3c108BFloat16ELi256ELi32E10block_q6_KLi1EXadL_ZL17vec_dot_q6_K_q8_1PKvPK10block_q8_1RKiEEEvS4_S4_PT_iii: ; @_ZL13mul_mat_vec_qIN3c108BFloat16ELi256ELi32E10block_q6_KLi1EXadL_ZL17vec_dot_q6_K_q8_1PKvPK10block_q8_1RKiEEEvS4_S4_PT_iii
; %bb.0:
	s_load_dword s8, s[0:1], 0x34
	s_load_dwordx4 s[4:7], s[0:1], 0x18
	v_bfe_u32 v1, v0, 10, 10
	s_waitcnt lgkmcnt(0)
	s_lshr_b32 s7, s8, 16
	s_mul_i32 s2, s2, s7
	v_add_u32_e32 v12, s2, v1
	s_cmp_lt_u32 s3, s6
	v_cmp_gt_u32_e32 vcc, s5, v12
	s_cselect_b64 s[6:7], -1, 0
	s_and_b64 s[6:7], s[6:7], vcc
	s_and_saveexec_b64 s[8:9], s[6:7]
	s_cbranch_execz .LBB107_7
; %bb.1:
	s_load_dwordx2 s[6:7], s[0:1], 0x10
	s_ashr_i32 s2, s4, 31
	s_lshr_b32 s2, s2, 24
	s_add_i32 s2, s4, s2
	s_ashr_i32 s2, s2, 8
	v_bfe_u32 v14, v0, 5, 5
	v_and_b32_e32 v13, 0x3ff, v0
	v_cmp_gt_u32_e32 vcc, s2, v14
	v_mov_b32_e32 v16, 0
	s_and_saveexec_b64 s[8:9], vcc
	s_cbranch_execz .LBB107_5
; %bb.2:
	s_load_dwordx4 s[12:15], s[0:1], 0x0
	s_add_i32 s0, s4, 0x1ff
	v_and_b32_e32 v2, 31, v13
	s_ashr_i32 s1, s0, 31
	v_add_u32_e32 v0, 0xf0, v2
	v_cmp_gt_u32_e32 vcc, 16, v2
	s_lshr_b32 s1, s1, 23
	s_add_i32 s0, s0, s1
	v_cndmask_b32_e32 v8, v0, v2, vcc
	v_and_b32_e32 v9, 0xf8, v8
	v_cmp_lt_u32_e32 vcc, 15, v2
	s_ashr_i32 s0, s0, 9
	s_mul_i32 s4, s3, s0
	v_cndmask_b32_e64 v10, 0, 8, vcc
	v_cndmask_b32_e64 v6, 0, 4, vcc
	v_cmp_ne_u32_e32 vcc, 0, v9
	v_and_b32_e32 v4, 7, v13
	s_waitcnt lgkmcnt(0)
	v_mad_u64_u32 v[6:7], s[0:1], v6, 36, s[14:15]
	v_cndmask_b32_e64 v9, 0, 1, vcc
	v_bfe_u32 v8, v8, 2, 6
	v_lshlrev_b32_e32 v0, 2, v2
	v_mov_b32_e32 v1, 0
	v_or_b32_e32 v2, v10, v4
	v_mad_u64_u32 v[6:7], s[0:1], v9, 36, v[6:7]
	v_add_u32_e32 v8, v8, v10
	v_lshlrev_b32_e32 v10, 3, v14
	v_mul_lo_u32 v15, v12, s2
	v_lshlrev_b32_e32 v2, 2, v2
	v_mov_b32_e32 v3, v1
	v_lshlrev_b32_e32 v4, 2, v4
	v_mov_b32_e32 v5, v1
	v_cndmask_b32_e64 v17, 0, 2, vcc
	v_mov_b32_e32 v9, v1
	v_lshl_add_u32 v18, s4, 4, v10
	s_mov_b64 s[0:1], 0
	s_movk_i32 s4, 0xd2
	v_mov_b64_e32 v[10:11], s[12:13]
	s_mov_b32 s10, 0x30303030
	s_movk_i32 s11, 0xe000
	s_movk_i32 s12, 0x3f00
	v_mov_b32_e32 v16, v1
.LBB107_3:                              ; =>This Inner Loop Header: Depth=1
	v_add_u32_e32 v19, v15, v14
	v_mad_i64_i32 v[20:21], s[14:15], v19, s4, v[10:11]
	v_lshl_add_u64 v[24:25], v[20:21], 0, v[2:3]
	v_lshl_add_u64 v[22:23], v[20:21], 0, v[0:1]
	global_load_dword v19, v[24:25], off offset:128
	global_load_dword v26, v[22:23], off
	v_mad_i64_i32 v[22:23], s[14:15], v18, 36, v[6:7]
	v_lshl_add_u64 v[24:25], v[22:23], 0, v[4:5]
	global_load_dword v27, v[24:25], off offset:4
	global_load_dword v28, v[24:25], off offset:76
	v_lshl_add_u64 v[24:25], v[20:21], 0, v[8:9]
	global_load_sbyte v29, v[24:25], off offset:192
	global_load_sbyte v30, v[24:25], off offset:196
	global_load_dword v31, v[22:23], off
	global_load_dword v32, v[22:23], off offset:72
	global_load_ushort v33, v[20:21], off offset:208
	v_mov_b32_e32 v20, 0
	v_mov_b32_e32 v21, 0
	v_add_u32_e32 v14, 2, v14
	v_cmp_le_u32_e32 vcc, s2, v14
	v_add_u32_e32 v18, 16, v18
	s_or_b64 s[0:1], vcc, s[0:1]
	s_waitcnt vmcnt(8)
	v_ashrrev_i32_e32 v19, v17, v19
	s_waitcnt vmcnt(7)
	v_and_b32_e32 v22, 0xf0f0f0f, v26
	v_lshrrev_b32_e32 v23, 4, v26
	v_lshlrev_b32_e32 v24, 4, v19
	v_and_b32_e32 v23, 0xf0f0f0f, v23
	v_and_or_b32 v22, v24, s10, v22
	v_and_or_b32 v19, v19, s10, v23
	v_lshrrev_b32_e32 v23, 16, v22
	v_lshlrev_b16_e32 v24, 8, v22
	v_lshrrev_b32_e32 v25, 16, v19
	v_lshlrev_b16_e32 v26, 8, v19
	v_add_u16_e32 v24, 0xe000, v24
	v_lshlrev_b16_e32 v34, 8, v23
	v_add_u16_e32 v26, 0xe000, v26
	v_lshlrev_b16_e32 v35, 8, v25
	v_lshrrev_b16_e32 v24, 8, v24
	v_add_u16_e32 v34, 0xe000, v34
	v_lshrrev_b16_e32 v26, 8, v26
	v_add_u16_e32 v35, 0xe000, v35
	v_bitop3_b16 v22, v22, v24, s12 bitop3:0xec
	v_lshrrev_b16_e32 v24, 8, v34
	v_bitop3_b16 v19, v19, v26, s12 bitop3:0xec
	v_lshrrev_b16_e32 v26, 8, v35
	v_bitop3_b16 v23, v23, v24, s12 bitop3:0xec
	v_add_u16_e32 v22, 0xe000, v22
	v_bitop3_b16 v24, v25, v26, s12 bitop3:0xec
	v_add_u16_sdwa v23, v23, s11 dst_sel:WORD_1 dst_unused:UNUSED_PAD src0_sel:DWORD src1_sel:DWORD
	v_add_u16_e32 v19, 0xe000, v19
	v_add_u16_sdwa v24, v24, s11 dst_sel:WORD_1 dst_unused:UNUSED_PAD src0_sel:DWORD src1_sel:DWORD
	v_or_b32_e32 v22, v22, v23
	v_or_b32_e32 v19, v19, v24
	s_waitcnt vmcnt(6)
	v_dot4c_i32_i8_e32 v20, v22, v27
	s_waitcnt vmcnt(5)
	v_dot4c_i32_i8_e32 v21, v19, v28
	s_waitcnt vmcnt(4)
	v_mul_lo_u32 v19, v20, v29
	s_waitcnt vmcnt(3)
	v_mul_lo_u32 v20, v21, v30
	v_cvt_f32_i32_e32 v19, v19
	v_cvt_f32_i32_e32 v20, v20
	s_waitcnt vmcnt(2)
	v_fma_mix_f32 v19, v31, v19, 0 op_sel_hi:[1,0,0]
	s_waitcnt vmcnt(1)
	v_fma_mix_f32 v19, v32, v20, v19 op_sel_hi:[1,0,0]
	s_waitcnt vmcnt(0)
	v_fma_mix_f32 v16, v19, v33, v16 op_sel_hi:[0,1,0]
	s_andn2_b64 exec, exec, s[0:1]
	s_cbranch_execnz .LBB107_3
; %bb.4:
	s_or_b64 exec, exec, s[0:1]
.LBB107_5:
	s_or_b64 exec, exec, s[8:9]
	v_mbcnt_lo_u32_b32 v0, -1, 0
	v_mbcnt_hi_u32_b32 v1, -1, v0
	v_and_b32_e32 v0, 64, v1
	v_add_u32_e32 v2, 64, v0
	v_xor_b32_e32 v0, 32, v1
	v_cmp_lt_i32_e32 vcc, v0, v2
	v_xor_b32_e32 v3, 16, v1
	v_xor_b32_e32 v4, 8, v1
	v_cndmask_b32_e32 v0, v1, v0, vcc
	v_lshlrev_b32_e32 v0, 2, v0
	ds_bpermute_b32 v0, v0, v16
	v_cmp_lt_i32_e32 vcc, v3, v2
	s_waitcnt lgkmcnt(0)
	v_add_f32_e32 v0, v16, v0
	v_cndmask_b32_e32 v3, v1, v3, vcc
	v_lshlrev_b32_e32 v3, 2, v3
	ds_bpermute_b32 v3, v3, v0
	v_cmp_lt_i32_e32 vcc, v4, v2
	s_waitcnt lgkmcnt(0)
	v_add_f32_e32 v0, v0, v3
	v_cndmask_b32_e32 v3, v1, v4, vcc
	v_lshlrev_b32_e32 v3, 2, v3
	ds_bpermute_b32 v3, v3, v0
	v_xor_b32_e32 v4, 4, v1
	v_cmp_lt_i32_e32 vcc, v4, v2
	s_waitcnt lgkmcnt(0)
	v_add_f32_e32 v0, v0, v3
	v_cndmask_b32_e32 v3, v1, v4, vcc
	v_lshlrev_b32_e32 v3, 2, v3
	ds_bpermute_b32 v3, v3, v0
	v_xor_b32_e32 v4, 2, v1
	;; [unrolled: 7-line block ×3, first 2 shown]
	v_cmp_lt_i32_e32 vcc, v4, v2
	s_waitcnt lgkmcnt(0)
	v_add_f32_e32 v0, v0, v3
	v_cndmask_b32_e32 v1, v1, v4, vcc
	v_lshlrev_b32_e32 v1, 2, v1
	ds_bpermute_b32 v1, v1, v0
	v_cmp_eq_u32_e32 vcc, 0, v13
	s_and_b64 exec, exec, vcc
	s_cbranch_execz .LBB107_7
; %bb.6:
	s_waitcnt lgkmcnt(0)
	v_add_f32_e32 v0, v0, v1
	v_bfe_u32 v1, v0, 16, 1
	s_movk_i32 s0, 0x7fff
	v_add3_u32 v1, v0, v1, s0
	v_cmp_o_f32_e32 vcc, v0, v0
	v_mov_b32_e32 v0, 0x7fc0
	s_mul_i32 s0, s5, s3
	v_cndmask_b32_sdwa v2, v0, v1, vcc dst_sel:DWORD dst_unused:UNUSED_PAD src0_sel:DWORD src1_sel:WORD_1
	v_add_u32_e32 v0, s0, v12
	v_mov_b32_e32 v1, 0
	v_lshl_add_u64 v[0:1], v[0:1], 1, s[6:7]
	global_store_short v[0:1], v2, off
.LBB107_7:
	s_endpgm
	.section	.rodata,"a",@progbits
	.p2align	6, 0x0
	.amdhsa_kernel _ZL13mul_mat_vec_qIN3c108BFloat16ELi256ELi32E10block_q6_KLi1EXadL_ZL17vec_dot_q6_K_q8_1PKvPK10block_q8_1RKiEEEvS4_S4_PT_iii
		.amdhsa_group_segment_fixed_size 0
		.amdhsa_private_segment_fixed_size 0
		.amdhsa_kernarg_size 296
		.amdhsa_user_sgpr_count 2
		.amdhsa_user_sgpr_dispatch_ptr 0
		.amdhsa_user_sgpr_queue_ptr 0
		.amdhsa_user_sgpr_kernarg_segment_ptr 1
		.amdhsa_user_sgpr_dispatch_id 0
		.amdhsa_user_sgpr_kernarg_preload_length 0
		.amdhsa_user_sgpr_kernarg_preload_offset 0
		.amdhsa_user_sgpr_private_segment_size 0
		.amdhsa_uses_dynamic_stack 0
		.amdhsa_enable_private_segment 0
		.amdhsa_system_sgpr_workgroup_id_x 1
		.amdhsa_system_sgpr_workgroup_id_y 1
		.amdhsa_system_sgpr_workgroup_id_z 0
		.amdhsa_system_sgpr_workgroup_info 0
		.amdhsa_system_vgpr_workitem_id 1
		.amdhsa_next_free_vgpr 36
		.amdhsa_next_free_sgpr 16
		.amdhsa_accum_offset 36
		.amdhsa_reserve_vcc 1
		.amdhsa_float_round_mode_32 0
		.amdhsa_float_round_mode_16_64 0
		.amdhsa_float_denorm_mode_32 3
		.amdhsa_float_denorm_mode_16_64 3
		.amdhsa_dx10_clamp 1
		.amdhsa_ieee_mode 1
		.amdhsa_fp16_overflow 0
		.amdhsa_tg_split 0
		.amdhsa_exception_fp_ieee_invalid_op 0
		.amdhsa_exception_fp_denorm_src 0
		.amdhsa_exception_fp_ieee_div_zero 0
		.amdhsa_exception_fp_ieee_overflow 0
		.amdhsa_exception_fp_ieee_underflow 0
		.amdhsa_exception_fp_ieee_inexact 0
		.amdhsa_exception_int_div_zero 0
	.end_amdhsa_kernel
	.section	.text._ZL13mul_mat_vec_qIN3c108BFloat16ELi256ELi32E10block_q6_KLi1EXadL_ZL17vec_dot_q6_K_q8_1PKvPK10block_q8_1RKiEEEvS4_S4_PT_iii,"axG",@progbits,_ZL13mul_mat_vec_qIN3c108BFloat16ELi256ELi32E10block_q6_KLi1EXadL_ZL17vec_dot_q6_K_q8_1PKvPK10block_q8_1RKiEEEvS4_S4_PT_iii,comdat
.Lfunc_end107:
	.size	_ZL13mul_mat_vec_qIN3c108BFloat16ELi256ELi32E10block_q6_KLi1EXadL_ZL17vec_dot_q6_K_q8_1PKvPK10block_q8_1RKiEEEvS4_S4_PT_iii, .Lfunc_end107-_ZL13mul_mat_vec_qIN3c108BFloat16ELi256ELi32E10block_q6_KLi1EXadL_ZL17vec_dot_q6_K_q8_1PKvPK10block_q8_1RKiEEEvS4_S4_PT_iii
                                        ; -- End function
	.set _ZL13mul_mat_vec_qIN3c108BFloat16ELi256ELi32E10block_q6_KLi1EXadL_ZL17vec_dot_q6_K_q8_1PKvPK10block_q8_1RKiEEEvS4_S4_PT_iii.num_vgpr, 36
	.set _ZL13mul_mat_vec_qIN3c108BFloat16ELi256ELi32E10block_q6_KLi1EXadL_ZL17vec_dot_q6_K_q8_1PKvPK10block_q8_1RKiEEEvS4_S4_PT_iii.num_agpr, 0
	.set _ZL13mul_mat_vec_qIN3c108BFloat16ELi256ELi32E10block_q6_KLi1EXadL_ZL17vec_dot_q6_K_q8_1PKvPK10block_q8_1RKiEEEvS4_S4_PT_iii.numbered_sgpr, 16
	.set _ZL13mul_mat_vec_qIN3c108BFloat16ELi256ELi32E10block_q6_KLi1EXadL_ZL17vec_dot_q6_K_q8_1PKvPK10block_q8_1RKiEEEvS4_S4_PT_iii.num_named_barrier, 0
	.set _ZL13mul_mat_vec_qIN3c108BFloat16ELi256ELi32E10block_q6_KLi1EXadL_ZL17vec_dot_q6_K_q8_1PKvPK10block_q8_1RKiEEEvS4_S4_PT_iii.private_seg_size, 0
	.set _ZL13mul_mat_vec_qIN3c108BFloat16ELi256ELi32E10block_q6_KLi1EXadL_ZL17vec_dot_q6_K_q8_1PKvPK10block_q8_1RKiEEEvS4_S4_PT_iii.uses_vcc, 1
	.set _ZL13mul_mat_vec_qIN3c108BFloat16ELi256ELi32E10block_q6_KLi1EXadL_ZL17vec_dot_q6_K_q8_1PKvPK10block_q8_1RKiEEEvS4_S4_PT_iii.uses_flat_scratch, 0
	.set _ZL13mul_mat_vec_qIN3c108BFloat16ELi256ELi32E10block_q6_KLi1EXadL_ZL17vec_dot_q6_K_q8_1PKvPK10block_q8_1RKiEEEvS4_S4_PT_iii.has_dyn_sized_stack, 0
	.set _ZL13mul_mat_vec_qIN3c108BFloat16ELi256ELi32E10block_q6_KLi1EXadL_ZL17vec_dot_q6_K_q8_1PKvPK10block_q8_1RKiEEEvS4_S4_PT_iii.has_recursion, 0
	.set _ZL13mul_mat_vec_qIN3c108BFloat16ELi256ELi32E10block_q6_KLi1EXadL_ZL17vec_dot_q6_K_q8_1PKvPK10block_q8_1RKiEEEvS4_S4_PT_iii.has_indirect_call, 0
	.section	.AMDGPU.csdata,"",@progbits
; Kernel info:
; codeLenInByte = 1088
; TotalNumSgprs: 22
; NumVgprs: 36
; NumAgprs: 0
; TotalNumVgprs: 36
; ScratchSize: 0
; MemoryBound: 0
; FloatMode: 240
; IeeeMode: 1
; LDSByteSize: 0 bytes/workgroup (compile time only)
; SGPRBlocks: 2
; VGPRBlocks: 4
; NumSGPRsForWavesPerEU: 22
; NumVGPRsForWavesPerEU: 36
; AccumOffset: 36
; Occupancy: 8
; WaveLimiterHint : 0
; COMPUTE_PGM_RSRC2:SCRATCH_EN: 0
; COMPUTE_PGM_RSRC2:USER_SGPR: 2
; COMPUTE_PGM_RSRC2:TRAP_HANDLER: 0
; COMPUTE_PGM_RSRC2:TGID_X_EN: 1
; COMPUTE_PGM_RSRC2:TGID_Y_EN: 1
; COMPUTE_PGM_RSRC2:TGID_Z_EN: 0
; COMPUTE_PGM_RSRC2:TIDIG_COMP_CNT: 1
; COMPUTE_PGM_RSRC3_GFX90A:ACCUM_OFFSET: 8
; COMPUTE_PGM_RSRC3_GFX90A:TG_SPLIT: 0
	.section	.text._ZL13mul_mat_vec_qIN3c108BFloat16ELi256ELi8E13block_iq2_xxsLi1EXadL_ZL20vec_dot_iq2_xxs_q8_1PKvPK10block_q8_1RKiEEEvS4_S4_PT_iii,"axG",@progbits,_ZL13mul_mat_vec_qIN3c108BFloat16ELi256ELi8E13block_iq2_xxsLi1EXadL_ZL20vec_dot_iq2_xxs_q8_1PKvPK10block_q8_1RKiEEEvS4_S4_PT_iii,comdat
	.globl	_ZL13mul_mat_vec_qIN3c108BFloat16ELi256ELi8E13block_iq2_xxsLi1EXadL_ZL20vec_dot_iq2_xxs_q8_1PKvPK10block_q8_1RKiEEEvS4_S4_PT_iii ; -- Begin function _ZL13mul_mat_vec_qIN3c108BFloat16ELi256ELi8E13block_iq2_xxsLi1EXadL_ZL20vec_dot_iq2_xxs_q8_1PKvPK10block_q8_1RKiEEEvS4_S4_PT_iii
	.p2align	8
	.type	_ZL13mul_mat_vec_qIN3c108BFloat16ELi256ELi8E13block_iq2_xxsLi1EXadL_ZL20vec_dot_iq2_xxs_q8_1PKvPK10block_q8_1RKiEEEvS4_S4_PT_iii,@function
_ZL13mul_mat_vec_qIN3c108BFloat16ELi256ELi8E13block_iq2_xxsLi1EXadL_ZL20vec_dot_iq2_xxs_q8_1PKvPK10block_q8_1RKiEEEvS4_S4_PT_iii: ; @_ZL13mul_mat_vec_qIN3c108BFloat16ELi256ELi8E13block_iq2_xxsLi1EXadL_ZL20vec_dot_iq2_xxs_q8_1PKvPK10block_q8_1RKiEEEvS4_S4_PT_iii
; %bb.0:
	s_load_dword s8, s[0:1], 0x34
	s_load_dwordx4 s[4:7], s[0:1], 0x18
	v_bfe_u32 v1, v0, 10, 10
	s_waitcnt lgkmcnt(0)
	s_lshr_b32 s7, s8, 16
	s_mul_i32 s2, s2, s7
	v_add_u32_e32 v10, s2, v1
	s_cmp_lt_u32 s3, s6
	v_cmp_gt_u32_e32 vcc, s5, v10
	s_cselect_b64 s[6:7], -1, 0
	s_and_b64 s[6:7], s[6:7], vcc
	s_and_saveexec_b64 s[8:9], s[6:7]
	s_cbranch_execz .LBB108_7
; %bb.1:
	s_load_dwordx2 s[6:7], s[0:1], 0x10
	s_ashr_i32 s2, s4, 31
	s_lshr_b32 s2, s2, 24
	s_add_i32 s2, s4, s2
	s_ashr_i32 s2, s2, 8
	v_bfe_u32 v12, v0, 3, 7
	v_and_b32_e32 v11, 0x3ff, v0
	v_cmp_gt_u32_e32 vcc, s2, v12
	v_mov_b32_e32 v13, 0
	s_and_saveexec_b64 s[8:9], vcc
	s_cbranch_execz .LBB108_5
; %bb.2:
	s_load_dwordx4 s[12:15], s[0:1], 0x0
	s_add_i32 s0, s4, 0x1ff
	s_ashr_i32 s1, s0, 31
	s_lshr_b32 s1, s1, 23
	s_add_i32 s0, s0, s1
	s_ashr_i32 s0, s0, 9
	v_and_b32_e32 v2, 7, v11
	s_mul_i32 s4, s3, s0
	v_lshlrev_b32_e32 v0, 2, v2
	v_mov_b32_e32 v1, 0
	s_waitcnt lgkmcnt(0)
	v_mad_u64_u32 v[2:3], s[0:1], v2, 36, s[14:15]
	v_lshlrev_b32_e32 v4, 3, v12
	v_mul_lo_u32 v14, v10, s2
	v_lshl_add_u32 v15, s4, 4, v4
	s_mov_b64 s[0:1], 0
	s_movk_i32 s4, 0x42
	v_mov_b64_e32 v[4:5], s[12:13]
	v_lshlrev_b32_e32 v0, 1, v0
	v_mov_b32_e32 v16, 3
	v_mov_b32_e32 v13, v1
.LBB108_3:                              ; =>This Inner Loop Header: Depth=1
	v_add_u32_e32 v6, v14, v12
	v_mad_i64_i32 v[8:9], s[10:11], v6, s4, v[4:5]
	v_lshl_add_u64 v[18:19], v[8:9], 0, v[0:1]
	global_load_dword v17, v[18:19], off offset:6
	global_load_dword v24, v[18:19], off offset:2
	v_mad_i64_i32 v[6:7], s[10:11], v15, 36, v[2:3]
	s_getpc_b64 s[10:11]
	s_add_u32 s10, s10, _ZL11iq2xxs_grid@rel32@lo+4
	s_addc_u32 s11, s11, _ZL11iq2xxs_grid@rel32@hi+12
	s_getpc_b64 s[12:13]
	s_add_u32 s12, s12, _ZL12ksigns_iq2xs@rel32@lo+4
	s_addc_u32 s13, s13, _ZL12ksigns_iq2xs@rel32@hi+12
	v_add_u32_e32 v12, 8, v12
	v_add_u32_e32 v15, 64, v15
	s_waitcnt vmcnt(1)
	v_and_b32_e32 v26, 0x7f, v17
	s_waitcnt vmcnt(0)
	v_lshlrev_b32_sdwa v25, v16, v24 dst_sel:DWORD dst_unused:UNUSED_PAD src0_sel:DWORD src1_sel:BYTE_0
	global_load_sbyte v27, v26, s[12:13]
	global_load_dwordx4 v[18:21], v[6:7], off offset:4
	global_load_dwordx2 v[22:23], v25, s[10:11]
	s_waitcnt vmcnt(2)
	v_and_b32_e32 v28, 1, v27
	v_cmp_eq_u16_e32 vcc, 0, v28
	s_waitcnt vmcnt(0)
	v_mul_i32_i24_sdwa v25, v22, sext(v18) dst_sel:DWORD dst_unused:UNUSED_PAD src0_sel:BYTE_0 src1_sel:BYTE_0
	v_sub_u32_e32 v28, 0, v25
	v_cndmask_b32_e32 v25, v28, v25, vcc
	v_mul_i32_i24_sdwa v28, v22, sext(v18) dst_sel:DWORD dst_unused:UNUSED_PAD src0_sel:BYTE_1 src1_sel:BYTE_1
	v_and_b32_e32 v29, 2, v27
	v_cmp_eq_u16_e32 vcc, 0, v29
	v_sub_u32_e32 v29, 0, v28
	s_nop 0
	v_cndmask_b32_e32 v28, v29, v28, vcc
	v_add_u32_e32 v25, v28, v25
	v_mul_i32_i24_sdwa v28, v22, sext(v18) dst_sel:DWORD dst_unused:UNUSED_PAD src0_sel:BYTE_2 src1_sel:BYTE_2
	v_and_b32_e32 v29, 4, v27
	v_cmp_eq_u16_e32 vcc, 0, v29
	v_sub_u32_e32 v29, 0, v28
	v_mul_i32_i24_sdwa v18, v22, sext(v18) dst_sel:DWORD dst_unused:UNUSED_PAD src0_sel:BYTE_3 src1_sel:BYTE_3
	v_and_b32_e32 v22, 8, v27
	v_cndmask_b32_e32 v28, v29, v28, vcc
	v_cmp_eq_u16_e32 vcc, 0, v22
	v_sub_u32_e32 v22, 0, v18
	s_nop 0
	v_cndmask_b32_e32 v18, v22, v18, vcc
	v_add3_u32 v18, v25, v28, v18
	v_mul_i32_i24_sdwa v22, v23, sext(v19) dst_sel:DWORD dst_unused:UNUSED_PAD src0_sel:BYTE_0 src1_sel:BYTE_0
	v_and_b32_e32 v25, 16, v27
	v_cmp_eq_u16_e32 vcc, 0, v25
	v_sub_u32_e32 v25, 0, v22
	v_and_b32_e32 v28, 32, v27
	v_cndmask_b32_e32 v22, v25, v22, vcc
	v_mul_i32_i24_sdwa v25, v23, sext(v19) dst_sel:DWORD dst_unused:UNUSED_PAD src0_sel:BYTE_1 src1_sel:BYTE_1
	v_cmp_eq_u16_e32 vcc, 0, v28
	v_sub_u32_e32 v28, 0, v25
	s_nop 0
	v_cndmask_b32_e32 v25, v28, v25, vcc
	v_add3_u32 v18, v18, v22, v25
	v_mul_i32_i24_sdwa v22, v23, sext(v19) dst_sel:DWORD dst_unused:UNUSED_PAD src0_sel:BYTE_2 src1_sel:BYTE_2
	v_cmp_gt_u32_e32 vcc, 64, v26
	v_sub_u32_e32 v25, 0, v22
	v_mul_i32_i24_sdwa v19, v23, sext(v19) dst_sel:DWORD dst_unused:UNUSED_PAD src0_sel:BYTE_3 src1_sel:BYTE_3
	v_cndmask_b32_e32 v22, v25, v22, vcc
	v_sub_u32_e32 v23, 0, v19
	v_cmp_gt_i16_e32 vcc, 0, v27
	v_bfe_u32 v25, v17, 7, 7
	s_nop 0
	v_cndmask_b32_e32 v19, v19, v23, vcc
	v_add3_u32 v22, v18, v22, v19
	v_lshlrev_b32_sdwa v23, v16, v24 dst_sel:DWORD dst_unused:UNUSED_PAD src0_sel:DWORD src1_sel:BYTE_1
	global_load_sbyte v26, v25, s[12:13]
	global_load_dwordx2 v[18:19], v23, s[10:11]
	s_waitcnt vmcnt(1)
	v_and_b32_e32 v27, 1, v26
	s_waitcnt vmcnt(0)
	v_mul_i32_i24_sdwa v23, v18, sext(v20) dst_sel:DWORD dst_unused:UNUSED_PAD src0_sel:BYTE_0 src1_sel:BYTE_0
	v_cmp_eq_u16_e32 vcc, 0, v27
	v_sub_u32_e32 v27, 0, v23
	v_and_b32_e32 v28, 2, v26
	v_cndmask_b32_e32 v23, v27, v23, vcc
	v_mul_i32_i24_sdwa v27, v18, sext(v20) dst_sel:DWORD dst_unused:UNUSED_PAD src0_sel:BYTE_1 src1_sel:BYTE_1
	v_cmp_eq_u16_e32 vcc, 0, v28
	v_sub_u32_e32 v28, 0, v27
	s_nop 0
	v_cndmask_b32_e32 v27, v28, v27, vcc
	v_add3_u32 v22, v22, v23, v27
	v_mul_i32_i24_sdwa v23, v18, sext(v20) dst_sel:DWORD dst_unused:UNUSED_PAD src0_sel:BYTE_2 src1_sel:BYTE_2
	v_and_b32_e32 v27, 4, v26
	v_cmp_eq_u16_e32 vcc, 0, v27
	v_sub_u32_e32 v27, 0, v23
	v_mul_i32_i24_sdwa v18, v18, sext(v20) dst_sel:DWORD dst_unused:UNUSED_PAD src0_sel:BYTE_3 src1_sel:BYTE_3
	v_and_b32_e32 v20, 8, v26
	v_cndmask_b32_e32 v23, v27, v23, vcc
	v_cmp_eq_u16_e32 vcc, 0, v20
	v_sub_u32_e32 v20, 0, v18
	v_bfe_u32 v27, v17, 14, 7
	v_cndmask_b32_e32 v18, v20, v18, vcc
	v_add3_u32 v18, v22, v23, v18
	v_mul_i32_i24_sdwa v20, v19, sext(v21) dst_sel:DWORD dst_unused:UNUSED_PAD src0_sel:BYTE_0 src1_sel:BYTE_0
	v_and_b32_e32 v22, 16, v26
	v_cmp_eq_u16_e32 vcc, 0, v22
	v_sub_u32_e32 v22, 0, v20
	v_and_b32_e32 v23, 32, v26
	v_cndmask_b32_e32 v20, v22, v20, vcc
	v_mul_i32_i24_sdwa v22, v19, sext(v21) dst_sel:DWORD dst_unused:UNUSED_PAD src0_sel:BYTE_1 src1_sel:BYTE_1
	v_cmp_eq_u16_e32 vcc, 0, v23
	v_sub_u32_e32 v23, 0, v22
	s_nop 0
	v_cndmask_b32_e32 v22, v23, v22, vcc
	v_add3_u32 v18, v18, v20, v22
	v_mul_i32_i24_sdwa v20, v19, sext(v21) dst_sel:DWORD dst_unused:UNUSED_PAD src0_sel:BYTE_2 src1_sel:BYTE_2
	v_cmp_gt_u32_e32 vcc, 64, v25
	v_sub_u32_e32 v22, 0, v20
	v_mul_i32_i24_sdwa v19, v19, sext(v21) dst_sel:DWORD dst_unused:UNUSED_PAD src0_sel:BYTE_3 src1_sel:BYTE_3
	v_cndmask_b32_e32 v20, v22, v20, vcc
	v_sub_u32_e32 v21, 0, v19
	v_cmp_gt_i16_e32 vcc, 0, v26
	v_lshlrev_b32_sdwa v26, v16, v24 dst_sel:DWORD dst_unused:UNUSED_PAD src0_sel:DWORD src1_sel:BYTE_2
	s_nop 0
	v_cndmask_b32_e32 v19, v19, v21, vcc
	v_add3_u32 v25, v18, v20, v19
	global_load_sbyte v28, v27, s[12:13]
	global_load_dwordx4 v[18:21], v[6:7], off offset:20
	global_load_dwordx2 v[22:23], v26, s[10:11]
	s_waitcnt vmcnt(2)
	v_and_b32_e32 v29, 1, v28
	v_cmp_eq_u16_e32 vcc, 0, v29
	s_waitcnt vmcnt(0)
	v_mul_i32_i24_sdwa v26, v22, sext(v18) dst_sel:DWORD dst_unused:UNUSED_PAD src0_sel:BYTE_0 src1_sel:BYTE_0
	v_sub_u32_e32 v29, 0, v26
	v_cndmask_b32_e32 v26, v29, v26, vcc
	v_mul_i32_i24_sdwa v29, v22, sext(v18) dst_sel:DWORD dst_unused:UNUSED_PAD src0_sel:BYTE_1 src1_sel:BYTE_1
	v_and_b32_e32 v30, 2, v28
	v_cmp_eq_u16_e32 vcc, 0, v30
	v_sub_u32_e32 v30, 0, v29
	s_nop 0
	v_cndmask_b32_e32 v29, v30, v29, vcc
	v_add3_u32 v25, v25, v26, v29
	v_mul_i32_i24_sdwa v26, v22, sext(v18) dst_sel:DWORD dst_unused:UNUSED_PAD src0_sel:BYTE_2 src1_sel:BYTE_2
	v_and_b32_e32 v29, 4, v28
	v_cmp_eq_u16_e32 vcc, 0, v29
	v_sub_u32_e32 v29, 0, v26
	v_mul_i32_i24_sdwa v18, v22, sext(v18) dst_sel:DWORD dst_unused:UNUSED_PAD src0_sel:BYTE_3 src1_sel:BYTE_3
	v_and_b32_e32 v22, 8, v28
	v_cndmask_b32_e32 v26, v29, v26, vcc
	v_cmp_eq_u16_e32 vcc, 0, v22
	v_sub_u32_e32 v22, 0, v18
	s_nop 0
	v_cndmask_b32_e32 v18, v22, v18, vcc
	v_add3_u32 v18, v25, v26, v18
	v_mul_i32_i24_sdwa v22, v23, sext(v19) dst_sel:DWORD dst_unused:UNUSED_PAD src0_sel:BYTE_0 src1_sel:BYTE_0
	v_and_b32_e32 v25, 16, v28
	v_cmp_eq_u16_e32 vcc, 0, v25
	v_sub_u32_e32 v25, 0, v22
	v_and_b32_e32 v26, 32, v28
	v_cndmask_b32_e32 v22, v25, v22, vcc
	v_mul_i32_i24_sdwa v25, v23, sext(v19) dst_sel:DWORD dst_unused:UNUSED_PAD src0_sel:BYTE_1 src1_sel:BYTE_1
	v_cmp_eq_u16_e32 vcc, 0, v26
	v_sub_u32_e32 v26, 0, v25
	s_nop 0
	v_cndmask_b32_e32 v25, v26, v25, vcc
	v_add3_u32 v18, v18, v22, v25
	v_mul_i32_i24_sdwa v22, v23, sext(v19) dst_sel:DWORD dst_unused:UNUSED_PAD src0_sel:BYTE_2 src1_sel:BYTE_2
	v_cmp_gt_u32_e32 vcc, 64, v27
	v_sub_u32_e32 v25, 0, v22
	v_mul_i32_i24_sdwa v19, v23, sext(v19) dst_sel:DWORD dst_unused:UNUSED_PAD src0_sel:BYTE_3 src1_sel:BYTE_3
	v_cndmask_b32_e32 v22, v25, v22, vcc
	v_sub_u32_e32 v23, 0, v19
	v_cmp_gt_i16_e32 vcc, 0, v28
	s_nop 1
	v_cndmask_b32_e32 v19, v19, v23, vcc
	v_lshlrev_b32_sdwa v23, v16, v24 dst_sel:DWORD dst_unused:UNUSED_PAD src0_sel:DWORD src1_sel:BYTE_3
	v_bfe_u32 v24, v17, 21, 7
	v_add3_u32 v22, v18, v22, v19
	global_load_sbyte v25, v24, s[12:13]
	global_load_dwordx2 v[18:19], v23, s[10:11]
	v_lshrrev_b32_e32 v17, 28, v17
	global_load_ushort v8, v[8:9], off
	v_cvt_f32_ubyte0_e32 v9, v17
	global_load_ushort v6, v[6:7], off
	v_add_f32_e32 v9, 0.5, v9
	s_waitcnt vmcnt(3)
	v_and_b32_e32 v26, 1, v25
	s_waitcnt vmcnt(2)
	v_mul_i32_i24_sdwa v23, v18, sext(v20) dst_sel:DWORD dst_unused:UNUSED_PAD src0_sel:BYTE_0 src1_sel:BYTE_0
	v_cmp_eq_u16_e32 vcc, 0, v26
	v_sub_u32_e32 v26, 0, v23
	v_and_b32_e32 v27, 2, v25
	v_cndmask_b32_e32 v23, v26, v23, vcc
	v_mul_i32_i24_sdwa v26, v18, sext(v20) dst_sel:DWORD dst_unused:UNUSED_PAD src0_sel:BYTE_1 src1_sel:BYTE_1
	v_cmp_eq_u16_e32 vcc, 0, v27
	v_sub_u32_e32 v27, 0, v26
	s_waitcnt vmcnt(1)
	v_cvt_f32_f16_e32 v8, v8
	v_cndmask_b32_e32 v26, v27, v26, vcc
	v_add3_u32 v22, v22, v23, v26
	v_mul_i32_i24_sdwa v23, v18, sext(v20) dst_sel:DWORD dst_unused:UNUSED_PAD src0_sel:BYTE_2 src1_sel:BYTE_2
	v_and_b32_e32 v26, 4, v25
	v_cmp_eq_u16_e32 vcc, 0, v26
	v_sub_u32_e32 v26, 0, v23
	v_mul_i32_i24_sdwa v18, v18, sext(v20) dst_sel:DWORD dst_unused:UNUSED_PAD src0_sel:BYTE_3 src1_sel:BYTE_3
	v_and_b32_e32 v20, 8, v25
	v_cndmask_b32_e32 v23, v26, v23, vcc
	v_cmp_eq_u16_e32 vcc, 0, v20
	v_sub_u32_e32 v20, 0, v18
	s_waitcnt vmcnt(0)
	v_cvt_f32_f16_e32 v6, v6
	v_cndmask_b32_e32 v18, v20, v18, vcc
	v_add3_u32 v18, v22, v23, v18
	v_mul_i32_i24_sdwa v20, v19, sext(v21) dst_sel:DWORD dst_unused:UNUSED_PAD src0_sel:BYTE_0 src1_sel:BYTE_0
	v_and_b32_e32 v22, 16, v25
	v_cmp_eq_u16_e32 vcc, 0, v22
	v_sub_u32_e32 v22, 0, v20
	v_and_b32_e32 v23, 32, v25
	v_cndmask_b32_e32 v20, v22, v20, vcc
	v_mul_i32_i24_sdwa v22, v19, sext(v21) dst_sel:DWORD dst_unused:UNUSED_PAD src0_sel:BYTE_1 src1_sel:BYTE_1
	v_cmp_eq_u16_e32 vcc, 0, v23
	v_sub_u32_e32 v23, 0, v22
	v_mul_f32_e32 v8, v9, v8
	v_cndmask_b32_e32 v22, v23, v22, vcc
	v_add3_u32 v18, v18, v20, v22
	v_mul_i32_i24_sdwa v20, v19, sext(v21) dst_sel:DWORD dst_unused:UNUSED_PAD src0_sel:BYTE_2 src1_sel:BYTE_2
	v_cmp_gt_u32_e32 vcc, 64, v24
	v_sub_u32_e32 v22, 0, v20
	v_mul_i32_i24_sdwa v19, v19, sext(v21) dst_sel:DWORD dst_unused:UNUSED_PAD src0_sel:BYTE_3 src1_sel:BYTE_3
	v_cndmask_b32_e32 v20, v22, v20, vcc
	v_sub_u32_e32 v21, 0, v19
	v_cmp_gt_i16_e32 vcc, 0, v25
	v_mul_f32_e32 v6, v8, v6
	v_mul_f32_e32 v6, 0x3e800000, v6
	v_cndmask_b32_e32 v19, v19, v21, vcc
	v_add3_u32 v18, v18, v20, v19
	v_cvt_f32_i32_e32 v7, v18
	v_cmp_le_u32_e32 vcc, s2, v12
	s_or_b64 s[0:1], vcc, s[0:1]
	v_fmac_f32_e32 v13, v6, v7
	s_andn2_b64 exec, exec, s[0:1]
	s_cbranch_execnz .LBB108_3
; %bb.4:
	s_or_b64 exec, exec, s[0:1]
.LBB108_5:
	s_or_b64 exec, exec, s[8:9]
	v_mbcnt_lo_u32_b32 v0, -1, 0
	v_mbcnt_hi_u32_b32 v1, -1, v0
	v_and_b32_e32 v0, 64, v1
	v_add_u32_e32 v2, 64, v0
	v_xor_b32_e32 v0, 32, v1
	v_cmp_lt_i32_e32 vcc, v0, v2
	v_xor_b32_e32 v3, 16, v1
	v_xor_b32_e32 v4, 8, v1
	v_cndmask_b32_e32 v0, v1, v0, vcc
	v_lshlrev_b32_e32 v0, 2, v0
	ds_bpermute_b32 v0, v0, v13
	v_cmp_lt_i32_e32 vcc, v3, v2
	s_waitcnt lgkmcnt(0)
	v_add_f32_e32 v0, v13, v0
	v_cndmask_b32_e32 v3, v1, v3, vcc
	v_lshlrev_b32_e32 v3, 2, v3
	ds_bpermute_b32 v3, v3, v0
	v_cmp_lt_i32_e32 vcc, v4, v2
	s_waitcnt lgkmcnt(0)
	v_add_f32_e32 v0, v0, v3
	v_cndmask_b32_e32 v3, v1, v4, vcc
	v_lshlrev_b32_e32 v3, 2, v3
	ds_bpermute_b32 v3, v3, v0
	v_xor_b32_e32 v4, 4, v1
	v_cmp_lt_i32_e32 vcc, v4, v2
	s_waitcnt lgkmcnt(0)
	v_add_f32_e32 v0, v0, v3
	v_cndmask_b32_e32 v3, v1, v4, vcc
	v_lshlrev_b32_e32 v3, 2, v3
	ds_bpermute_b32 v3, v3, v0
	v_xor_b32_e32 v4, 2, v1
	v_cmp_lt_i32_e32 vcc, v4, v2
	s_waitcnt lgkmcnt(0)
	v_add_f32_e32 v0, v0, v3
	v_cndmask_b32_e32 v3, v1, v4, vcc
	v_lshlrev_b32_e32 v3, 2, v3
	ds_bpermute_b32 v3, v3, v0
	v_xor_b32_e32 v4, 1, v1
	v_cmp_lt_i32_e32 vcc, v4, v2
	s_waitcnt lgkmcnt(0)
	v_add_f32_e32 v0, v0, v3
	v_cndmask_b32_e32 v1, v1, v4, vcc
	v_lshlrev_b32_e32 v1, 2, v1
	ds_bpermute_b32 v1, v1, v0
	v_cmp_eq_u32_e32 vcc, 0, v11
	s_and_b64 exec, exec, vcc
	s_cbranch_execz .LBB108_7
; %bb.6:
	s_waitcnt lgkmcnt(0)
	v_add_f32_e32 v0, v0, v1
	v_bfe_u32 v1, v0, 16, 1
	s_movk_i32 s0, 0x7fff
	v_add3_u32 v1, v0, v1, s0
	v_cmp_o_f32_e32 vcc, v0, v0
	v_mov_b32_e32 v0, 0x7fc0
	s_mul_i32 s0, s5, s3
	v_cndmask_b32_sdwa v2, v0, v1, vcc dst_sel:DWORD dst_unused:UNUSED_PAD src0_sel:DWORD src1_sel:WORD_1
	v_add_u32_e32 v0, s0, v10
	v_mov_b32_e32 v1, 0
	v_lshl_add_u64 v[0:1], v[0:1], 1, s[6:7]
	global_store_short v[0:1], v2, off
.LBB108_7:
	s_endpgm
	.section	.rodata,"a",@progbits
	.p2align	6, 0x0
	.amdhsa_kernel _ZL13mul_mat_vec_qIN3c108BFloat16ELi256ELi8E13block_iq2_xxsLi1EXadL_ZL20vec_dot_iq2_xxs_q8_1PKvPK10block_q8_1RKiEEEvS4_S4_PT_iii
		.amdhsa_group_segment_fixed_size 0
		.amdhsa_private_segment_fixed_size 0
		.amdhsa_kernarg_size 296
		.amdhsa_user_sgpr_count 2
		.amdhsa_user_sgpr_dispatch_ptr 0
		.amdhsa_user_sgpr_queue_ptr 0
		.amdhsa_user_sgpr_kernarg_segment_ptr 1
		.amdhsa_user_sgpr_dispatch_id 0
		.amdhsa_user_sgpr_kernarg_preload_length 0
		.amdhsa_user_sgpr_kernarg_preload_offset 0
		.amdhsa_user_sgpr_private_segment_size 0
		.amdhsa_uses_dynamic_stack 0
		.amdhsa_enable_private_segment 0
		.amdhsa_system_sgpr_workgroup_id_x 1
		.amdhsa_system_sgpr_workgroup_id_y 1
		.amdhsa_system_sgpr_workgroup_id_z 0
		.amdhsa_system_sgpr_workgroup_info 0
		.amdhsa_system_vgpr_workitem_id 1
		.amdhsa_next_free_vgpr 31
		.amdhsa_next_free_sgpr 16
		.amdhsa_accum_offset 32
		.amdhsa_reserve_vcc 1
		.amdhsa_float_round_mode_32 0
		.amdhsa_float_round_mode_16_64 0
		.amdhsa_float_denorm_mode_32 3
		.amdhsa_float_denorm_mode_16_64 3
		.amdhsa_dx10_clamp 1
		.amdhsa_ieee_mode 1
		.amdhsa_fp16_overflow 0
		.amdhsa_tg_split 0
		.amdhsa_exception_fp_ieee_invalid_op 0
		.amdhsa_exception_fp_denorm_src 0
		.amdhsa_exception_fp_ieee_div_zero 0
		.amdhsa_exception_fp_ieee_overflow 0
		.amdhsa_exception_fp_ieee_underflow 0
		.amdhsa_exception_fp_ieee_inexact 0
		.amdhsa_exception_int_div_zero 0
	.end_amdhsa_kernel
	.section	.text._ZL13mul_mat_vec_qIN3c108BFloat16ELi256ELi8E13block_iq2_xxsLi1EXadL_ZL20vec_dot_iq2_xxs_q8_1PKvPK10block_q8_1RKiEEEvS4_S4_PT_iii,"axG",@progbits,_ZL13mul_mat_vec_qIN3c108BFloat16ELi256ELi8E13block_iq2_xxsLi1EXadL_ZL20vec_dot_iq2_xxs_q8_1PKvPK10block_q8_1RKiEEEvS4_S4_PT_iii,comdat
.Lfunc_end108:
	.size	_ZL13mul_mat_vec_qIN3c108BFloat16ELi256ELi8E13block_iq2_xxsLi1EXadL_ZL20vec_dot_iq2_xxs_q8_1PKvPK10block_q8_1RKiEEEvS4_S4_PT_iii, .Lfunc_end108-_ZL13mul_mat_vec_qIN3c108BFloat16ELi256ELi8E13block_iq2_xxsLi1EXadL_ZL20vec_dot_iq2_xxs_q8_1PKvPK10block_q8_1RKiEEEvS4_S4_PT_iii
                                        ; -- End function
	.set _ZL13mul_mat_vec_qIN3c108BFloat16ELi256ELi8E13block_iq2_xxsLi1EXadL_ZL20vec_dot_iq2_xxs_q8_1PKvPK10block_q8_1RKiEEEvS4_S4_PT_iii.num_vgpr, 31
	.set _ZL13mul_mat_vec_qIN3c108BFloat16ELi256ELi8E13block_iq2_xxsLi1EXadL_ZL20vec_dot_iq2_xxs_q8_1PKvPK10block_q8_1RKiEEEvS4_S4_PT_iii.num_agpr, 0
	.set _ZL13mul_mat_vec_qIN3c108BFloat16ELi256ELi8E13block_iq2_xxsLi1EXadL_ZL20vec_dot_iq2_xxs_q8_1PKvPK10block_q8_1RKiEEEvS4_S4_PT_iii.numbered_sgpr, 16
	.set _ZL13mul_mat_vec_qIN3c108BFloat16ELi256ELi8E13block_iq2_xxsLi1EXadL_ZL20vec_dot_iq2_xxs_q8_1PKvPK10block_q8_1RKiEEEvS4_S4_PT_iii.num_named_barrier, 0
	.set _ZL13mul_mat_vec_qIN3c108BFloat16ELi256ELi8E13block_iq2_xxsLi1EXadL_ZL20vec_dot_iq2_xxs_q8_1PKvPK10block_q8_1RKiEEEvS4_S4_PT_iii.private_seg_size, 0
	.set _ZL13mul_mat_vec_qIN3c108BFloat16ELi256ELi8E13block_iq2_xxsLi1EXadL_ZL20vec_dot_iq2_xxs_q8_1PKvPK10block_q8_1RKiEEEvS4_S4_PT_iii.uses_vcc, 1
	.set _ZL13mul_mat_vec_qIN3c108BFloat16ELi256ELi8E13block_iq2_xxsLi1EXadL_ZL20vec_dot_iq2_xxs_q8_1PKvPK10block_q8_1RKiEEEvS4_S4_PT_iii.uses_flat_scratch, 0
	.set _ZL13mul_mat_vec_qIN3c108BFloat16ELi256ELi8E13block_iq2_xxsLi1EXadL_ZL20vec_dot_iq2_xxs_q8_1PKvPK10block_q8_1RKiEEEvS4_S4_PT_iii.has_dyn_sized_stack, 0
	.set _ZL13mul_mat_vec_qIN3c108BFloat16ELi256ELi8E13block_iq2_xxsLi1EXadL_ZL20vec_dot_iq2_xxs_q8_1PKvPK10block_q8_1RKiEEEvS4_S4_PT_iii.has_recursion, 0
	.set _ZL13mul_mat_vec_qIN3c108BFloat16ELi256ELi8E13block_iq2_xxsLi1EXadL_ZL20vec_dot_iq2_xxs_q8_1PKvPK10block_q8_1RKiEEEvS4_S4_PT_iii.has_indirect_call, 0
	.section	.AMDGPU.csdata,"",@progbits
; Kernel info:
; codeLenInByte = 1796
; TotalNumSgprs: 22
; NumVgprs: 31
; NumAgprs: 0
; TotalNumVgprs: 31
; ScratchSize: 0
; MemoryBound: 0
; FloatMode: 240
; IeeeMode: 1
; LDSByteSize: 0 bytes/workgroup (compile time only)
; SGPRBlocks: 2
; VGPRBlocks: 3
; NumSGPRsForWavesPerEU: 22
; NumVGPRsForWavesPerEU: 31
; AccumOffset: 32
; Occupancy: 8
; WaveLimiterHint : 0
; COMPUTE_PGM_RSRC2:SCRATCH_EN: 0
; COMPUTE_PGM_RSRC2:USER_SGPR: 2
; COMPUTE_PGM_RSRC2:TRAP_HANDLER: 0
; COMPUTE_PGM_RSRC2:TGID_X_EN: 1
; COMPUTE_PGM_RSRC2:TGID_Y_EN: 1
; COMPUTE_PGM_RSRC2:TGID_Z_EN: 0
; COMPUTE_PGM_RSRC2:TIDIG_COMP_CNT: 1
; COMPUTE_PGM_RSRC3_GFX90A:ACCUM_OFFSET: 7
; COMPUTE_PGM_RSRC3_GFX90A:TG_SPLIT: 0
	.section	.text._ZL13mul_mat_vec_qIN3c108BFloat16ELi256ELi8E12block_iq2_xsLi1EXadL_ZL19vec_dot_iq2_xs_q8_1PKvPK10block_q8_1RKiEEEvS4_S4_PT_iii,"axG",@progbits,_ZL13mul_mat_vec_qIN3c108BFloat16ELi256ELi8E12block_iq2_xsLi1EXadL_ZL19vec_dot_iq2_xs_q8_1PKvPK10block_q8_1RKiEEEvS4_S4_PT_iii,comdat
	.globl	_ZL13mul_mat_vec_qIN3c108BFloat16ELi256ELi8E12block_iq2_xsLi1EXadL_ZL19vec_dot_iq2_xs_q8_1PKvPK10block_q8_1RKiEEEvS4_S4_PT_iii ; -- Begin function _ZL13mul_mat_vec_qIN3c108BFloat16ELi256ELi8E12block_iq2_xsLi1EXadL_ZL19vec_dot_iq2_xs_q8_1PKvPK10block_q8_1RKiEEEvS4_S4_PT_iii
	.p2align	8
	.type	_ZL13mul_mat_vec_qIN3c108BFloat16ELi256ELi8E12block_iq2_xsLi1EXadL_ZL19vec_dot_iq2_xs_q8_1PKvPK10block_q8_1RKiEEEvS4_S4_PT_iii,@function
_ZL13mul_mat_vec_qIN3c108BFloat16ELi256ELi8E12block_iq2_xsLi1EXadL_ZL19vec_dot_iq2_xs_q8_1PKvPK10block_q8_1RKiEEEvS4_S4_PT_iii: ; @_ZL13mul_mat_vec_qIN3c108BFloat16ELi256ELi8E12block_iq2_xsLi1EXadL_ZL19vec_dot_iq2_xs_q8_1PKvPK10block_q8_1RKiEEEvS4_S4_PT_iii
; %bb.0:
	s_load_dword s8, s[0:1], 0x34
	s_load_dwordx4 s[4:7], s[0:1], 0x18
	v_bfe_u32 v1, v0, 10, 10
	s_waitcnt lgkmcnt(0)
	s_lshr_b32 s7, s8, 16
	s_mul_i32 s2, s2, s7
	v_add_u32_e32 v14, s2, v1
	s_cmp_lt_u32 s3, s6
	v_cmp_gt_u32_e32 vcc, s5, v14
	s_cselect_b64 s[6:7], -1, 0
	s_and_b64 s[6:7], s[6:7], vcc
	s_and_saveexec_b64 s[8:9], s[6:7]
	s_cbranch_execz .LBB109_7
; %bb.1:
	s_load_dwordx2 s[6:7], s[0:1], 0x10
	s_ashr_i32 s2, s4, 31
	s_lshr_b32 s2, s2, 24
	s_add_i32 s2, s4, s2
	s_ashr_i32 s2, s2, 8
	v_bfe_u32 v16, v0, 3, 7
	v_and_b32_e32 v15, 0x3ff, v0
	v_cmp_gt_u32_e32 vcc, s2, v16
	v_mov_b32_e32 v17, 0
	s_and_saveexec_b64 s[8:9], vcc
	s_cbranch_execz .LBB109_5
; %bb.2:
	s_load_dwordx4 s[12:15], s[0:1], 0x0
	s_add_i32 s0, s4, 0x1ff
	s_ashr_i32 s1, s0, 31
	s_lshr_b32 s1, s1, 23
	s_add_i32 s0, s0, s1
	s_ashr_i32 s0, s0, 9
	v_and_b32_e32 v0, 7, v15
	s_mul_i32 s4, s3, s0
	v_lshlrev_b32_e32 v6, 2, v0
	v_mov_b32_e32 v1, 0
	s_waitcnt lgkmcnt(0)
	v_mad_u64_u32 v[2:3], s[0:1], v0, 36, s[14:15]
	v_lshlrev_b32_e32 v4, 3, v16
	v_mul_lo_u32 v18, v14, s2
	v_lshl_add_u32 v19, s4, 4, v4
	s_mov_b64 s[0:1], 0
	s_movk_i32 s4, 0x4a
	v_mov_b64_e32 v[4:5], s[12:13]
	v_lshlrev_b32_e32 v6, 1, v6
	v_mov_b32_e32 v7, v1
	v_mov_b32_e32 v17, v1
.LBB109_3:                              ; =>This Inner Loop Header: Depth=1
	v_add_u32_e32 v8, v18, v16
	v_mad_i64_i32 v[10:11], s[10:11], v8, s4, v[4:5]
	v_lshl_add_u64 v[24:25], v[10:11], 0, v[0:1]
	v_lshl_add_u64 v[22:23], v[10:11], 0, v[6:7]
	global_load_ubyte v20, v[24:25], off offset:66
	global_load_dwordx2 v[12:13], v[22:23], off offset:2
	v_mad_i64_i32 v[8:9], s[10:11], v19, 36, v[2:3]
	s_getpc_b64 s[10:11]
	s_add_u32 s10, s10, _ZL10iq2xs_grid@rel32@lo+4
	s_addc_u32 s11, s11, _ZL10iq2xs_grid@rel32@hi+12
	s_getpc_b64 s[12:13]
	s_add_u32 s12, s12, _ZL12ksigns_iq2xs@rel32@lo+4
	s_addc_u32 s13, s13, _ZL12ksigns_iq2xs@rel32@hi+12
	v_add_u32_e32 v16, 8, v16
	v_add_u32_e32 v19, 64, v19
	s_waitcnt vmcnt(0)
	v_and_b32_e32 v21, 0x1ff, v12
	v_bfe_u32 v28, v12, 9, 7
	v_lshlrev_b32_e32 v21, 3, v21
	global_load_sbyte v29, v28, s[12:13]
	global_load_dwordx4 v[22:25], v[8:9], off offset:4
	global_load_dwordx2 v[26:27], v21, s[10:11]
	v_bfe_u32 v36, v13, 9, 7
	s_waitcnt vmcnt(2)
	v_and_b32_e32 v28, 1, v29
	v_cmp_eq_u16_e32 vcc, 0, v28
	s_waitcnt vmcnt(0)
	v_mul_i32_i24_sdwa v21, v26, sext(v22) dst_sel:DWORD dst_unused:UNUSED_PAD src0_sel:BYTE_0 src1_sel:BYTE_0
	v_sub_u32_e32 v28, 0, v21
	v_cndmask_b32_e32 v21, v28, v21, vcc
	v_mul_i32_i24_sdwa v28, v26, sext(v22) dst_sel:DWORD dst_unused:UNUSED_PAD src0_sel:BYTE_1 src1_sel:BYTE_1
	v_and_b32_e32 v30, 2, v29
	v_cmp_eq_u16_e32 vcc, 0, v30
	v_sub_u32_e32 v30, 0, v28
	s_nop 0
	v_cndmask_b32_e32 v28, v30, v28, vcc
	v_add_u32_e32 v21, v28, v21
	v_mul_i32_i24_sdwa v28, v26, sext(v22) dst_sel:DWORD dst_unused:UNUSED_PAD src0_sel:BYTE_2 src1_sel:BYTE_2
	v_and_b32_e32 v30, 4, v29
	v_cmp_eq_u16_e32 vcc, 0, v30
	v_sub_u32_e32 v30, 0, v28
	v_mul_i32_i24_sdwa v22, v26, sext(v22) dst_sel:DWORD dst_unused:UNUSED_PAD src0_sel:BYTE_3 src1_sel:BYTE_3
	v_and_b32_e32 v26, 8, v29
	v_cndmask_b32_e32 v28, v30, v28, vcc
	v_cmp_eq_u16_e32 vcc, 0, v26
	v_sub_u32_e32 v26, 0, v22
	s_nop 0
	v_cndmask_b32_e32 v22, v26, v22, vcc
	v_add3_u32 v21, v21, v28, v22
	v_mul_i32_i24_sdwa v22, v27, sext(v23) dst_sel:DWORD dst_unused:UNUSED_PAD src0_sel:BYTE_0 src1_sel:BYTE_0
	v_and_b32_e32 v26, 16, v29
	v_cmp_eq_u16_e32 vcc, 0, v26
	v_sub_u32_e32 v26, 0, v22
	v_and_b32_e32 v28, 32, v29
	v_cndmask_b32_e32 v22, v26, v22, vcc
	v_mul_i32_i24_sdwa v26, v27, sext(v23) dst_sel:DWORD dst_unused:UNUSED_PAD src0_sel:BYTE_1 src1_sel:BYTE_1
	v_cmp_eq_u16_e32 vcc, 0, v28
	v_sub_u32_e32 v28, 0, v26
	s_nop 0
	v_cndmask_b32_e32 v26, v28, v26, vcc
	v_add3_u32 v21, v21, v22, v26
	v_mul_i32_i24_sdwa v22, v27, sext(v23) dst_sel:DWORD dst_unused:UNUSED_PAD src0_sel:BYTE_2 src1_sel:BYTE_2
	v_sub_u32_e32 v26, 0, v22
	v_cmp_gt_i16_e32 vcc, 0, v12
	v_mul_i32_i24_sdwa v23, v27, sext(v23) dst_sel:DWORD dst_unused:UNUSED_PAD src0_sel:BYTE_3 src1_sel:BYTE_3
	v_lshrrev_b32_e32 v27, 25, v12
	v_cndmask_b32_e32 v22, v22, v26, vcc
	v_sub_u32_e32 v26, 0, v23
	v_cmp_gt_i16_e32 vcc, 0, v29
	s_nop 1
	v_cndmask_b32_e32 v23, v23, v26, vcc
	v_add3_u32 v21, v21, v22, v23
	v_lshrrev_b32_e32 v22, 13, v12
	v_and_b32_e32 v26, 0xff8, v22
	global_load_sbyte v28, v27, s[12:13]
	global_load_dwordx2 v[22:23], v26, s[10:11]
	s_waitcnt vmcnt(1)
	v_and_b32_e32 v27, 1, v28
	s_waitcnt vmcnt(0)
	v_mul_i32_i24_sdwa v26, v22, sext(v24) dst_sel:DWORD dst_unused:UNUSED_PAD src0_sel:BYTE_0 src1_sel:BYTE_0
	v_cmp_eq_u16_e32 vcc, 0, v27
	v_sub_u32_e32 v27, 0, v26
	s_nop 0
	v_cndmask_b32_e32 v29, v27, v26, vcc
	v_mul_i32_i24_sdwa v26, v22, sext(v24) dst_sel:DWORD dst_unused:UNUSED_PAD src0_sel:BYTE_1 src1_sel:BYTE_1
	v_and_b32_e32 v27, 2, v28
	v_cmp_eq_u16_e32 vcc, 0, v27
	v_sub_u32_e32 v27, 0, v26
	s_nop 0
	v_cndmask_b32_e32 v30, v27, v26, vcc
	v_mul_i32_i24_sdwa v26, v22, sext(v24) dst_sel:DWORD dst_unused:UNUSED_PAD src0_sel:BYTE_2 src1_sel:BYTE_2
	v_and_b32_e32 v27, 4, v28
	v_cmp_eq_u16_e32 vcc, 0, v27
	v_sub_u32_e32 v27, 0, v26
	v_mul_i32_i24_sdwa v22, v22, sext(v24) dst_sel:DWORD dst_unused:UNUSED_PAD src0_sel:BYTE_3 src1_sel:BYTE_3
	v_and_b32_e32 v24, 8, v28
	v_cndmask_b32_e32 v31, v27, v26, vcc
	v_cmp_eq_u16_e32 vcc, 0, v24
	v_sub_u32_e32 v24, 0, v22
	v_add3_u32 v21, v21, v29, v30
	v_cndmask_b32_e32 v32, v24, v22, vcc
	v_mul_i32_i24_sdwa v22, v23, sext(v25) dst_sel:DWORD dst_unused:UNUSED_PAD src0_sel:BYTE_0 src1_sel:BYTE_0
	v_and_b32_e32 v24, 16, v28
	v_cmp_eq_u16_e32 vcc, 0, v24
	v_sub_u32_e32 v24, 0, v22
	v_add3_u32 v21, v21, v31, v32
	v_cndmask_b32_e32 v33, v24, v22, vcc
	v_mul_i32_i24_sdwa v22, v23, sext(v25) dst_sel:DWORD dst_unused:UNUSED_PAD src0_sel:BYTE_1 src1_sel:BYTE_1
	v_and_b32_e32 v24, 32, v28
	v_cmp_eq_u16_e32 vcc, 0, v24
	v_sub_u32_e32 v24, 0, v22
	s_nop 0
	v_cndmask_b32_e32 v34, v24, v22, vcc
	v_mul_i32_i24_sdwa v22, v23, sext(v25) dst_sel:DWORD dst_unused:UNUSED_PAD src0_sel:BYTE_2 src1_sel:BYTE_2
	v_sub_u32_e32 v24, 0, v22
	v_cmp_lt_i16_sdwa vcc, v12, v1 src0_sel:WORD_1 src1_sel:DWORD
	v_add3_u32 v21, v21, v33, v34
	s_nop 0
	v_cndmask_b32_e32 v12, v22, v24, vcc
	v_mul_i32_i24_sdwa v22, v23, sext(v25) dst_sel:DWORD dst_unused:UNUSED_PAD src0_sel:BYTE_3 src1_sel:BYTE_3
	v_sub_u32_e32 v23, 0, v22
	v_cmp_gt_i16_e32 vcc, 0, v28
	s_nop 1
	v_cndmask_b32_e32 v28, v22, v23, vcc
	v_and_b32_e32 v22, 0x1ff, v13
	v_lshlrev_b32_e32 v35, 3, v22
	global_load_sbyte v37, v36, s[12:13]
	global_load_dwordx4 v[22:25], v[8:9], off offset:20
	global_load_dwordx2 v[26:27], v35, s[10:11]
	v_add3_u32 v12, v21, v12, v28
	v_lshrrev_b16_e32 v21, 4, v20
	v_and_b32_e32 v20, 15, v20
	s_waitcnt vmcnt(2)
	v_and_b32_e32 v36, 1, v37
	v_cmp_eq_u16_e32 vcc, 0, v36
	s_waitcnt vmcnt(0)
	v_mul_i32_i24_sdwa v35, v26, sext(v22) dst_sel:DWORD dst_unused:UNUSED_PAD src0_sel:BYTE_0 src1_sel:BYTE_0
	v_sub_u32_e32 v36, 0, v35
	v_cndmask_b32_e32 v35, v36, v35, vcc
	v_mul_i32_i24_sdwa v36, v26, sext(v22) dst_sel:DWORD dst_unused:UNUSED_PAD src0_sel:BYTE_1 src1_sel:BYTE_1
	v_and_b32_e32 v38, 2, v37
	v_cmp_eq_u16_e32 vcc, 0, v38
	v_sub_u32_e32 v38, 0, v36
	s_nop 0
	v_cndmask_b32_e32 v36, v38, v36, vcc
	v_add_u32_e32 v35, v36, v35
	v_mul_i32_i24_sdwa v36, v26, sext(v22) dst_sel:DWORD dst_unused:UNUSED_PAD src0_sel:BYTE_2 src1_sel:BYTE_2
	v_and_b32_e32 v38, 4, v37
	v_cmp_eq_u16_e32 vcc, 0, v38
	v_sub_u32_e32 v38, 0, v36
	v_mul_i32_i24_sdwa v22, v26, sext(v22) dst_sel:DWORD dst_unused:UNUSED_PAD src0_sel:BYTE_3 src1_sel:BYTE_3
	v_and_b32_e32 v26, 8, v37
	v_cndmask_b32_e32 v36, v38, v36, vcc
	v_cmp_eq_u16_e32 vcc, 0, v26
	v_sub_u32_e32 v26, 0, v22
	s_nop 0
	v_cndmask_b32_e32 v22, v26, v22, vcc
	v_add3_u32 v22, v35, v36, v22
	v_mul_i32_i24_sdwa v26, v27, sext(v23) dst_sel:DWORD dst_unused:UNUSED_PAD src0_sel:BYTE_0 src1_sel:BYTE_0
	v_and_b32_e32 v35, 16, v37
	v_cmp_eq_u16_e32 vcc, 0, v35
	v_sub_u32_e32 v35, 0, v26
	v_and_b32_e32 v36, 32, v37
	v_cndmask_b32_e32 v26, v35, v26, vcc
	v_mul_i32_i24_sdwa v35, v27, sext(v23) dst_sel:DWORD dst_unused:UNUSED_PAD src0_sel:BYTE_1 src1_sel:BYTE_1
	v_cmp_eq_u16_e32 vcc, 0, v36
	v_sub_u32_e32 v36, 0, v35
	s_nop 0
	v_cndmask_b32_e32 v35, v36, v35, vcc
	v_add3_u32 v22, v22, v26, v35
	v_mul_i32_i24_sdwa v26, v27, sext(v23) dst_sel:DWORD dst_unused:UNUSED_PAD src0_sel:BYTE_2 src1_sel:BYTE_2
	v_sub_u32_e32 v35, 0, v26
	v_cmp_gt_i16_e32 vcc, 0, v13
	v_mul_i32_i24_sdwa v23, v27, sext(v23) dst_sel:DWORD dst_unused:UNUSED_PAD src0_sel:BYTE_3 src1_sel:BYTE_3
	v_sub_u32_e32 v27, 0, v23
	v_cndmask_b32_e32 v26, v26, v35, vcc
	v_cmp_gt_i16_e32 vcc, 0, v37
	v_lshrrev_b32_e32 v35, 25, v13
	s_nop 0
	v_cndmask_b32_e32 v23, v23, v27, vcc
	v_add3_u32 v26, v22, v26, v23
	v_lshrrev_b32_e32 v22, 13, v13
	v_and_b32_e32 v27, 0xff8, v22
	global_load_sbyte v36, v35, s[12:13]
	global_load_dwordx2 v[22:23], v27, s[10:11]
	s_waitcnt vmcnt(1)
	v_and_b32_e32 v35, 1, v36
	global_load_ushort v10, v[10:11], off
	s_waitcnt vmcnt(1)
	v_mul_i32_i24_sdwa v27, v22, sext(v24) dst_sel:DWORD dst_unused:UNUSED_PAD src0_sel:BYTE_0 src1_sel:BYTE_0
	global_load_ushort v8, v[8:9], off
	v_cmp_eq_u16_e32 vcc, 0, v35
	v_sub_u32_e32 v35, 0, v27
	v_and_b32_e32 v37, 2, v36
	v_cndmask_b32_e32 v27, v35, v27, vcc
	v_mul_i32_i24_sdwa v35, v22, sext(v24) dst_sel:DWORD dst_unused:UNUSED_PAD src0_sel:BYTE_1 src1_sel:BYTE_1
	v_cmp_eq_u16_e32 vcc, 0, v37
	v_sub_u32_e32 v37, 0, v35
	v_cvt_f32_ubyte0_e32 v11, v21
	v_cndmask_b32_e32 v35, v37, v35, vcc
	v_add3_u32 v26, v26, v27, v35
	v_mul_i32_i24_sdwa v27, v22, sext(v24) dst_sel:DWORD dst_unused:UNUSED_PAD src0_sel:BYTE_2 src1_sel:BYTE_2
	v_and_b32_e32 v35, 4, v36
	v_cmp_eq_u16_e32 vcc, 0, v35
	v_sub_u32_e32 v35, 0, v27
	v_mul_i32_i24_sdwa v22, v22, sext(v24) dst_sel:DWORD dst_unused:UNUSED_PAD src0_sel:BYTE_3 src1_sel:BYTE_3
	v_and_b32_e32 v24, 8, v36
	v_cndmask_b32_e32 v27, v35, v27, vcc
	v_cmp_eq_u16_e32 vcc, 0, v24
	v_sub_u32_e32 v24, 0, v22
	v_cvt_f32_ubyte0_e32 v9, v20
	v_cndmask_b32_e32 v22, v24, v22, vcc
	v_add3_u32 v22, v26, v27, v22
	v_mul_i32_i24_sdwa v24, v23, sext(v25) dst_sel:DWORD dst_unused:UNUSED_PAD src0_sel:BYTE_0 src1_sel:BYTE_0
	v_and_b32_e32 v26, 16, v36
	v_cmp_eq_u16_e32 vcc, 0, v26
	v_sub_u32_e32 v26, 0, v24
	v_and_b32_e32 v27, 32, v36
	v_cndmask_b32_e32 v24, v26, v24, vcc
	v_mul_i32_i24_sdwa v26, v23, sext(v25) dst_sel:DWORD dst_unused:UNUSED_PAD src0_sel:BYTE_1 src1_sel:BYTE_1
	v_cmp_eq_u16_e32 vcc, 0, v27
	v_sub_u32_e32 v27, 0, v26
	v_add_f32_e32 v11, 0.5, v11
	v_cndmask_b32_e32 v26, v27, v26, vcc
	v_add3_u32 v22, v22, v24, v26
	v_mul_i32_i24_sdwa v24, v23, sext(v25) dst_sel:DWORD dst_unused:UNUSED_PAD src0_sel:BYTE_2 src1_sel:BYTE_2
	v_sub_u32_e32 v26, 0, v24
	v_cmp_lt_i16_sdwa vcc, v13, v1 src0_sel:WORD_1 src1_sel:DWORD
	v_mul_i32_i24_sdwa v23, v23, sext(v25) dst_sel:DWORD dst_unused:UNUSED_PAD src0_sel:BYTE_3 src1_sel:BYTE_3
	v_add_f32_e32 v9, 0.5, v9
	v_cndmask_b32_e32 v13, v24, v26, vcc
	v_sub_u32_e32 v24, 0, v23
	v_cmp_gt_i16_e32 vcc, 0, v36
	s_waitcnt vmcnt(1)
	v_cvt_f32_f16_e32 v10, v10
	v_cndmask_b32_e32 v23, v23, v24, vcc
	s_waitcnt vmcnt(0)
	v_cvt_f32_f16_e32 v8, v8
	v_add3_u32 v13, v22, v13, v23
	v_cmp_le_u32_e32 vcc, s2, v16
	s_or_b64 s[0:1], vcc, s[0:1]
	v_mul_f32_e32 v8, v10, v8
	v_cvt_f32_i32_e32 v10, v12
	v_cvt_f32_i32_e32 v12, v13
	v_mul_f32_e32 v8, 0x3e800000, v8
	v_mul_f32_e32 v11, v11, v12
	v_fmac_f32_e32 v11, v9, v10
	v_fmac_f32_e32 v17, v8, v11
	s_andn2_b64 exec, exec, s[0:1]
	s_cbranch_execnz .LBB109_3
; %bb.4:
	s_or_b64 exec, exec, s[0:1]
.LBB109_5:
	s_or_b64 exec, exec, s[8:9]
	v_mbcnt_lo_u32_b32 v0, -1, 0
	v_mbcnt_hi_u32_b32 v1, -1, v0
	v_and_b32_e32 v0, 64, v1
	v_add_u32_e32 v2, 64, v0
	v_xor_b32_e32 v0, 32, v1
	v_cmp_lt_i32_e32 vcc, v0, v2
	v_xor_b32_e32 v3, 16, v1
	v_xor_b32_e32 v4, 8, v1
	v_cndmask_b32_e32 v0, v1, v0, vcc
	v_lshlrev_b32_e32 v0, 2, v0
	ds_bpermute_b32 v0, v0, v17
	v_cmp_lt_i32_e32 vcc, v3, v2
	s_waitcnt lgkmcnt(0)
	v_add_f32_e32 v0, v17, v0
	v_cndmask_b32_e32 v3, v1, v3, vcc
	v_lshlrev_b32_e32 v3, 2, v3
	ds_bpermute_b32 v3, v3, v0
	v_cmp_lt_i32_e32 vcc, v4, v2
	s_waitcnt lgkmcnt(0)
	v_add_f32_e32 v0, v0, v3
	v_cndmask_b32_e32 v3, v1, v4, vcc
	v_lshlrev_b32_e32 v3, 2, v3
	ds_bpermute_b32 v3, v3, v0
	v_xor_b32_e32 v4, 4, v1
	v_cmp_lt_i32_e32 vcc, v4, v2
	s_waitcnt lgkmcnt(0)
	v_add_f32_e32 v0, v0, v3
	v_cndmask_b32_e32 v3, v1, v4, vcc
	v_lshlrev_b32_e32 v3, 2, v3
	ds_bpermute_b32 v3, v3, v0
	v_xor_b32_e32 v4, 2, v1
	;; [unrolled: 7-line block ×3, first 2 shown]
	v_cmp_lt_i32_e32 vcc, v4, v2
	s_waitcnt lgkmcnt(0)
	v_add_f32_e32 v0, v0, v3
	v_cndmask_b32_e32 v1, v1, v4, vcc
	v_lshlrev_b32_e32 v1, 2, v1
	ds_bpermute_b32 v1, v1, v0
	v_cmp_eq_u32_e32 vcc, 0, v15
	s_and_b64 exec, exec, vcc
	s_cbranch_execz .LBB109_7
; %bb.6:
	s_waitcnt lgkmcnt(0)
	v_add_f32_e32 v0, v0, v1
	v_bfe_u32 v1, v0, 16, 1
	s_movk_i32 s0, 0x7fff
	v_add3_u32 v1, v0, v1, s0
	v_cmp_o_f32_e32 vcc, v0, v0
	v_mov_b32_e32 v0, 0x7fc0
	s_mul_i32 s0, s5, s3
	v_cndmask_b32_sdwa v2, v0, v1, vcc dst_sel:DWORD dst_unused:UNUSED_PAD src0_sel:DWORD src1_sel:WORD_1
	v_add_u32_e32 v0, s0, v14
	v_mov_b32_e32 v1, 0
	v_lshl_add_u64 v[0:1], v[0:1], 1, s[6:7]
	global_store_short v[0:1], v2, off
.LBB109_7:
	s_endpgm
	.section	.rodata,"a",@progbits
	.p2align	6, 0x0
	.amdhsa_kernel _ZL13mul_mat_vec_qIN3c108BFloat16ELi256ELi8E12block_iq2_xsLi1EXadL_ZL19vec_dot_iq2_xs_q8_1PKvPK10block_q8_1RKiEEEvS4_S4_PT_iii
		.amdhsa_group_segment_fixed_size 0
		.amdhsa_private_segment_fixed_size 0
		.amdhsa_kernarg_size 296
		.amdhsa_user_sgpr_count 2
		.amdhsa_user_sgpr_dispatch_ptr 0
		.amdhsa_user_sgpr_queue_ptr 0
		.amdhsa_user_sgpr_kernarg_segment_ptr 1
		.amdhsa_user_sgpr_dispatch_id 0
		.amdhsa_user_sgpr_kernarg_preload_length 0
		.amdhsa_user_sgpr_kernarg_preload_offset 0
		.amdhsa_user_sgpr_private_segment_size 0
		.amdhsa_uses_dynamic_stack 0
		.amdhsa_enable_private_segment 0
		.amdhsa_system_sgpr_workgroup_id_x 1
		.amdhsa_system_sgpr_workgroup_id_y 1
		.amdhsa_system_sgpr_workgroup_id_z 0
		.amdhsa_system_sgpr_workgroup_info 0
		.amdhsa_system_vgpr_workitem_id 1
		.amdhsa_next_free_vgpr 39
		.amdhsa_next_free_sgpr 16
		.amdhsa_accum_offset 40
		.amdhsa_reserve_vcc 1
		.amdhsa_float_round_mode_32 0
		.amdhsa_float_round_mode_16_64 0
		.amdhsa_float_denorm_mode_32 3
		.amdhsa_float_denorm_mode_16_64 3
		.amdhsa_dx10_clamp 1
		.amdhsa_ieee_mode 1
		.amdhsa_fp16_overflow 0
		.amdhsa_tg_split 0
		.amdhsa_exception_fp_ieee_invalid_op 0
		.amdhsa_exception_fp_denorm_src 0
		.amdhsa_exception_fp_ieee_div_zero 0
		.amdhsa_exception_fp_ieee_overflow 0
		.amdhsa_exception_fp_ieee_underflow 0
		.amdhsa_exception_fp_ieee_inexact 0
		.amdhsa_exception_int_div_zero 0
	.end_amdhsa_kernel
	.section	.text._ZL13mul_mat_vec_qIN3c108BFloat16ELi256ELi8E12block_iq2_xsLi1EXadL_ZL19vec_dot_iq2_xs_q8_1PKvPK10block_q8_1RKiEEEvS4_S4_PT_iii,"axG",@progbits,_ZL13mul_mat_vec_qIN3c108BFloat16ELi256ELi8E12block_iq2_xsLi1EXadL_ZL19vec_dot_iq2_xs_q8_1PKvPK10block_q8_1RKiEEEvS4_S4_PT_iii,comdat
.Lfunc_end109:
	.size	_ZL13mul_mat_vec_qIN3c108BFloat16ELi256ELi8E12block_iq2_xsLi1EXadL_ZL19vec_dot_iq2_xs_q8_1PKvPK10block_q8_1RKiEEEvS4_S4_PT_iii, .Lfunc_end109-_ZL13mul_mat_vec_qIN3c108BFloat16ELi256ELi8E12block_iq2_xsLi1EXadL_ZL19vec_dot_iq2_xs_q8_1PKvPK10block_q8_1RKiEEEvS4_S4_PT_iii
                                        ; -- End function
	.set _ZL13mul_mat_vec_qIN3c108BFloat16ELi256ELi8E12block_iq2_xsLi1EXadL_ZL19vec_dot_iq2_xs_q8_1PKvPK10block_q8_1RKiEEEvS4_S4_PT_iii.num_vgpr, 39
	.set _ZL13mul_mat_vec_qIN3c108BFloat16ELi256ELi8E12block_iq2_xsLi1EXadL_ZL19vec_dot_iq2_xs_q8_1PKvPK10block_q8_1RKiEEEvS4_S4_PT_iii.num_agpr, 0
	.set _ZL13mul_mat_vec_qIN3c108BFloat16ELi256ELi8E12block_iq2_xsLi1EXadL_ZL19vec_dot_iq2_xs_q8_1PKvPK10block_q8_1RKiEEEvS4_S4_PT_iii.numbered_sgpr, 16
	.set _ZL13mul_mat_vec_qIN3c108BFloat16ELi256ELi8E12block_iq2_xsLi1EXadL_ZL19vec_dot_iq2_xs_q8_1PKvPK10block_q8_1RKiEEEvS4_S4_PT_iii.num_named_barrier, 0
	.set _ZL13mul_mat_vec_qIN3c108BFloat16ELi256ELi8E12block_iq2_xsLi1EXadL_ZL19vec_dot_iq2_xs_q8_1PKvPK10block_q8_1RKiEEEvS4_S4_PT_iii.private_seg_size, 0
	.set _ZL13mul_mat_vec_qIN3c108BFloat16ELi256ELi8E12block_iq2_xsLi1EXadL_ZL19vec_dot_iq2_xs_q8_1PKvPK10block_q8_1RKiEEEvS4_S4_PT_iii.uses_vcc, 1
	.set _ZL13mul_mat_vec_qIN3c108BFloat16ELi256ELi8E12block_iq2_xsLi1EXadL_ZL19vec_dot_iq2_xs_q8_1PKvPK10block_q8_1RKiEEEvS4_S4_PT_iii.uses_flat_scratch, 0
	.set _ZL13mul_mat_vec_qIN3c108BFloat16ELi256ELi8E12block_iq2_xsLi1EXadL_ZL19vec_dot_iq2_xs_q8_1PKvPK10block_q8_1RKiEEEvS4_S4_PT_iii.has_dyn_sized_stack, 0
	.set _ZL13mul_mat_vec_qIN3c108BFloat16ELi256ELi8E12block_iq2_xsLi1EXadL_ZL19vec_dot_iq2_xs_q8_1PKvPK10block_q8_1RKiEEEvS4_S4_PT_iii.has_recursion, 0
	.set _ZL13mul_mat_vec_qIN3c108BFloat16ELi256ELi8E12block_iq2_xsLi1EXadL_ZL19vec_dot_iq2_xs_q8_1PKvPK10block_q8_1RKiEEEvS4_S4_PT_iii.has_indirect_call, 0
	.section	.AMDGPU.csdata,"",@progbits
; Kernel info:
; codeLenInByte = 1840
; TotalNumSgprs: 22
; NumVgprs: 39
; NumAgprs: 0
; TotalNumVgprs: 39
; ScratchSize: 0
; MemoryBound: 0
; FloatMode: 240
; IeeeMode: 1
; LDSByteSize: 0 bytes/workgroup (compile time only)
; SGPRBlocks: 2
; VGPRBlocks: 4
; NumSGPRsForWavesPerEU: 22
; NumVGPRsForWavesPerEU: 39
; AccumOffset: 40
; Occupancy: 8
; WaveLimiterHint : 0
; COMPUTE_PGM_RSRC2:SCRATCH_EN: 0
; COMPUTE_PGM_RSRC2:USER_SGPR: 2
; COMPUTE_PGM_RSRC2:TRAP_HANDLER: 0
; COMPUTE_PGM_RSRC2:TGID_X_EN: 1
; COMPUTE_PGM_RSRC2:TGID_Y_EN: 1
; COMPUTE_PGM_RSRC2:TGID_Z_EN: 0
; COMPUTE_PGM_RSRC2:TIDIG_COMP_CNT: 1
; COMPUTE_PGM_RSRC3_GFX90A:ACCUM_OFFSET: 9
; COMPUTE_PGM_RSRC3_GFX90A:TG_SPLIT: 0
	.section	.text._ZL13mul_mat_vec_qIN3c108BFloat16ELi256ELi8E13block_iq3_xxsLi1EXadL_ZL20vec_dot_iq3_xxs_q8_1PKvPK10block_q8_1RKiEEEvS4_S4_PT_iii,"axG",@progbits,_ZL13mul_mat_vec_qIN3c108BFloat16ELi256ELi8E13block_iq3_xxsLi1EXadL_ZL20vec_dot_iq3_xxs_q8_1PKvPK10block_q8_1RKiEEEvS4_S4_PT_iii,comdat
	.globl	_ZL13mul_mat_vec_qIN3c108BFloat16ELi256ELi8E13block_iq3_xxsLi1EXadL_ZL20vec_dot_iq3_xxs_q8_1PKvPK10block_q8_1RKiEEEvS4_S4_PT_iii ; -- Begin function _ZL13mul_mat_vec_qIN3c108BFloat16ELi256ELi8E13block_iq3_xxsLi1EXadL_ZL20vec_dot_iq3_xxs_q8_1PKvPK10block_q8_1RKiEEEvS4_S4_PT_iii
	.p2align	8
	.type	_ZL13mul_mat_vec_qIN3c108BFloat16ELi256ELi8E13block_iq3_xxsLi1EXadL_ZL20vec_dot_iq3_xxs_q8_1PKvPK10block_q8_1RKiEEEvS4_S4_PT_iii,@function
_ZL13mul_mat_vec_qIN3c108BFloat16ELi256ELi8E13block_iq3_xxsLi1EXadL_ZL20vec_dot_iq3_xxs_q8_1PKvPK10block_q8_1RKiEEEvS4_S4_PT_iii: ; @_ZL13mul_mat_vec_qIN3c108BFloat16ELi256ELi8E13block_iq3_xxsLi1EXadL_ZL20vec_dot_iq3_xxs_q8_1PKvPK10block_q8_1RKiEEEvS4_S4_PT_iii
; %bb.0:
	s_load_dword s8, s[0:1], 0x34
	s_load_dwordx4 s[4:7], s[0:1], 0x18
	v_bfe_u32 v1, v0, 10, 10
	s_waitcnt lgkmcnt(0)
	s_lshr_b32 s7, s8, 16
	s_mul_i32 s2, s2, s7
	v_add_u32_e32 v18, s2, v1
	s_cmp_lt_u32 s3, s6
	v_cmp_gt_u32_e32 vcc, s5, v18
	s_cselect_b64 s[6:7], -1, 0
	s_and_b64 s[6:7], s[6:7], vcc
	s_and_saveexec_b64 s[8:9], s[6:7]
	s_cbranch_execz .LBB110_7
; %bb.1:
	s_load_dwordx2 s[6:7], s[0:1], 0x10
	s_ashr_i32 s2, s4, 31
	s_lshr_b32 s2, s2, 24
	s_add_i32 s2, s4, s2
	s_ashr_i32 s2, s2, 8
	v_bfe_u32 v20, v0, 3, 7
	v_and_b32_e32 v19, 0x3ff, v0
	v_cmp_gt_u32_e32 vcc, s2, v20
	v_mov_b32_e32 v21, 0
	s_and_saveexec_b64 s[8:9], vcc
	s_cbranch_execz .LBB110_5
; %bb.2:
	s_load_dwordx4 s[12:15], s[0:1], 0x0
	s_add_i32 s0, s4, 0x1ff
	s_ashr_i32 s1, s0, 31
	s_lshr_b32 s1, s1, 23
	s_add_i32 s0, s0, s1
	s_ashr_i32 s0, s0, 9
	v_and_b32_e32 v1, 7, v19
	s_mul_i32 s4, s3, s0
	v_lshlrev_b32_e32 v8, 3, v1
	v_mov_b32_e32 v9, 0
	v_lshlrev_b32_e32 v0, 1, v1
	s_waitcnt lgkmcnt(0)
	v_mad_u64_u32 v[10:11], s[0:1], v1, 36, s[14:15]
	v_lshlrev_b32_e32 v1, 3, v20
	v_mul_lo_u32 v22, v18, s2
	v_lshl_add_u32 v23, s4, 4, v1
	s_mov_b64 s[0:1], 0
	s_movk_i32 s4, 0x62
	v_mov_b64_e32 v[12:13], s[12:13]
	v_lshlrev_b32_e32 v14, 1, v0
	v_mov_b32_e32 v15, v9
	s_mov_b32 s14, 0xc060c00
	v_mov_b32_e32 v24, 2
	v_mov_b32_e32 v21, v9
	s_getpc_b64 s[12:13]
	s_add_u32 s12, s12, _ZL11iq3xxs_grid@rel32@lo+4
	s_addc_u32 s13, s13, _ZL11iq3xxs_grid@rel32@hi+12
.LBB110_3:                              ; =>This Inner Loop Header: Depth=1
	v_add_u32_e32 v0, v22, v20
	v_mad_i64_i32 v[16:17], s[10:11], v23, 36, v[10:11]
	v_mad_i64_i32 v[26:27], s[16:17], v0, s4, v[12:13]
	global_load_dword v32, v[16:17], off offset:32
	global_load_dwordx4 v[4:7], v[16:17], off
	global_load_dwordx4 v[0:3], v[16:17], off offset:16
	v_lshl_add_u64 v[16:17], v[26:27], 0, v[8:9]
	v_lshl_add_u64 v[28:29], v[26:27], 0, v[14:15]
	global_load_dwordx2 v[30:31], v[16:17], off offset:2
	global_load_dword v33, v[28:29], off offset:66
	global_load_ushort v34, v[26:27], off
	s_getpc_b64 s[10:11]
	s_add_u32 s10, s10, _ZL8ksigns64@rel32@lo+4
	s_addc_u32 s11, s11, _ZL8ksigns64@rel32@hi+12
	v_mov_b32_e32 v25, 0
	v_add_u32_e32 v20, 8, v20
	v_cmp_le_u32_e32 vcc, s2, v20
	v_add_u32_e32 v23, 64, v23
	s_or_b64 s[0:1], vcc, s[0:1]
	s_waitcnt vmcnt(4)
	v_cvt_f32_f16_e32 v4, v4
	s_waitcnt vmcnt(2)
	v_lshlrev_b32_sdwa v16, v24, v30 dst_sel:DWORD dst_unused:UNUSED_PAD src0_sel:DWORD src1_sel:BYTE_0
	v_lshlrev_b32_sdwa v17, v24, v30 dst_sel:DWORD dst_unused:UNUSED_PAD src0_sel:DWORD src1_sel:BYTE_1
	s_waitcnt vmcnt(1)
	v_and_b32_e32 v26, 0x7f, v33
	global_load_dword v40, v16, s[12:13]
	global_load_dword v41, v17, s[12:13]
	v_lshlrev_b32_sdwa v27, v24, v30 dst_sel:DWORD dst_unused:UNUSED_PAD src0_sel:DWORD src1_sel:BYTE_2
	v_lshlrev_b32_sdwa v28, v24, v30 dst_sel:DWORD dst_unused:UNUSED_PAD src0_sel:DWORD src1_sel:BYTE_3
	v_lshrrev_b32_e32 v29, 4, v33
	v_lshlrev_b32_sdwa v30, v24, v31 dst_sel:DWORD dst_unused:UNUSED_PAD src0_sel:DWORD src1_sel:BYTE_0
	v_lshlrev_b32_sdwa v35, v24, v31 dst_sel:DWORD dst_unused:UNUSED_PAD src0_sel:DWORD src1_sel:BYTE_1
	v_lshrrev_b32_e32 v36, 11, v33
	v_lshlrev_b32_sdwa v37, v24, v31 dst_sel:DWORD dst_unused:UNUSED_PAD src0_sel:DWORD src1_sel:BYTE_2
	v_lshlrev_b32_sdwa v31, v24, v31 dst_sel:DWORD dst_unused:UNUSED_PAD src0_sel:DWORD src1_sel:BYTE_3
	v_lshrrev_b32_e32 v38, 18, v33
	v_lshlrev_b32_e32 v39, 3, v26
	v_and_b32_e32 v42, 0x3f8, v29
	global_load_dword v43, v27, s[12:13]
	global_load_dword v44, v28, s[12:13]
	v_and_b32_e32 v36, 0x3f8, v36
	global_load_dword v45, v30, s[12:13]
	global_load_dword v46, v35, s[12:13]
	;; [unrolled: 3-line block ×3, first 2 shown]
	global_load_dwordx2 v[16:17], v39, s[10:11]
	global_load_dwordx2 v[26:27], v42, s[10:11]
	global_load_dwordx2 v[28:29], v36, s[10:11]
	s_nop 0
	global_load_dwordx2 v[30:31], v35, s[10:11]
	s_waitcnt vmcnt(12)
	v_cvt_f32_f16_e32 v34, v34
	v_lshrrev_b32_e32 v33, 28, v33
	v_cvt_f32_ubyte0_e32 v33, v33
	v_add_f32_e32 v33, 0.5, v33
	s_waitcnt vmcnt(3)
	v_xor_b32_e32 v35, v16, v40
	v_and_b32_e32 v36, 0xff000000, v16
	v_and_b32_e32 v37, 0xff0000, v16
	;; [unrolled: 1-line block ×3, first 2 shown]
	v_xor_b32_e32 v40, v17, v41
	v_and_b32_e32 v41, 0xff000000, v17
	v_and_b32_e32 v42, 0xff0000, v17
	;; [unrolled: 1-line block ×3, first 2 shown]
	v_sub_u32_e32 v36, v35, v36
	v_sub_u32_e32 v37, v35, v37
	;; [unrolled: 1-line block ×4, first 2 shown]
	s_waitcnt vmcnt(2)
	v_xor_b32_e32 v43, v26, v43
	v_and_b32_e32 v49, 0xff000000, v26
	v_and_b32_e32 v50, 0xff0000, v26
	;; [unrolled: 1-line block ×3, first 2 shown]
	v_sub_u32_e32 v17, v40, v17
	v_sub_u32_e32 v41, v40, v41
	;; [unrolled: 1-line block ×4, first 2 shown]
	v_and_b32_e32 v36, 0xff000000, v36
	v_and_b32_e32 v39, 0xff00, v39
	v_perm_b32 v16, v37, v16, s14
	v_xor_b32_e32 v44, v27, v44
	v_and_b32_e32 v52, 0xff000000, v27
	v_and_b32_e32 v53, 0xff0000, v27
	;; [unrolled: 1-line block ×3, first 2 shown]
	s_waitcnt vmcnt(1)
	v_xor_b32_e32 v45, v28, v45
	v_and_b32_e32 v55, 0xff000000, v28
	v_and_b32_e32 v56, 0xff0000, v28
	;; [unrolled: 1-line block ×3, first 2 shown]
	v_xor_b32_e32 v46, v29, v46
	v_and_b32_e32 v58, 0xff000000, v29
	v_and_b32_e32 v59, 0xff0000, v29
	;; [unrolled: 1-line block ×3, first 2 shown]
	v_sub_u32_e32 v49, v43, v49
	v_sub_u32_e32 v50, v43, v50
	;; [unrolled: 1-line block ×4, first 2 shown]
	v_and_b32_e32 v37, 0xff000000, v41
	v_and_b32_e32 v40, 0xff00, v40
	v_perm_b32 v17, v42, v17, s14
	v_or3_b32 v16, v16, v36, v39
	s_waitcnt vmcnt(0)
	v_xor_b32_e32 v38, v30, v38
	v_and_b32_e32 v35, 0xff000000, v30
	v_and_b32_e32 v48, 0xff0000, v30
	v_sub_u32_e32 v27, v44, v27
	v_and_b32_e32 v43, 0xff00, v30
	v_xor_b32_e32 v47, v31, v47
	v_sub_u32_e32 v52, v44, v52
	v_sub_u32_e32 v53, v44, v53
	;; [unrolled: 1-line block ×3, first 2 shown]
	v_and_b32_e32 v54, 0xff000000, v31
	v_sub_u32_e32 v55, v45, v55
	v_sub_u32_e32 v56, v45, v56
	;; [unrolled: 1-line block ×5, first 2 shown]
	v_and_b32_e32 v45, 0xff0000, v31
	v_sub_u32_e32 v58, v46, v58
	v_sub_u32_e32 v59, v46, v59
	;; [unrolled: 1-line block ×3, first 2 shown]
	v_and_b32_e32 v60, 0xff00, v31
	v_and_b32_e32 v41, 0xff000000, v49
	;; [unrolled: 1-line block ×3, first 2 shown]
	v_perm_b32 v26, v50, v26, s14
	v_or3_b32 v17, v17, v37, v40
	v_dot4c_i32_i8_e32 v25, v16, v5
	v_sub_u32_e32 v35, v38, v35
	v_sub_u32_e32 v48, v38, v48
	;; [unrolled: 1-line block ×8, first 2 shown]
	v_and_b32_e32 v47, 0xff000000, v52
	v_and_b32_e32 v44, 0xff00, v44
	v_perm_b32 v27, v53, v27, s14
	v_or3_b32 v26, v26, v41, v42
	v_dot4c_i32_i8_e32 v25, v17, v6
	v_and_b32_e32 v49, 0xff000000, v55
	v_and_b32_e32 v50, 0xff00, v57
	v_perm_b32 v28, v56, v28, s14
	v_or3_b32 v27, v27, v47, v44
	v_dot4c_i32_i8_e32 v25, v26, v7
	;; [unrolled: 5-line block ×5, first 2 shown]
	v_or3_b32 v31, v31, v38, v48
	v_dot4c_i32_i8_e32 v25, v30, v3
	v_dot4c_i32_i8_e32 v25, v31, v32
	v_mul_f32_e32 v1, v33, v34
	v_mul_f32_e32 v1, v1, v4
	v_mul_f32_e32 v1, 0.5, v1
	v_cvt_f32_i32_e32 v0, v25
	v_fmac_f32_e32 v21, v1, v0
	s_andn2_b64 exec, exec, s[0:1]
	s_cbranch_execnz .LBB110_3
; %bb.4:
	s_or_b64 exec, exec, s[0:1]
.LBB110_5:
	s_or_b64 exec, exec, s[8:9]
	v_mbcnt_lo_u32_b32 v0, -1, 0
	v_mbcnt_hi_u32_b32 v1, -1, v0
	v_and_b32_e32 v0, 64, v1
	v_add_u32_e32 v2, 64, v0
	v_xor_b32_e32 v0, 32, v1
	v_cmp_lt_i32_e32 vcc, v0, v2
	v_xor_b32_e32 v3, 16, v1
	v_xor_b32_e32 v4, 8, v1
	v_cndmask_b32_e32 v0, v1, v0, vcc
	v_lshlrev_b32_e32 v0, 2, v0
	ds_bpermute_b32 v0, v0, v21
	v_cmp_lt_i32_e32 vcc, v3, v2
	s_waitcnt lgkmcnt(0)
	v_add_f32_e32 v0, v21, v0
	v_cndmask_b32_e32 v3, v1, v3, vcc
	v_lshlrev_b32_e32 v3, 2, v3
	ds_bpermute_b32 v3, v3, v0
	v_cmp_lt_i32_e32 vcc, v4, v2
	s_waitcnt lgkmcnt(0)
	v_add_f32_e32 v0, v0, v3
	v_cndmask_b32_e32 v3, v1, v4, vcc
	v_lshlrev_b32_e32 v3, 2, v3
	ds_bpermute_b32 v3, v3, v0
	v_xor_b32_e32 v4, 4, v1
	v_cmp_lt_i32_e32 vcc, v4, v2
	s_waitcnt lgkmcnt(0)
	v_add_f32_e32 v0, v0, v3
	v_cndmask_b32_e32 v3, v1, v4, vcc
	v_lshlrev_b32_e32 v3, 2, v3
	ds_bpermute_b32 v3, v3, v0
	v_xor_b32_e32 v4, 2, v1
	v_cmp_lt_i32_e32 vcc, v4, v2
	s_waitcnt lgkmcnt(0)
	v_add_f32_e32 v0, v0, v3
	v_cndmask_b32_e32 v3, v1, v4, vcc
	v_lshlrev_b32_e32 v3, 2, v3
	ds_bpermute_b32 v3, v3, v0
	v_xor_b32_e32 v4, 1, v1
	v_cmp_lt_i32_e32 vcc, v4, v2
	s_waitcnt lgkmcnt(0)
	v_add_f32_e32 v0, v0, v3
	v_cndmask_b32_e32 v1, v1, v4, vcc
	v_lshlrev_b32_e32 v1, 2, v1
	ds_bpermute_b32 v1, v1, v0
	v_cmp_eq_u32_e32 vcc, 0, v19
	s_and_b64 exec, exec, vcc
	s_cbranch_execz .LBB110_7
; %bb.6:
	s_waitcnt lgkmcnt(0)
	v_add_f32_e32 v0, v0, v1
	v_bfe_u32 v1, v0, 16, 1
	s_movk_i32 s0, 0x7fff
	v_add3_u32 v1, v0, v1, s0
	v_cmp_o_f32_e32 vcc, v0, v0
	v_mov_b32_e32 v0, 0x7fc0
	s_mul_i32 s0, s5, s3
	v_cndmask_b32_sdwa v2, v0, v1, vcc dst_sel:DWORD dst_unused:UNUSED_PAD src0_sel:DWORD src1_sel:WORD_1
	v_add_u32_e32 v0, s0, v18
	v_mov_b32_e32 v1, 0
	v_lshl_add_u64 v[0:1], v[0:1], 1, s[6:7]
	global_store_short v[0:1], v2, off
.LBB110_7:
	s_endpgm
	.section	.rodata,"a",@progbits
	.p2align	6, 0x0
	.amdhsa_kernel _ZL13mul_mat_vec_qIN3c108BFloat16ELi256ELi8E13block_iq3_xxsLi1EXadL_ZL20vec_dot_iq3_xxs_q8_1PKvPK10block_q8_1RKiEEEvS4_S4_PT_iii
		.amdhsa_group_segment_fixed_size 0
		.amdhsa_private_segment_fixed_size 0
		.amdhsa_kernarg_size 296
		.amdhsa_user_sgpr_count 2
		.amdhsa_user_sgpr_dispatch_ptr 0
		.amdhsa_user_sgpr_queue_ptr 0
		.amdhsa_user_sgpr_kernarg_segment_ptr 1
		.amdhsa_user_sgpr_dispatch_id 0
		.amdhsa_user_sgpr_kernarg_preload_length 0
		.amdhsa_user_sgpr_kernarg_preload_offset 0
		.amdhsa_user_sgpr_private_segment_size 0
		.amdhsa_uses_dynamic_stack 0
		.amdhsa_enable_private_segment 0
		.amdhsa_system_sgpr_workgroup_id_x 1
		.amdhsa_system_sgpr_workgroup_id_y 1
		.amdhsa_system_sgpr_workgroup_id_z 0
		.amdhsa_system_sgpr_workgroup_info 0
		.amdhsa_system_vgpr_workitem_id 1
		.amdhsa_next_free_vgpr 61
		.amdhsa_next_free_sgpr 18
		.amdhsa_accum_offset 64
		.amdhsa_reserve_vcc 1
		.amdhsa_float_round_mode_32 0
		.amdhsa_float_round_mode_16_64 0
		.amdhsa_float_denorm_mode_32 3
		.amdhsa_float_denorm_mode_16_64 3
		.amdhsa_dx10_clamp 1
		.amdhsa_ieee_mode 1
		.amdhsa_fp16_overflow 0
		.amdhsa_tg_split 0
		.amdhsa_exception_fp_ieee_invalid_op 0
		.amdhsa_exception_fp_denorm_src 0
		.amdhsa_exception_fp_ieee_div_zero 0
		.amdhsa_exception_fp_ieee_overflow 0
		.amdhsa_exception_fp_ieee_underflow 0
		.amdhsa_exception_fp_ieee_inexact 0
		.amdhsa_exception_int_div_zero 0
	.end_amdhsa_kernel
	.section	.text._ZL13mul_mat_vec_qIN3c108BFloat16ELi256ELi8E13block_iq3_xxsLi1EXadL_ZL20vec_dot_iq3_xxs_q8_1PKvPK10block_q8_1RKiEEEvS4_S4_PT_iii,"axG",@progbits,_ZL13mul_mat_vec_qIN3c108BFloat16ELi256ELi8E13block_iq3_xxsLi1EXadL_ZL20vec_dot_iq3_xxs_q8_1PKvPK10block_q8_1RKiEEEvS4_S4_PT_iii,comdat
.Lfunc_end110:
	.size	_ZL13mul_mat_vec_qIN3c108BFloat16ELi256ELi8E13block_iq3_xxsLi1EXadL_ZL20vec_dot_iq3_xxs_q8_1PKvPK10block_q8_1RKiEEEvS4_S4_PT_iii, .Lfunc_end110-_ZL13mul_mat_vec_qIN3c108BFloat16ELi256ELi8E13block_iq3_xxsLi1EXadL_ZL20vec_dot_iq3_xxs_q8_1PKvPK10block_q8_1RKiEEEvS4_S4_PT_iii
                                        ; -- End function
	.set _ZL13mul_mat_vec_qIN3c108BFloat16ELi256ELi8E13block_iq3_xxsLi1EXadL_ZL20vec_dot_iq3_xxs_q8_1PKvPK10block_q8_1RKiEEEvS4_S4_PT_iii.num_vgpr, 61
	.set _ZL13mul_mat_vec_qIN3c108BFloat16ELi256ELi8E13block_iq3_xxsLi1EXadL_ZL20vec_dot_iq3_xxs_q8_1PKvPK10block_q8_1RKiEEEvS4_S4_PT_iii.num_agpr, 0
	.set _ZL13mul_mat_vec_qIN3c108BFloat16ELi256ELi8E13block_iq3_xxsLi1EXadL_ZL20vec_dot_iq3_xxs_q8_1PKvPK10block_q8_1RKiEEEvS4_S4_PT_iii.numbered_sgpr, 18
	.set _ZL13mul_mat_vec_qIN3c108BFloat16ELi256ELi8E13block_iq3_xxsLi1EXadL_ZL20vec_dot_iq3_xxs_q8_1PKvPK10block_q8_1RKiEEEvS4_S4_PT_iii.num_named_barrier, 0
	.set _ZL13mul_mat_vec_qIN3c108BFloat16ELi256ELi8E13block_iq3_xxsLi1EXadL_ZL20vec_dot_iq3_xxs_q8_1PKvPK10block_q8_1RKiEEEvS4_S4_PT_iii.private_seg_size, 0
	.set _ZL13mul_mat_vec_qIN3c108BFloat16ELi256ELi8E13block_iq3_xxsLi1EXadL_ZL20vec_dot_iq3_xxs_q8_1PKvPK10block_q8_1RKiEEEvS4_S4_PT_iii.uses_vcc, 1
	.set _ZL13mul_mat_vec_qIN3c108BFloat16ELi256ELi8E13block_iq3_xxsLi1EXadL_ZL20vec_dot_iq3_xxs_q8_1PKvPK10block_q8_1RKiEEEvS4_S4_PT_iii.uses_flat_scratch, 0
	.set _ZL13mul_mat_vec_qIN3c108BFloat16ELi256ELi8E13block_iq3_xxsLi1EXadL_ZL20vec_dot_iq3_xxs_q8_1PKvPK10block_q8_1RKiEEEvS4_S4_PT_iii.has_dyn_sized_stack, 0
	.set _ZL13mul_mat_vec_qIN3c108BFloat16ELi256ELi8E13block_iq3_xxsLi1EXadL_ZL20vec_dot_iq3_xxs_q8_1PKvPK10block_q8_1RKiEEEvS4_S4_PT_iii.has_recursion, 0
	.set _ZL13mul_mat_vec_qIN3c108BFloat16ELi256ELi8E13block_iq3_xxsLi1EXadL_ZL20vec_dot_iq3_xxs_q8_1PKvPK10block_q8_1RKiEEEvS4_S4_PT_iii.has_indirect_call, 0
	.section	.AMDGPU.csdata,"",@progbits
; Kernel info:
; codeLenInByte = 1624
; TotalNumSgprs: 24
; NumVgprs: 61
; NumAgprs: 0
; TotalNumVgprs: 61
; ScratchSize: 0
; MemoryBound: 0
; FloatMode: 240
; IeeeMode: 1
; LDSByteSize: 0 bytes/workgroup (compile time only)
; SGPRBlocks: 2
; VGPRBlocks: 7
; NumSGPRsForWavesPerEU: 24
; NumVGPRsForWavesPerEU: 61
; AccumOffset: 64
; Occupancy: 8
; WaveLimiterHint : 0
; COMPUTE_PGM_RSRC2:SCRATCH_EN: 0
; COMPUTE_PGM_RSRC2:USER_SGPR: 2
; COMPUTE_PGM_RSRC2:TRAP_HANDLER: 0
; COMPUTE_PGM_RSRC2:TGID_X_EN: 1
; COMPUTE_PGM_RSRC2:TGID_Y_EN: 1
; COMPUTE_PGM_RSRC2:TGID_Z_EN: 0
; COMPUTE_PGM_RSRC2:TIDIG_COMP_CNT: 1
; COMPUTE_PGM_RSRC3_GFX90A:ACCUM_OFFSET: 15
; COMPUTE_PGM_RSRC3_GFX90A:TG_SPLIT: 0
	.section	.text._ZL13mul_mat_vec_qIN3c108BFloat16ELi256ELi8E11block_iq1_sLi1EXadL_ZL18vec_dot_iq1_s_q8_1PKvPK10block_q8_1RKiEEEvS4_S4_PT_iii,"axG",@progbits,_ZL13mul_mat_vec_qIN3c108BFloat16ELi256ELi8E11block_iq1_sLi1EXadL_ZL18vec_dot_iq1_s_q8_1PKvPK10block_q8_1RKiEEEvS4_S4_PT_iii,comdat
	.globl	_ZL13mul_mat_vec_qIN3c108BFloat16ELi256ELi8E11block_iq1_sLi1EXadL_ZL18vec_dot_iq1_s_q8_1PKvPK10block_q8_1RKiEEEvS4_S4_PT_iii ; -- Begin function _ZL13mul_mat_vec_qIN3c108BFloat16ELi256ELi8E11block_iq1_sLi1EXadL_ZL18vec_dot_iq1_s_q8_1PKvPK10block_q8_1RKiEEEvS4_S4_PT_iii
	.p2align	8
	.type	_ZL13mul_mat_vec_qIN3c108BFloat16ELi256ELi8E11block_iq1_sLi1EXadL_ZL18vec_dot_iq1_s_q8_1PKvPK10block_q8_1RKiEEEvS4_S4_PT_iii,@function
_ZL13mul_mat_vec_qIN3c108BFloat16ELi256ELi8E11block_iq1_sLi1EXadL_ZL18vec_dot_iq1_s_q8_1PKvPK10block_q8_1RKiEEEvS4_S4_PT_iii: ; @_ZL13mul_mat_vec_qIN3c108BFloat16ELi256ELi8E11block_iq1_sLi1EXadL_ZL18vec_dot_iq1_s_q8_1PKvPK10block_q8_1RKiEEEvS4_S4_PT_iii
; %bb.0:
	s_load_dword s8, s[0:1], 0x34
	s_load_dwordx4 s[4:7], s[0:1], 0x18
	v_bfe_u32 v1, v0, 10, 10
	s_waitcnt lgkmcnt(0)
	s_lshr_b32 s7, s8, 16
	s_mul_i32 s2, s2, s7
	v_add_u32_e32 v6, s2, v1
	s_cmp_lt_u32 s3, s6
	v_cmp_gt_u32_e32 vcc, s5, v6
	s_cselect_b64 s[6:7], -1, 0
	s_and_b64 s[6:7], s[6:7], vcc
	s_and_saveexec_b64 s[8:9], s[6:7]
	s_cbranch_execz .LBB111_7
; %bb.1:
	s_load_dwordx2 s[6:7], s[0:1], 0x10
	s_ashr_i32 s2, s4, 31
	s_lshr_b32 s2, s2, 24
	s_add_i32 s2, s4, s2
	s_ashr_i32 s2, s2, 8
	v_bfe_u32 v8, v0, 3, 7
	v_and_b32_e32 v7, 0x3ff, v0
	v_cmp_gt_u32_e32 vcc, s2, v8
	v_mov_b32_e32 v9, 0
	s_and_saveexec_b64 s[12:13], vcc
	s_cbranch_execz .LBB111_5
; %bb.2:
	s_load_dwordx4 s[8:11], s[0:1], 0x0
	s_add_i32 s0, s4, 0x1ff
	s_ashr_i32 s1, s0, 31
	s_lshr_b32 s1, s1, 23
	s_add_i32 s0, s0, s1
	s_ashr_i32 s0, s0, 9
	v_and_b32_e32 v4, 7, v7
	s_mul_i32 s4, s3, s0
	v_lshlrev_b32_e32 v0, 1, v4
	v_mov_b32_e32 v1, 0
	s_waitcnt lgkmcnt(0)
	v_mad_u64_u32 v[2:3], s[0:1], v4, 36, s[10:11]
	v_lshlrev_b32_e32 v5, 3, v8
	v_mul_lo_u32 v10, v6, s2
	v_lshl_add_u32 v11, s4, 4, v5
	s_mov_b64 s[0:1], 0
	v_lshlrev_b32_e32 v0, 1, v0
	v_lshlrev_b32_e32 v4, 1, v4
	v_mov_b32_e32 v5, v1
	s_movk_i32 s4, 0x700
	v_mov_b32_e32 v12, 0xbf600000
	v_mov_b32_e32 v9, v1
.LBB111_3:                              ; =>This Inner Loop Header: Depth=1
	v_add_u32_e32 v13, v10, v8
	v_mad_i64_i32 v[22:23], s[10:11], v13, 50, s[8:9]
	v_lshl_add_u64 v[14:15], v[22:23], 0, v[0:1]
	v_lshl_add_u64 v[16:17], v[22:23], 0, v[4:5]
	global_load_dword v13, v[14:15], off offset:2
	global_load_ushort v26, v[16:17], off offset:34
	v_mad_i64_i32 v[24:25], s[10:11], v11, 36, v[2:3]
	global_load_dwordx4 v[14:17], v[24:25], off
	global_load_dwordx4 v[18:21], v[24:25], off offset:16
	global_load_ushort v27, v[22:23], off
	s_getpc_b64 s[10:11]
	s_add_u32 s10, s10, _ZL13iq1s_grid_gpu@rel32@lo+4
	s_addc_u32 s11, s11, _ZL13iq1s_grid_gpu@rel32@hi+12
	v_add_u32_e32 v8, 8, v8
	v_cmp_le_u32_e32 vcc, s2, v8
	v_add_u32_e32 v11, 64, v11
	s_or_b64 s[0:1], vcc, s[0:1]
	s_waitcnt vmcnt(4)
	v_and_b32_e32 v23, 0xff, v13
	s_waitcnt vmcnt(3)
	v_lshlrev_b32_e32 v28, 8, v26
	v_lshrrev_b32_e32 v22, 24, v13
	v_bfe_u32 v29, v13, 8, 8
	v_lshlrev_b32_e32 v30, 5, v26
	v_bfe_u32 v13, v13, 16, 8
	v_lshlrev_b32_e32 v31, 2, v26
	v_lshrrev_b32_e32 v32, 1, v26
	v_and_or_b32 v23, v28, s4, v23
	v_and_or_b32 v28, v30, s4, v29
	;; [unrolled: 1-line block ×4, first 2 shown]
	v_lshlrev_b32_e32 v23, 3, v23
	v_lshlrev_b32_e32 v28, 3, v28
	;; [unrolled: 1-line block ×4, first 2 shown]
	global_load_dword v29, v23, s[10:11]
	global_load_dword v30, v28, s[10:11]
	;; [unrolled: 1-line block ×4, first 2 shown]
	global_load_dword v33, v[24:25], off offset:32
	s_waitcnt vmcnt(7)
	v_cvt_f32_f16_e32 v22, v14
	v_cvt_f32_f16_sdwa v23, v14 dst_sel:DWORD dst_unused:UNUSED_PAD src0_sel:WORD_1
	v_lshrrev_b32_e32 v14, 11, v26
	v_mov_b32_e32 v13, 0
	s_waitcnt vmcnt(5)
	v_cvt_f32_f16_e32 v24, v27
	v_and_b32_e32 v25, 0x8000, v26
	v_and_or_b32 v26, v14, 14, 1
	v_cvt_f32_u32_e32 v25, v25
	s_waitcnt vmcnt(4)
	v_and_b32_e32 v14, 0xf0f0f0f, v29
	v_lshrrev_b32_e32 v27, 4, v29
	v_and_b32_e32 v27, 0xf0f0f0f, v27
	v_dot4c_i32_i8_e32 v13, v14, v15
	s_waitcnt vmcnt(3)
	v_and_b32_e32 v28, 0xf0f0f0f, v30
	v_lshrrev_b32_e32 v29, 4, v30
	v_dot4c_i32_i8_e32 v13, v27, v16
	v_and_b32_e32 v14, 0xf0f0f0f, v29
	v_dot4c_i32_i8_e32 v13, v28, v17
	s_waitcnt vmcnt(2)
	v_and_b32_e32 v30, 0xf0f0f0f, v31
	v_lshrrev_b32_e32 v31, 4, v31
	v_dot4c_i32_i8_e32 v13, v14, v18
	;; [unrolled: 6-line block ×3, first 2 shown]
	v_and_b32_e32 v29, 0xf0f0f0f, v32
	v_dot4c_i32_i8_e32 v13, v34, v21
	s_waitcnt vmcnt(0)
	v_dot4c_i32_i8_e32 v13, v29, v33
	v_fmamk_f32 v15, v25, 0xb7000000, v12
	s_nop 1
	v_cvt_f32_i32_e32 v14, v13
	v_cvt_f32_ubyte0_e32 v13, v26
	v_mul_f32_e32 v13, v13, v24
	v_pk_mul_f32 v[14:15], v[14:15], v[22:23]
	s_nop 0
	v_add_f32_e32 v14, v14, v15
	v_fmac_f32_e32 v9, v13, v14
	s_andn2_b64 exec, exec, s[0:1]
	s_cbranch_execnz .LBB111_3
; %bb.4:
	s_or_b64 exec, exec, s[0:1]
.LBB111_5:
	s_or_b64 exec, exec, s[12:13]
	v_mbcnt_lo_u32_b32 v0, -1, 0
	v_mbcnt_hi_u32_b32 v1, -1, v0
	v_and_b32_e32 v0, 64, v1
	v_add_u32_e32 v2, 64, v0
	v_xor_b32_e32 v0, 32, v1
	v_cmp_lt_i32_e32 vcc, v0, v2
	v_xor_b32_e32 v3, 16, v1
	v_xor_b32_e32 v4, 8, v1
	v_cndmask_b32_e32 v0, v1, v0, vcc
	v_lshlrev_b32_e32 v0, 2, v0
	ds_bpermute_b32 v0, v0, v9
	v_cmp_lt_i32_e32 vcc, v3, v2
	s_waitcnt lgkmcnt(0)
	v_add_f32_e32 v0, v9, v0
	v_cndmask_b32_e32 v3, v1, v3, vcc
	v_lshlrev_b32_e32 v3, 2, v3
	ds_bpermute_b32 v3, v3, v0
	v_cmp_lt_i32_e32 vcc, v4, v2
	s_waitcnt lgkmcnt(0)
	v_add_f32_e32 v0, v0, v3
	v_cndmask_b32_e32 v3, v1, v4, vcc
	v_lshlrev_b32_e32 v3, 2, v3
	ds_bpermute_b32 v3, v3, v0
	v_xor_b32_e32 v4, 4, v1
	v_cmp_lt_i32_e32 vcc, v4, v2
	s_waitcnt lgkmcnt(0)
	v_add_f32_e32 v0, v0, v3
	v_cndmask_b32_e32 v3, v1, v4, vcc
	v_lshlrev_b32_e32 v3, 2, v3
	ds_bpermute_b32 v3, v3, v0
	v_xor_b32_e32 v4, 2, v1
	;; [unrolled: 7-line block ×3, first 2 shown]
	v_cmp_lt_i32_e32 vcc, v4, v2
	s_waitcnt lgkmcnt(0)
	v_add_f32_e32 v0, v0, v3
	v_cndmask_b32_e32 v1, v1, v4, vcc
	v_lshlrev_b32_e32 v1, 2, v1
	ds_bpermute_b32 v1, v1, v0
	v_cmp_eq_u32_e32 vcc, 0, v7
	s_and_b64 exec, exec, vcc
	s_cbranch_execz .LBB111_7
; %bb.6:
	s_waitcnt lgkmcnt(0)
	v_add_f32_e32 v0, v0, v1
	v_bfe_u32 v1, v0, 16, 1
	s_movk_i32 s0, 0x7fff
	v_add3_u32 v1, v0, v1, s0
	v_cmp_o_f32_e32 vcc, v0, v0
	v_mov_b32_e32 v0, 0x7fc0
	s_mul_i32 s0, s5, s3
	v_cndmask_b32_sdwa v2, v0, v1, vcc dst_sel:DWORD dst_unused:UNUSED_PAD src0_sel:DWORD src1_sel:WORD_1
	v_add_u32_e32 v0, s0, v6
	v_mov_b32_e32 v1, 0
	v_lshl_add_u64 v[0:1], v[0:1], 1, s[6:7]
	global_store_short v[0:1], v2, off
.LBB111_7:
	s_endpgm
	.section	.rodata,"a",@progbits
	.p2align	6, 0x0
	.amdhsa_kernel _ZL13mul_mat_vec_qIN3c108BFloat16ELi256ELi8E11block_iq1_sLi1EXadL_ZL18vec_dot_iq1_s_q8_1PKvPK10block_q8_1RKiEEEvS4_S4_PT_iii
		.amdhsa_group_segment_fixed_size 0
		.amdhsa_private_segment_fixed_size 0
		.amdhsa_kernarg_size 296
		.amdhsa_user_sgpr_count 2
		.amdhsa_user_sgpr_dispatch_ptr 0
		.amdhsa_user_sgpr_queue_ptr 0
		.amdhsa_user_sgpr_kernarg_segment_ptr 1
		.amdhsa_user_sgpr_dispatch_id 0
		.amdhsa_user_sgpr_kernarg_preload_length 0
		.amdhsa_user_sgpr_kernarg_preload_offset 0
		.amdhsa_user_sgpr_private_segment_size 0
		.amdhsa_uses_dynamic_stack 0
		.amdhsa_enable_private_segment 0
		.amdhsa_system_sgpr_workgroup_id_x 1
		.amdhsa_system_sgpr_workgroup_id_y 1
		.amdhsa_system_sgpr_workgroup_id_z 0
		.amdhsa_system_sgpr_workgroup_info 0
		.amdhsa_system_vgpr_workitem_id 1
		.amdhsa_next_free_vgpr 35
		.amdhsa_next_free_sgpr 14
		.amdhsa_accum_offset 36
		.amdhsa_reserve_vcc 1
		.amdhsa_float_round_mode_32 0
		.amdhsa_float_round_mode_16_64 0
		.amdhsa_float_denorm_mode_32 3
		.amdhsa_float_denorm_mode_16_64 3
		.amdhsa_dx10_clamp 1
		.amdhsa_ieee_mode 1
		.amdhsa_fp16_overflow 0
		.amdhsa_tg_split 0
		.amdhsa_exception_fp_ieee_invalid_op 0
		.amdhsa_exception_fp_denorm_src 0
		.amdhsa_exception_fp_ieee_div_zero 0
		.amdhsa_exception_fp_ieee_overflow 0
		.amdhsa_exception_fp_ieee_underflow 0
		.amdhsa_exception_fp_ieee_inexact 0
		.amdhsa_exception_int_div_zero 0
	.end_amdhsa_kernel
	.section	.text._ZL13mul_mat_vec_qIN3c108BFloat16ELi256ELi8E11block_iq1_sLi1EXadL_ZL18vec_dot_iq1_s_q8_1PKvPK10block_q8_1RKiEEEvS4_S4_PT_iii,"axG",@progbits,_ZL13mul_mat_vec_qIN3c108BFloat16ELi256ELi8E11block_iq1_sLi1EXadL_ZL18vec_dot_iq1_s_q8_1PKvPK10block_q8_1RKiEEEvS4_S4_PT_iii,comdat
.Lfunc_end111:
	.size	_ZL13mul_mat_vec_qIN3c108BFloat16ELi256ELi8E11block_iq1_sLi1EXadL_ZL18vec_dot_iq1_s_q8_1PKvPK10block_q8_1RKiEEEvS4_S4_PT_iii, .Lfunc_end111-_ZL13mul_mat_vec_qIN3c108BFloat16ELi256ELi8E11block_iq1_sLi1EXadL_ZL18vec_dot_iq1_s_q8_1PKvPK10block_q8_1RKiEEEvS4_S4_PT_iii
                                        ; -- End function
	.set _ZL13mul_mat_vec_qIN3c108BFloat16ELi256ELi8E11block_iq1_sLi1EXadL_ZL18vec_dot_iq1_s_q8_1PKvPK10block_q8_1RKiEEEvS4_S4_PT_iii.num_vgpr, 35
	.set _ZL13mul_mat_vec_qIN3c108BFloat16ELi256ELi8E11block_iq1_sLi1EXadL_ZL18vec_dot_iq1_s_q8_1PKvPK10block_q8_1RKiEEEvS4_S4_PT_iii.num_agpr, 0
	.set _ZL13mul_mat_vec_qIN3c108BFloat16ELi256ELi8E11block_iq1_sLi1EXadL_ZL18vec_dot_iq1_s_q8_1PKvPK10block_q8_1RKiEEEvS4_S4_PT_iii.numbered_sgpr, 14
	.set _ZL13mul_mat_vec_qIN3c108BFloat16ELi256ELi8E11block_iq1_sLi1EXadL_ZL18vec_dot_iq1_s_q8_1PKvPK10block_q8_1RKiEEEvS4_S4_PT_iii.num_named_barrier, 0
	.set _ZL13mul_mat_vec_qIN3c108BFloat16ELi256ELi8E11block_iq1_sLi1EXadL_ZL18vec_dot_iq1_s_q8_1PKvPK10block_q8_1RKiEEEvS4_S4_PT_iii.private_seg_size, 0
	.set _ZL13mul_mat_vec_qIN3c108BFloat16ELi256ELi8E11block_iq1_sLi1EXadL_ZL18vec_dot_iq1_s_q8_1PKvPK10block_q8_1RKiEEEvS4_S4_PT_iii.uses_vcc, 1
	.set _ZL13mul_mat_vec_qIN3c108BFloat16ELi256ELi8E11block_iq1_sLi1EXadL_ZL18vec_dot_iq1_s_q8_1PKvPK10block_q8_1RKiEEEvS4_S4_PT_iii.uses_flat_scratch, 0
	.set _ZL13mul_mat_vec_qIN3c108BFloat16ELi256ELi8E11block_iq1_sLi1EXadL_ZL18vec_dot_iq1_s_q8_1PKvPK10block_q8_1RKiEEEvS4_S4_PT_iii.has_dyn_sized_stack, 0
	.set _ZL13mul_mat_vec_qIN3c108BFloat16ELi256ELi8E11block_iq1_sLi1EXadL_ZL18vec_dot_iq1_s_q8_1PKvPK10block_q8_1RKiEEEvS4_S4_PT_iii.has_recursion, 0
	.set _ZL13mul_mat_vec_qIN3c108BFloat16ELi256ELi8E11block_iq1_sLi1EXadL_ZL18vec_dot_iq1_s_q8_1PKvPK10block_q8_1RKiEEEvS4_S4_PT_iii.has_indirect_call, 0
	.section	.AMDGPU.csdata,"",@progbits
; Kernel info:
; codeLenInByte = 1028
; TotalNumSgprs: 20
; NumVgprs: 35
; NumAgprs: 0
; TotalNumVgprs: 35
; ScratchSize: 0
; MemoryBound: 0
; FloatMode: 240
; IeeeMode: 1
; LDSByteSize: 0 bytes/workgroup (compile time only)
; SGPRBlocks: 2
; VGPRBlocks: 4
; NumSGPRsForWavesPerEU: 20
; NumVGPRsForWavesPerEU: 35
; AccumOffset: 36
; Occupancy: 8
; WaveLimiterHint : 0
; COMPUTE_PGM_RSRC2:SCRATCH_EN: 0
; COMPUTE_PGM_RSRC2:USER_SGPR: 2
; COMPUTE_PGM_RSRC2:TRAP_HANDLER: 0
; COMPUTE_PGM_RSRC2:TGID_X_EN: 1
; COMPUTE_PGM_RSRC2:TGID_Y_EN: 1
; COMPUTE_PGM_RSRC2:TGID_Z_EN: 0
; COMPUTE_PGM_RSRC2:TIDIG_COMP_CNT: 1
; COMPUTE_PGM_RSRC3_GFX90A:ACCUM_OFFSET: 8
; COMPUTE_PGM_RSRC3_GFX90A:TG_SPLIT: 0
	.section	.text._ZL13mul_mat_vec_qIN3c108BFloat16ELi32ELi4E12block_iq4_nlLi2EXadL_ZL19vec_dot_iq4_nl_q8_1PKvPK10block_q8_1RKiEEEvS4_S4_PT_iii,"axG",@progbits,_ZL13mul_mat_vec_qIN3c108BFloat16ELi32ELi4E12block_iq4_nlLi2EXadL_ZL19vec_dot_iq4_nl_q8_1PKvPK10block_q8_1RKiEEEvS4_S4_PT_iii,comdat
	.globl	_ZL13mul_mat_vec_qIN3c108BFloat16ELi32ELi4E12block_iq4_nlLi2EXadL_ZL19vec_dot_iq4_nl_q8_1PKvPK10block_q8_1RKiEEEvS4_S4_PT_iii ; -- Begin function _ZL13mul_mat_vec_qIN3c108BFloat16ELi32ELi4E12block_iq4_nlLi2EXadL_ZL19vec_dot_iq4_nl_q8_1PKvPK10block_q8_1RKiEEEvS4_S4_PT_iii
	.p2align	8
	.type	_ZL13mul_mat_vec_qIN3c108BFloat16ELi32ELi4E12block_iq4_nlLi2EXadL_ZL19vec_dot_iq4_nl_q8_1PKvPK10block_q8_1RKiEEEvS4_S4_PT_iii,@function
_ZL13mul_mat_vec_qIN3c108BFloat16ELi32ELi4E12block_iq4_nlLi2EXadL_ZL19vec_dot_iq4_nl_q8_1PKvPK10block_q8_1RKiEEEvS4_S4_PT_iii: ; @_ZL13mul_mat_vec_qIN3c108BFloat16ELi32ELi4E12block_iq4_nlLi2EXadL_ZL19vec_dot_iq4_nl_q8_1PKvPK10block_q8_1RKiEEEvS4_S4_PT_iii
; %bb.0:
	s_load_dword s8, s[0:1], 0x34
	s_load_dwordx4 s[4:7], s[0:1], 0x18
	v_bfe_u32 v1, v0, 10, 10
	s_waitcnt lgkmcnt(0)
	s_lshr_b32 s7, s8, 16
	s_mul_i32 s2, s2, s7
	v_add_u32_e32 v4, s2, v1
	s_cmp_lt_u32 s3, s6
	v_cmp_gt_u32_e32 vcc, s5, v4
	s_cselect_b64 s[6:7], -1, 0
	s_and_b64 s[6:7], s[6:7], vcc
	s_and_saveexec_b64 s[8:9], s[6:7]
	s_cbranch_execz .LBB112_7
; %bb.1:
	s_load_dwordx2 s[6:7], s[0:1], 0x10
	s_ashr_i32 s2, s4, 31
	s_lshr_b32 s2, s2, 27
	s_add_i32 s2, s4, s2
	s_ashr_i32 s2, s2, 5
	v_bfe_u32 v6, v0, 1, 9
	v_and_b32_e32 v5, 0x3ff, v0
	v_cmp_gt_u32_e32 vcc, s2, v6
	v_mov_b32_e32 v7, 0
	s_and_saveexec_b64 s[12:13], vcc
	s_cbranch_execz .LBB112_5
; %bb.2:
	s_load_dwordx4 s[8:11], s[0:1], 0x0
	s_add_i32 s0, s4, 0x1ff
	s_ashr_i32 s1, s0, 31
	s_lshr_b32 s1, s1, 23
	s_add_i32 s0, s0, s1
	v_lshlrev_b32_e32 v0, 1, v5
	s_ashr_i32 s0, s0, 9
	v_and_b32_e32 v2, 2, v0
	s_mul_i32 s0, s3, s0
	v_lshlrev_b32_e32 v0, 1, v2
	v_mov_b32_e32 v1, 0
	v_mul_lo_u32 v8, v4, s2
	s_lshl_b32 s4, s0, 4
	s_mov_b64 s[0:1], 0
	v_lshlrev_b32_e32 v0, 1, v0
	v_lshlrev_b32_e32 v2, 2, v2
	v_mov_b32_e32 v3, v1
	v_mov_b32_e32 v7, v1
.LBB112_3:                              ; =>This Inner Loop Header: Depth=1
	v_add_u32_e32 v9, v8, v6
	s_waitcnt lgkmcnt(0)
	v_mad_i64_i32 v[10:11], s[14:15], v9, 18, s[8:9]
	v_lshl_add_u64 v[12:13], v[10:11], 0, v[0:1]
	global_load_dwordx2 v[12:13], v[12:13], off offset:2
	v_add_u32_e32 v9, s4, v6
	v_mad_i64_i32 v[14:15], s[16:17], v9, 36, s[10:11]
	s_getpc_b64 s[14:15]
	s_add_u32 s14, s14, _ZL13kvalues_iq4nl@rel32@lo+4
	s_addc_u32 s15, s15, _ZL13kvalues_iq4nl@rel32@hi+12
	v_lshl_add_u64 v[16:17], v[14:15], 0, v[2:3]
	global_load_ushort v9, v[10:11], off
	global_load_dwordx2 v[18:19], v[16:17], off offset:4
	global_load_dwordx2 v[20:21], v[16:17], off offset:20
	v_add_u32_e32 v6, 32, v6
	v_cmp_le_u32_e32 vcc, s2, v6
	s_or_b64 s[0:1], vcc, s[0:1]
	s_waitcnt vmcnt(3)
	v_bfe_u32 v10, v12, 24, 4
	v_and_b32_e32 v11, 15, v12
	v_bfe_u32 v16, v12, 8, 4
	v_bfe_u32 v17, v12, 16, 4
	;; [unrolled: 1-line block ×4, first 2 shown]
	v_lshrrev_b32_e32 v24, 28, v12
	v_bfe_u32 v12, v12, 4, 4
	v_bfe_u32 v25, v13, 24, 4
	v_and_b32_e32 v26, 15, v13
	v_bfe_u32 v27, v13, 8, 4
	v_bfe_u32 v28, v13, 16, 4
	v_bfe_u32 v29, v13, 12, 4
	v_bfe_u32 v30, v13, 20, 4
	v_lshrrev_b32_e32 v31, 28, v13
	v_bfe_u32 v13, v13, 4, 4
	global_load_ubyte v32, v11, s[14:15]
	global_load_ubyte v33, v16, s[14:15]
	;; [unrolled: 1-line block ×15, first 2 shown]
                                        ; kill: killed $vgpr10
                                        ; kill: killed $vgpr16
                                        ; kill: killed $vgpr22
                                        ; kill: killed $vgpr31
                                        ; kill: killed $vgpr24
                                        ; kill: killed $vgpr29
                                        ; kill: killed $vgpr28
                                        ; kill: killed $vgpr23
                                        ; kill: killed $vgpr27
                                        ; kill: killed $vgpr13
                                        ; kill: killed $vgpr11
                                        ; kill: killed $vgpr12
                                        ; kill: killed $vgpr26
                                        ; kill: killed $vgpr30
                                        ; kill: killed $vgpr17
	global_load_ubyte v10, v25, s[14:15]
	global_load_dword v11, v[14:15], off
	v_mov_b32_e32 v12, 0
	v_mov_b32_e32 v13, 0
	s_waitcnt vmcnt(19)
	v_cvt_f32_f16_e32 v9, v9
	s_waitcnt vmcnt(15)
	v_lshl_or_b32 v16, v33, 8, v32
	s_waitcnt vmcnt(14)
	v_lshlrev_b32_e32 v15, 16, v34
	s_waitcnt vmcnt(12)
	v_lshl_or_b32 v23, v36, 8, v35
	s_waitcnt vmcnt(11)
	v_lshlrev_b32_e32 v22, 16, v37
	s_waitcnt vmcnt(10)
	v_lshlrev_b32_e32 v17, 24, v38
	;; [unrolled: 2-line block ×3, first 2 shown]
	v_or3_b32 v14, v16, v15, v14
	s_waitcnt vmcnt(7)
	v_lshl_or_b32 v25, v41, 8, v40
	s_waitcnt vmcnt(6)
	v_lshlrev_b32_e32 v24, 16, v42
	v_or3_b32 v15, v23, v22, v17
	s_waitcnt vmcnt(4)
	v_lshl_or_b32 v28, v44, 8, v43
	s_waitcnt vmcnt(3)
	v_lshlrev_b32_e32 v27, 16, v45
	s_waitcnt vmcnt(2)
	v_lshlrev_b32_e32 v26, 24, v46
	v_or3_b32 v16, v28, v27, v26
	v_dot4c_i32_i8_e32 v12, v14, v18
	v_dot4c_i32_i8_e32 v13, v15, v20
	;; [unrolled: 1-line block ×3, first 2 shown]
	s_waitcnt vmcnt(1)
	v_lshlrev_b32_e32 v10, 24, v10
	v_or3_b32 v10, v25, v24, v10
	v_dot4c_i32_i8_e32 v12, v10, v19
	s_waitcnt vmcnt(0)
	v_cvt_f32_f16_e32 v11, v11
	v_mul_f32_e32 v9, v9, v11
	v_add_u32_e32 v10, v13, v12
	v_cvt_f32_i32_e32 v10, v10
	v_fmac_f32_e32 v7, v9, v10
	s_andn2_b64 exec, exec, s[0:1]
	s_cbranch_execnz .LBB112_3
; %bb.4:
	s_or_b64 exec, exec, s[0:1]
.LBB112_5:
	s_or_b64 exec, exec, s[12:13]
	v_mbcnt_lo_u32_b32 v0, -1, 0
	v_mbcnt_hi_u32_b32 v1, -1, v0
	v_and_b32_e32 v0, 64, v1
	v_add_u32_e32 v2, 64, v0
	v_xor_b32_e32 v0, 32, v1
	v_cmp_lt_i32_e32 vcc, v0, v2
	v_xor_b32_e32 v3, 16, v1
	v_xor_b32_e32 v6, 8, v1
	v_cndmask_b32_e32 v0, v1, v0, vcc
	v_lshlrev_b32_e32 v0, 2, v0
	ds_bpermute_b32 v0, v0, v7
	v_cmp_lt_i32_e32 vcc, v3, v2
	s_waitcnt lgkmcnt(0)
	v_add_f32_e32 v0, v7, v0
	v_cndmask_b32_e32 v3, v1, v3, vcc
	v_lshlrev_b32_e32 v3, 2, v3
	ds_bpermute_b32 v3, v3, v0
	v_cmp_lt_i32_e32 vcc, v6, v2
	s_waitcnt lgkmcnt(0)
	v_add_f32_e32 v0, v0, v3
	v_cndmask_b32_e32 v3, v1, v6, vcc
	v_lshlrev_b32_e32 v3, 2, v3
	ds_bpermute_b32 v3, v3, v0
	v_xor_b32_e32 v6, 4, v1
	v_cmp_lt_i32_e32 vcc, v6, v2
	s_waitcnt lgkmcnt(0)
	v_add_f32_e32 v0, v0, v3
	v_cndmask_b32_e32 v3, v1, v6, vcc
	v_lshlrev_b32_e32 v3, 2, v3
	ds_bpermute_b32 v3, v3, v0
	v_xor_b32_e32 v6, 2, v1
	;; [unrolled: 7-line block ×3, first 2 shown]
	v_cmp_lt_i32_e32 vcc, v6, v2
	s_waitcnt lgkmcnt(0)
	v_add_f32_e32 v0, v0, v3
	v_cndmask_b32_e32 v1, v1, v6, vcc
	v_lshlrev_b32_e32 v1, 2, v1
	ds_bpermute_b32 v1, v1, v0
	v_cmp_eq_u32_e32 vcc, 0, v5
	s_and_b64 exec, exec, vcc
	s_cbranch_execz .LBB112_7
; %bb.6:
	s_waitcnt lgkmcnt(0)
	v_add_f32_e32 v0, v0, v1
	v_bfe_u32 v1, v0, 16, 1
	s_movk_i32 s0, 0x7fff
	v_add3_u32 v1, v0, v1, s0
	v_cmp_o_f32_e32 vcc, v0, v0
	v_mov_b32_e32 v0, 0x7fc0
	s_mul_i32 s0, s5, s3
	v_cndmask_b32_sdwa v2, v0, v1, vcc dst_sel:DWORD dst_unused:UNUSED_PAD src0_sel:DWORD src1_sel:WORD_1
	v_add_u32_e32 v0, s0, v4
	v_mov_b32_e32 v1, 0
	v_lshl_add_u64 v[0:1], v[0:1], 1, s[6:7]
	global_store_short v[0:1], v2, off
.LBB112_7:
	s_endpgm
	.section	.rodata,"a",@progbits
	.p2align	6, 0x0
	.amdhsa_kernel _ZL13mul_mat_vec_qIN3c108BFloat16ELi32ELi4E12block_iq4_nlLi2EXadL_ZL19vec_dot_iq4_nl_q8_1PKvPK10block_q8_1RKiEEEvS4_S4_PT_iii
		.amdhsa_group_segment_fixed_size 0
		.amdhsa_private_segment_fixed_size 0
		.amdhsa_kernarg_size 296
		.amdhsa_user_sgpr_count 2
		.amdhsa_user_sgpr_dispatch_ptr 0
		.amdhsa_user_sgpr_queue_ptr 0
		.amdhsa_user_sgpr_kernarg_segment_ptr 1
		.amdhsa_user_sgpr_dispatch_id 0
		.amdhsa_user_sgpr_kernarg_preload_length 0
		.amdhsa_user_sgpr_kernarg_preload_offset 0
		.amdhsa_user_sgpr_private_segment_size 0
		.amdhsa_uses_dynamic_stack 0
		.amdhsa_enable_private_segment 0
		.amdhsa_system_sgpr_workgroup_id_x 1
		.amdhsa_system_sgpr_workgroup_id_y 1
		.amdhsa_system_sgpr_workgroup_id_z 0
		.amdhsa_system_sgpr_workgroup_info 0
		.amdhsa_system_vgpr_workitem_id 1
		.amdhsa_next_free_vgpr 47
		.amdhsa_next_free_sgpr 18
		.amdhsa_accum_offset 48
		.amdhsa_reserve_vcc 1
		.amdhsa_float_round_mode_32 0
		.amdhsa_float_round_mode_16_64 0
		.amdhsa_float_denorm_mode_32 3
		.amdhsa_float_denorm_mode_16_64 3
		.amdhsa_dx10_clamp 1
		.amdhsa_ieee_mode 1
		.amdhsa_fp16_overflow 0
		.amdhsa_tg_split 0
		.amdhsa_exception_fp_ieee_invalid_op 0
		.amdhsa_exception_fp_denorm_src 0
		.amdhsa_exception_fp_ieee_div_zero 0
		.amdhsa_exception_fp_ieee_overflow 0
		.amdhsa_exception_fp_ieee_underflow 0
		.amdhsa_exception_fp_ieee_inexact 0
		.amdhsa_exception_int_div_zero 0
	.end_amdhsa_kernel
	.section	.text._ZL13mul_mat_vec_qIN3c108BFloat16ELi32ELi4E12block_iq4_nlLi2EXadL_ZL19vec_dot_iq4_nl_q8_1PKvPK10block_q8_1RKiEEEvS4_S4_PT_iii,"axG",@progbits,_ZL13mul_mat_vec_qIN3c108BFloat16ELi32ELi4E12block_iq4_nlLi2EXadL_ZL19vec_dot_iq4_nl_q8_1PKvPK10block_q8_1RKiEEEvS4_S4_PT_iii,comdat
.Lfunc_end112:
	.size	_ZL13mul_mat_vec_qIN3c108BFloat16ELi32ELi4E12block_iq4_nlLi2EXadL_ZL19vec_dot_iq4_nl_q8_1PKvPK10block_q8_1RKiEEEvS4_S4_PT_iii, .Lfunc_end112-_ZL13mul_mat_vec_qIN3c108BFloat16ELi32ELi4E12block_iq4_nlLi2EXadL_ZL19vec_dot_iq4_nl_q8_1PKvPK10block_q8_1RKiEEEvS4_S4_PT_iii
                                        ; -- End function
	.set _ZL13mul_mat_vec_qIN3c108BFloat16ELi32ELi4E12block_iq4_nlLi2EXadL_ZL19vec_dot_iq4_nl_q8_1PKvPK10block_q8_1RKiEEEvS4_S4_PT_iii.num_vgpr, 47
	.set _ZL13mul_mat_vec_qIN3c108BFloat16ELi32ELi4E12block_iq4_nlLi2EXadL_ZL19vec_dot_iq4_nl_q8_1PKvPK10block_q8_1RKiEEEvS4_S4_PT_iii.num_agpr, 0
	.set _ZL13mul_mat_vec_qIN3c108BFloat16ELi32ELi4E12block_iq4_nlLi2EXadL_ZL19vec_dot_iq4_nl_q8_1PKvPK10block_q8_1RKiEEEvS4_S4_PT_iii.numbered_sgpr, 18
	.set _ZL13mul_mat_vec_qIN3c108BFloat16ELi32ELi4E12block_iq4_nlLi2EXadL_ZL19vec_dot_iq4_nl_q8_1PKvPK10block_q8_1RKiEEEvS4_S4_PT_iii.num_named_barrier, 0
	.set _ZL13mul_mat_vec_qIN3c108BFloat16ELi32ELi4E12block_iq4_nlLi2EXadL_ZL19vec_dot_iq4_nl_q8_1PKvPK10block_q8_1RKiEEEvS4_S4_PT_iii.private_seg_size, 0
	.set _ZL13mul_mat_vec_qIN3c108BFloat16ELi32ELi4E12block_iq4_nlLi2EXadL_ZL19vec_dot_iq4_nl_q8_1PKvPK10block_q8_1RKiEEEvS4_S4_PT_iii.uses_vcc, 1
	.set _ZL13mul_mat_vec_qIN3c108BFloat16ELi32ELi4E12block_iq4_nlLi2EXadL_ZL19vec_dot_iq4_nl_q8_1PKvPK10block_q8_1RKiEEEvS4_S4_PT_iii.uses_flat_scratch, 0
	.set _ZL13mul_mat_vec_qIN3c108BFloat16ELi32ELi4E12block_iq4_nlLi2EXadL_ZL19vec_dot_iq4_nl_q8_1PKvPK10block_q8_1RKiEEEvS4_S4_PT_iii.has_dyn_sized_stack, 0
	.set _ZL13mul_mat_vec_qIN3c108BFloat16ELi32ELi4E12block_iq4_nlLi2EXadL_ZL19vec_dot_iq4_nl_q8_1PKvPK10block_q8_1RKiEEEvS4_S4_PT_iii.has_recursion, 0
	.set _ZL13mul_mat_vec_qIN3c108BFloat16ELi32ELi4E12block_iq4_nlLi2EXadL_ZL19vec_dot_iq4_nl_q8_1PKvPK10block_q8_1RKiEEEvS4_S4_PT_iii.has_indirect_call, 0
	.section	.AMDGPU.csdata,"",@progbits
; Kernel info:
; codeLenInByte = 1080
; TotalNumSgprs: 24
; NumVgprs: 47
; NumAgprs: 0
; TotalNumVgprs: 47
; ScratchSize: 0
; MemoryBound: 0
; FloatMode: 240
; IeeeMode: 1
; LDSByteSize: 0 bytes/workgroup (compile time only)
; SGPRBlocks: 2
; VGPRBlocks: 5
; NumSGPRsForWavesPerEU: 24
; NumVGPRsForWavesPerEU: 47
; AccumOffset: 48
; Occupancy: 8
; WaveLimiterHint : 0
; COMPUTE_PGM_RSRC2:SCRATCH_EN: 0
; COMPUTE_PGM_RSRC2:USER_SGPR: 2
; COMPUTE_PGM_RSRC2:TRAP_HANDLER: 0
; COMPUTE_PGM_RSRC2:TGID_X_EN: 1
; COMPUTE_PGM_RSRC2:TGID_Y_EN: 1
; COMPUTE_PGM_RSRC2:TGID_Z_EN: 0
; COMPUTE_PGM_RSRC2:TIDIG_COMP_CNT: 1
; COMPUTE_PGM_RSRC3_GFX90A:ACCUM_OFFSET: 11
; COMPUTE_PGM_RSRC3_GFX90A:TG_SPLIT: 0
	.section	.text._ZL13mul_mat_vec_qIN3c108BFloat16ELi256ELi8E11block_iq3_sLi1EXadL_ZL18vec_dot_iq3_s_q8_1PKvPK10block_q8_1RKiEEEvS4_S4_PT_iii,"axG",@progbits,_ZL13mul_mat_vec_qIN3c108BFloat16ELi256ELi8E11block_iq3_sLi1EXadL_ZL18vec_dot_iq3_s_q8_1PKvPK10block_q8_1RKiEEEvS4_S4_PT_iii,comdat
	.globl	_ZL13mul_mat_vec_qIN3c108BFloat16ELi256ELi8E11block_iq3_sLi1EXadL_ZL18vec_dot_iq3_s_q8_1PKvPK10block_q8_1RKiEEEvS4_S4_PT_iii ; -- Begin function _ZL13mul_mat_vec_qIN3c108BFloat16ELi256ELi8E11block_iq3_sLi1EXadL_ZL18vec_dot_iq3_s_q8_1PKvPK10block_q8_1RKiEEEvS4_S4_PT_iii
	.p2align	8
	.type	_ZL13mul_mat_vec_qIN3c108BFloat16ELi256ELi8E11block_iq3_sLi1EXadL_ZL18vec_dot_iq3_s_q8_1PKvPK10block_q8_1RKiEEEvS4_S4_PT_iii,@function
_ZL13mul_mat_vec_qIN3c108BFloat16ELi256ELi8E11block_iq3_sLi1EXadL_ZL18vec_dot_iq3_s_q8_1PKvPK10block_q8_1RKiEEEvS4_S4_PT_iii: ; @_ZL13mul_mat_vec_qIN3c108BFloat16ELi256ELi8E11block_iq3_sLi1EXadL_ZL18vec_dot_iq3_s_q8_1PKvPK10block_q8_1RKiEEEvS4_S4_PT_iii
; %bb.0:
	s_load_dword s8, s[0:1], 0x34
	s_load_dwordx4 s[4:7], s[0:1], 0x18
	v_bfe_u32 v1, v0, 10, 10
	s_waitcnt lgkmcnt(0)
	s_lshr_b32 s7, s8, 16
	s_mul_i32 s2, s2, s7
	v_add_u32_e32 v24, s2, v1
	s_cmp_lt_u32 s3, s6
	v_cmp_gt_u32_e32 vcc, s5, v24
	s_cselect_b64 s[6:7], -1, 0
	s_and_b64 s[6:7], s[6:7], vcc
	s_and_saveexec_b64 s[8:9], s[6:7]
	s_cbranch_execz .LBB113_9
; %bb.1:
	s_load_dwordx2 s[6:7], s[0:1], 0x10
	s_ashr_i32 s2, s4, 31
	s_lshr_b32 s2, s2, 24
	s_add_i32 s2, s4, s2
	s_ashr_i32 s2, s2, 8
	v_bfe_u32 v26, v0, 3, 7
	v_and_b32_e32 v25, 0x3ff, v0
	v_cmp_gt_u32_e32 vcc, s2, v26
	v_mov_b32_e32 v1, 0
	s_and_saveexec_b64 s[8:9], vcc
	s_cbranch_execz .LBB113_7
; %bb.2:
	s_load_dwordx4 s[12:15], s[0:1], 0x0
	s_add_i32 s0, s4, 0x1ff
	s_ashr_i32 s1, s0, 31
	s_lshr_b32 s1, s1, 23
	s_add_i32 s0, s0, s1
	s_ashr_i32 s0, s0, 9
	s_mul_i32 s0, s3, s0
	v_and_b32_e32 v2, 7, v25
	v_mov_b32_e32 v1, 0
	v_lshlrev_b32_e32 v8, 2, v25
	s_lshl_b32 s4, s0, 4
	v_lshlrev_b32_e32 v0, 3, v2
	s_waitcnt lgkmcnt(0)
	v_mad_u64_u32 v[4:5], s[0:1], v2, 36, s[14:15]
	v_and_b32_e32 v28, 4, v8
	v_lshlrev_b32_e32 v8, 2, v2
	v_mov_b32_e32 v9, v1
	v_mul_lo_u32 v27, v24, s2
	v_lshl_add_u64 v[8:9], s[12:13], 0, v[8:9]
	s_mov_b64 s[0:1], 0x4a
	v_lshl_add_u64 v[10:11], s[12:13], 0, v[0:1]
	v_mov_b32_e32 v3, v1
	v_bfe_u32 v6, v25, 1, 2
	v_mov_b32_e32 v7, v1
	v_lshl_add_u64 v[8:9], v[8:9], 0, s[0:1]
	v_add_u32_e32 v29, v26, v27
	v_lshl_add_u64 v[10:11], v[10:11], 0, 2
	s_mov_b64 s[0:1], 0
	s_movk_i32 s10, 0x6e
	v_mov_b64_e32 v[12:13], s[12:13]
	s_movk_i32 s11, 0x100
	s_mov_b32 s12, 0x1010101
	s_mov_b32 s13, 0x8040201
	;; [unrolled: 1-line block ×4, first 2 shown]
	v_mov_b32_e32 v0, 0xff0000
	s_movk_i32 s16, 0x200
	v_mov_b32_e32 v30, 0xff00
	v_mov_b32_e32 v31, 0xff
	s_mov_b32 s17, 0xc060c00
.LBB113_3:                              ; =>This Loop Header: Depth=1
                                        ;     Child Loop BB113_4 Depth 2
	v_add_u32_e32 v14, v26, v27
	v_mad_i64_i32 v[14:15], s[18:19], v14, s10, v[12:13]
	v_lshl_add_u64 v[16:17], v[14:15], 0, v[2:3]
	global_load_ubyte v33, v[16:17], off offset:66
	v_lshl_add_u32 v16, v26, 3, s4
	v_mad_i64_i32 v[18:19], s[18:19], v29, s10, v[8:9]
	v_mad_i64_i32 v[20:21], s[18:19], v29, s10, v[10:11]
	;; [unrolled: 1-line block ×3, first 2 shown]
	v_lshl_add_u64 v[22:23], v[16:17], 0, 4
	s_mov_b32 s18, 7
	v_mov_b32_e32 v32, 0
.LBB113_4:                              ;   Parent Loop BB113_3 Depth=1
                                        ; =>  This Inner Loop Header: Depth=2
	global_load_ushort v34, v[20:21], off
	global_load_ubyte v36, v[18:19], off
	s_add_i32 s19, s18, 1
	s_waitcnt vmcnt(2)
	v_lshlrev_b32_e32 v37, s19, v33
	v_lshlrev_b32_e32 v35, s18, v33
	s_getpc_b64 s[20:21]
	s_add_u32 s20, s20, _ZL10iq3xs_grid@rel32@lo+4
	s_addc_u32 s21, s21, _ZL10iq3xs_grid@rel32@hi+12
	s_add_i32 s18, s18, -2
	v_lshl_add_u64 v[18:19], v[18:19], 0, 1
	v_lshl_add_u64 v[20:21], v[20:21], 0, 2
	s_cmp_lg_u32 s18, -1
	s_waitcnt vmcnt(1)
	v_and_b32_e32 v38, 0xff, v34
	v_lshrrev_b16_e32 v34, 8, v34
	v_and_or_b32 v37, v37, s11, v38
	v_and_or_b32 v34, v35, s11, v34
	v_lshlrev_b32_e32 v37, 2, v37
	v_lshlrev_b32_e32 v38, 2, v34
	global_load_dword v39, v37, s[20:21]
	global_load_dword v40, v38, s[20:21]
	global_load_dwordx2 v[34:35], v[22:23], off
	s_waitcnt vmcnt(3)
	v_and_b32_e32 v37, 15, v36
	v_lshrrev_b16_e32 v36, 4, v36
	v_mul_lo_u32 v36, v36, s12
	v_bitop3_b32 v38, v36, s13, v36 bitop3:0xc
	v_bitop3_b32 v41, v36, s15, v36 bitop3:0xc
	v_cmp_gt_u32_e32 vcc, s14, v38
	v_and_b32_e32 v37, 0xffff, v37
	v_bitop3_b32 v42, v36, s16, v36 bitop3:0xc
	v_cndmask_b32_e64 v38, 0, -1, vcc
	v_cmp_eq_u32_e32 vcc, 0, v41
	v_mul_lo_u32 v37, v37, s12
	v_bitop3_b32 v36, v36, 1, v36 bitop3:0xc
	v_cndmask_b32_e32 v41, 0, v0, vcc
	v_cmp_eq_u32_e32 vcc, 0, v42
	v_bitop3_b32 v43, v37, s13, v37 bitop3:0xc
	v_bitop3_b32 v44, v37, s15, v37 bitop3:0xc
	v_cndmask_b32_e32 v42, 0, v30, vcc
	v_cmp_eq_u32_e32 vcc, 0, v36
	v_bitop3_b32 v45, v37, s16, v37 bitop3:0xc
	v_bitop3_b32 v37, v37, 1, v37 bitop3:0xc
	v_cndmask_b32_e32 v36, 0, v31, vcc
	v_cmp_gt_u32_e32 vcc, s14, v43
	v_lshlrev_b32_e32 v38, 24, v38
	v_or3_b32 v46, v42, v36, v41
	v_cndmask_b32_e64 v43, 0, -1, vcc
	v_cmp_eq_u32_e32 vcc, 0, v44
	v_lshlrev_b32_e32 v43, 24, v43
	v_lshl_add_u64 v[22:23], v[22:23], 0, 8
	v_cndmask_b32_e32 v44, 0, v0, vcc
	v_cmp_eq_u32_e32 vcc, 0, v45
	s_waitcnt vmcnt(1)
	v_bitop3_b32 v40, v46, v40, v38 bitop3:0x36
	v_cndmask_b32_e32 v45, 0, v30, vcc
	v_cmp_eq_u32_e32 vcc, 0, v37
	v_sub_u32_e32 v38, v40, v38
	v_sub_u32_e32 v36, v40, v36
	v_cndmask_b32_e32 v37, 0, v31, vcc
	v_or3_b32 v47, v45, v37, v44
	v_bitop3_b32 v39, v47, v39, v43 bitop3:0x36
	v_sub_u32_e32 v43, v39, v43
	v_sub_u32_e32 v44, v39, v44
	;; [unrolled: 1-line block ×6, first 2 shown]
	v_and_b32_e32 v40, 0xff000000, v43
	v_and_b32_e32 v42, 0xff00, v45
	v_perm_b32 v37, v44, v37, s17
	v_and_b32_e32 v38, 0xff000000, v38
	v_and_b32_e32 v41, 0xff00, v41
	v_perm_b32 v36, v39, v36, s17
	v_or3_b32 v37, v37, v40, v42
	v_or3_b32 v36, v36, v38, v41
	s_waitcnt vmcnt(0)
	v_dot4c_i32_i8_e32 v32, v37, v34
	v_dot4c_i32_i8_e32 v32, v36, v35
	s_cbranch_scc1 .LBB113_4
; %bb.5:                                ;   in Loop: Header=BB113_3 Depth=1
	global_load_ushort v18, v[14:15], off
	v_lshl_add_u64 v[14:15], v[14:15], 0, v[6:7]
	global_load_dword v19, v[16:17], off
	global_load_ubyte v20, v[14:15], off offset:106
	v_cvt_f32_i32_e32 v14, v32
	v_add_u32_e32 v26, 8, v26
	v_cmp_le_u32_e32 vcc, s2, v26
	s_or_b64 s[0:1], vcc, s[0:1]
	v_add_u32_e32 v29, 8, v29
	s_waitcnt vmcnt(2)
	v_cvt_f32_f16_e32 v15, v18
	s_waitcnt vmcnt(1)
	v_cvt_f32_f16_e32 v16, v19
	s_waitcnt vmcnt(0)
	v_bfe_u32 v17, v20, v28, 4
	v_cvt_f32_ubyte0_e32 v17, v17
	v_add_f32_e32 v17, 0.5, v17
	v_mul_f32_e32 v15, v17, v15
	v_mul_f32_e32 v15, v15, v16
	v_mul_f32_e32 v15, 0.5, v15
	v_fmac_f32_e32 v1, v15, v14
	s_andn2_b64 exec, exec, s[0:1]
	s_cbranch_execnz .LBB113_3
; %bb.6:
	s_or_b64 exec, exec, s[0:1]
.LBB113_7:
	s_or_b64 exec, exec, s[8:9]
	v_mbcnt_lo_u32_b32 v0, -1, 0
	v_mbcnt_hi_u32_b32 v2, -1, v0
	v_and_b32_e32 v0, 64, v2
	v_add_u32_e32 v3, 64, v0
	v_xor_b32_e32 v0, 32, v2
	v_cmp_lt_i32_e32 vcc, v0, v3
	v_xor_b32_e32 v4, 16, v2
	s_nop 0
	v_cndmask_b32_e32 v0, v2, v0, vcc
	v_lshlrev_b32_e32 v0, 2, v0
	ds_bpermute_b32 v0, v0, v1
	v_cmp_lt_i32_e32 vcc, v4, v3
	s_waitcnt lgkmcnt(0)
	v_add_f32_e32 v0, v1, v0
	v_cndmask_b32_e32 v1, v2, v4, vcc
	v_lshlrev_b32_e32 v1, 2, v1
	ds_bpermute_b32 v1, v1, v0
	v_xor_b32_e32 v4, 8, v2
	v_cmp_lt_i32_e32 vcc, v4, v3
	s_waitcnt lgkmcnt(0)
	v_add_f32_e32 v0, v0, v1
	v_cndmask_b32_e32 v1, v2, v4, vcc
	v_lshlrev_b32_e32 v1, 2, v1
	ds_bpermute_b32 v1, v1, v0
	v_xor_b32_e32 v4, 4, v2
	;; [unrolled: 7-line block ×4, first 2 shown]
	v_cmp_lt_i32_e32 vcc, v4, v3
	s_waitcnt lgkmcnt(0)
	v_add_f32_e32 v0, v0, v1
	v_cndmask_b32_e32 v1, v2, v4, vcc
	v_lshlrev_b32_e32 v1, 2, v1
	ds_bpermute_b32 v1, v1, v0
	v_cmp_eq_u32_e32 vcc, 0, v25
	s_and_b64 exec, exec, vcc
	s_cbranch_execz .LBB113_9
; %bb.8:
	s_waitcnt lgkmcnt(0)
	v_add_f32_e32 v0, v0, v1
	v_bfe_u32 v1, v0, 16, 1
	s_movk_i32 s0, 0x7fff
	v_add3_u32 v1, v0, v1, s0
	v_cmp_o_f32_e32 vcc, v0, v0
	v_mov_b32_e32 v0, 0x7fc0
	s_mul_i32 s0, s5, s3
	v_cndmask_b32_sdwa v2, v0, v1, vcc dst_sel:DWORD dst_unused:UNUSED_PAD src0_sel:DWORD src1_sel:WORD_1
	v_add_u32_e32 v0, s0, v24
	v_mov_b32_e32 v1, 0
	v_lshl_add_u64 v[0:1], v[0:1], 1, s[6:7]
	global_store_short v[0:1], v2, off
.LBB113_9:
	s_endpgm
	.section	.rodata,"a",@progbits
	.p2align	6, 0x0
	.amdhsa_kernel _ZL13mul_mat_vec_qIN3c108BFloat16ELi256ELi8E11block_iq3_sLi1EXadL_ZL18vec_dot_iq3_s_q8_1PKvPK10block_q8_1RKiEEEvS4_S4_PT_iii
		.amdhsa_group_segment_fixed_size 0
		.amdhsa_private_segment_fixed_size 0
		.amdhsa_kernarg_size 296
		.amdhsa_user_sgpr_count 2
		.amdhsa_user_sgpr_dispatch_ptr 0
		.amdhsa_user_sgpr_queue_ptr 0
		.amdhsa_user_sgpr_kernarg_segment_ptr 1
		.amdhsa_user_sgpr_dispatch_id 0
		.amdhsa_user_sgpr_kernarg_preload_length 0
		.amdhsa_user_sgpr_kernarg_preload_offset 0
		.amdhsa_user_sgpr_private_segment_size 0
		.amdhsa_uses_dynamic_stack 0
		.amdhsa_enable_private_segment 0
		.amdhsa_system_sgpr_workgroup_id_x 1
		.amdhsa_system_sgpr_workgroup_id_y 1
		.amdhsa_system_sgpr_workgroup_id_z 0
		.amdhsa_system_sgpr_workgroup_info 0
		.amdhsa_system_vgpr_workitem_id 1
		.amdhsa_next_free_vgpr 48
		.amdhsa_next_free_sgpr 22
		.amdhsa_accum_offset 48
		.amdhsa_reserve_vcc 1
		.amdhsa_float_round_mode_32 0
		.amdhsa_float_round_mode_16_64 0
		.amdhsa_float_denorm_mode_32 3
		.amdhsa_float_denorm_mode_16_64 3
		.amdhsa_dx10_clamp 1
		.amdhsa_ieee_mode 1
		.amdhsa_fp16_overflow 0
		.amdhsa_tg_split 0
		.amdhsa_exception_fp_ieee_invalid_op 0
		.amdhsa_exception_fp_denorm_src 0
		.amdhsa_exception_fp_ieee_div_zero 0
		.amdhsa_exception_fp_ieee_overflow 0
		.amdhsa_exception_fp_ieee_underflow 0
		.amdhsa_exception_fp_ieee_inexact 0
		.amdhsa_exception_int_div_zero 0
	.end_amdhsa_kernel
	.section	.text._ZL13mul_mat_vec_qIN3c108BFloat16ELi256ELi8E11block_iq3_sLi1EXadL_ZL18vec_dot_iq3_s_q8_1PKvPK10block_q8_1RKiEEEvS4_S4_PT_iii,"axG",@progbits,_ZL13mul_mat_vec_qIN3c108BFloat16ELi256ELi8E11block_iq3_sLi1EXadL_ZL18vec_dot_iq3_s_q8_1PKvPK10block_q8_1RKiEEEvS4_S4_PT_iii,comdat
.Lfunc_end113:
	.size	_ZL13mul_mat_vec_qIN3c108BFloat16ELi256ELi8E11block_iq3_sLi1EXadL_ZL18vec_dot_iq3_s_q8_1PKvPK10block_q8_1RKiEEEvS4_S4_PT_iii, .Lfunc_end113-_ZL13mul_mat_vec_qIN3c108BFloat16ELi256ELi8E11block_iq3_sLi1EXadL_ZL18vec_dot_iq3_s_q8_1PKvPK10block_q8_1RKiEEEvS4_S4_PT_iii
                                        ; -- End function
	.set _ZL13mul_mat_vec_qIN3c108BFloat16ELi256ELi8E11block_iq3_sLi1EXadL_ZL18vec_dot_iq3_s_q8_1PKvPK10block_q8_1RKiEEEvS4_S4_PT_iii.num_vgpr, 48
	.set _ZL13mul_mat_vec_qIN3c108BFloat16ELi256ELi8E11block_iq3_sLi1EXadL_ZL18vec_dot_iq3_s_q8_1PKvPK10block_q8_1RKiEEEvS4_S4_PT_iii.num_agpr, 0
	.set _ZL13mul_mat_vec_qIN3c108BFloat16ELi256ELi8E11block_iq3_sLi1EXadL_ZL18vec_dot_iq3_s_q8_1PKvPK10block_q8_1RKiEEEvS4_S4_PT_iii.numbered_sgpr, 22
	.set _ZL13mul_mat_vec_qIN3c108BFloat16ELi256ELi8E11block_iq3_sLi1EXadL_ZL18vec_dot_iq3_s_q8_1PKvPK10block_q8_1RKiEEEvS4_S4_PT_iii.num_named_barrier, 0
	.set _ZL13mul_mat_vec_qIN3c108BFloat16ELi256ELi8E11block_iq3_sLi1EXadL_ZL18vec_dot_iq3_s_q8_1PKvPK10block_q8_1RKiEEEvS4_S4_PT_iii.private_seg_size, 0
	.set _ZL13mul_mat_vec_qIN3c108BFloat16ELi256ELi8E11block_iq3_sLi1EXadL_ZL18vec_dot_iq3_s_q8_1PKvPK10block_q8_1RKiEEEvS4_S4_PT_iii.uses_vcc, 1
	.set _ZL13mul_mat_vec_qIN3c108BFloat16ELi256ELi8E11block_iq3_sLi1EXadL_ZL18vec_dot_iq3_s_q8_1PKvPK10block_q8_1RKiEEEvS4_S4_PT_iii.uses_flat_scratch, 0
	.set _ZL13mul_mat_vec_qIN3c108BFloat16ELi256ELi8E11block_iq3_sLi1EXadL_ZL18vec_dot_iq3_s_q8_1PKvPK10block_q8_1RKiEEEvS4_S4_PT_iii.has_dyn_sized_stack, 0
	.set _ZL13mul_mat_vec_qIN3c108BFloat16ELi256ELi8E11block_iq3_sLi1EXadL_ZL18vec_dot_iq3_s_q8_1PKvPK10block_q8_1RKiEEEvS4_S4_PT_iii.has_recursion, 0
	.set _ZL13mul_mat_vec_qIN3c108BFloat16ELi256ELi8E11block_iq3_sLi1EXadL_ZL18vec_dot_iq3_s_q8_1PKvPK10block_q8_1RKiEEEvS4_S4_PT_iii.has_indirect_call, 0
	.section	.AMDGPU.csdata,"",@progbits
; Kernel info:
; codeLenInByte = 1328
; TotalNumSgprs: 28
; NumVgprs: 48
; NumAgprs: 0
; TotalNumVgprs: 48
; ScratchSize: 0
; MemoryBound: 0
; FloatMode: 240
; IeeeMode: 1
; LDSByteSize: 0 bytes/workgroup (compile time only)
; SGPRBlocks: 3
; VGPRBlocks: 5
; NumSGPRsForWavesPerEU: 28
; NumVGPRsForWavesPerEU: 48
; AccumOffset: 48
; Occupancy: 8
; WaveLimiterHint : 0
; COMPUTE_PGM_RSRC2:SCRATCH_EN: 0
; COMPUTE_PGM_RSRC2:USER_SGPR: 2
; COMPUTE_PGM_RSRC2:TRAP_HANDLER: 0
; COMPUTE_PGM_RSRC2:TGID_X_EN: 1
; COMPUTE_PGM_RSRC2:TGID_Y_EN: 1
; COMPUTE_PGM_RSRC2:TGID_Z_EN: 0
; COMPUTE_PGM_RSRC2:TIDIG_COMP_CNT: 1
; COMPUTE_PGM_RSRC3_GFX90A:ACCUM_OFFSET: 11
; COMPUTE_PGM_RSRC3_GFX90A:TG_SPLIT: 0
	.section	.text._ZL13mul_mat_vec_qIN3c108BFloat16ELi256ELi8E11block_iq2_sLi1EXadL_ZL18vec_dot_iq2_s_q8_1PKvPK10block_q8_1RKiEEEvS4_S4_PT_iii,"axG",@progbits,_ZL13mul_mat_vec_qIN3c108BFloat16ELi256ELi8E11block_iq2_sLi1EXadL_ZL18vec_dot_iq2_s_q8_1PKvPK10block_q8_1RKiEEEvS4_S4_PT_iii,comdat
	.globl	_ZL13mul_mat_vec_qIN3c108BFloat16ELi256ELi8E11block_iq2_sLi1EXadL_ZL18vec_dot_iq2_s_q8_1PKvPK10block_q8_1RKiEEEvS4_S4_PT_iii ; -- Begin function _ZL13mul_mat_vec_qIN3c108BFloat16ELi256ELi8E11block_iq2_sLi1EXadL_ZL18vec_dot_iq2_s_q8_1PKvPK10block_q8_1RKiEEEvS4_S4_PT_iii
	.p2align	8
	.type	_ZL13mul_mat_vec_qIN3c108BFloat16ELi256ELi8E11block_iq2_sLi1EXadL_ZL18vec_dot_iq2_s_q8_1PKvPK10block_q8_1RKiEEEvS4_S4_PT_iii,@function
_ZL13mul_mat_vec_qIN3c108BFloat16ELi256ELi8E11block_iq2_sLi1EXadL_ZL18vec_dot_iq2_s_q8_1PKvPK10block_q8_1RKiEEEvS4_S4_PT_iii: ; @_ZL13mul_mat_vec_qIN3c108BFloat16ELi256ELi8E11block_iq2_sLi1EXadL_ZL18vec_dot_iq2_s_q8_1PKvPK10block_q8_1RKiEEEvS4_S4_PT_iii
; %bb.0:
	s_load_dword s8, s[0:1], 0x34
	s_load_dwordx4 s[4:7], s[0:1], 0x18
	v_bfe_u32 v1, v0, 10, 10
	s_waitcnt lgkmcnt(0)
	s_lshr_b32 s7, s8, 16
	s_mul_i32 s2, s2, s7
	v_add_u32_e32 v14, s2, v1
	s_cmp_lt_u32 s3, s6
	v_cmp_gt_u32_e32 vcc, s5, v14
	s_cselect_b64 s[6:7], -1, 0
	s_and_b64 s[6:7], s[6:7], vcc
	s_and_saveexec_b64 s[8:9], s[6:7]
	s_cbranch_execz .LBB114_7
; %bb.1:
	s_load_dwordx2 s[6:7], s[0:1], 0x10
	s_ashr_i32 s2, s4, 31
	s_lshr_b32 s2, s2, 24
	s_add_i32 s2, s4, s2
	s_ashr_i32 s2, s2, 8
	v_bfe_u32 v16, v0, 3, 7
	v_and_b32_e32 v15, 0x3ff, v0
	v_cmp_gt_u32_e32 vcc, s2, v16
	v_mov_b32_e32 v18, 0
	s_and_saveexec_b64 s[8:9], vcc
	s_cbranch_execz .LBB114_5
; %bb.2:
	s_load_dwordx4 s[12:15], s[0:1], 0x0
	s_add_i32 s0, s4, 0x1ff
	s_ashr_i32 s1, s0, 31
	s_lshr_b32 s1, s1, 23
	s_add_i32 s0, s0, s1
	s_ashr_i32 s0, s0, 9
	s_mul_i32 s4, s3, s0
	v_and_b32_e32 v0, 7, v15
	v_mov_b32_e32 v1, 0
	v_lshlrev_b32_e32 v6, 3, v16
	v_mul_lo_u32 v17, v14, s2
	s_waitcnt lgkmcnt(0)
	v_mad_u64_u32 v[2:3], s[0:1], v0, 36, s[14:15]
	v_lshlrev_b32_e32 v4, 2, v0
	v_mov_b32_e32 v5, v1
	v_lshl_add_u32 v19, s4, 4, v6
	s_mov_b64 s[10:11], 0
	s_movk_i32 s4, 0x52
	v_mov_b64_e32 v[6:7], s[12:13]
	s_movk_i32 s12, 0x300
	s_mov_b32 s13, 0x1010101
	s_mov_b32 s14, 0x8040201
	;; [unrolled: 1-line block ×4, first 2 shown]
	v_mov_b32_e32 v20, 0xff0000
	s_movk_i32 s17, 0x200
	v_mov_b32_e32 v21, 0xff00
	v_mov_b32_e32 v22, 0xff
	s_mov_b32 s18, 0xc060c00
	v_mov_b32_e32 v23, 4
	v_mov_b32_e32 v18, v1
.LBB114_3:                              ; =>This Inner Loop Header: Depth=1
	v_add_u32_e32 v8, v17, v16
	v_mad_i64_i32 v[8:9], s[20:21], v8, s4, v[6:7]
	v_lshl_add_u64 v[10:11], v[8:9], 0, v[4:5]
	v_lshl_add_u64 v[12:13], v[8:9], 0, v[0:1]
	global_load_ushort v28, v[8:9], off
	global_load_dword v24, v[10:11], off offset:2
	global_load_ubyte v25, v[12:13], off offset:66
	global_load_dword v26, v[10:11], off offset:34
	global_load_ubyte v27, v[12:13], off offset:74
	s_getpc_b64 s[0:1]
	s_add_u32 s0, s0, _ZL9iq2s_grid@rel32@lo+4
	s_addc_u32 s1, s1, _ZL9iq2s_grid@rel32@hi+12
	v_add_u32_e32 v16, 8, v16
	s_waitcnt vmcnt(4)
	v_cvt_f32_f16_e32 v28, v28
	s_waitcnt vmcnt(3)
	v_and_b32_e32 v9, 0xff, v24
	s_waitcnt vmcnt(2)
	v_lshlrev_b32_e32 v10, 8, v25
	s_waitcnt vmcnt(1)
	v_and_b32_e32 v12, 15, v26
	v_lshrrev_b32_e32 v8, 24, v24
	v_bfe_u32 v29, v24, 8, 8
	v_bfe_u32 v24, v24, 16, 8
	v_lshlrev_b32_e32 v32, 4, v25
	v_and_or_b32 v9, v10, s12, v9
	v_mul_lo_u32 v10, v12, s13
	v_lshrrev_b16_e32 v13, 4, v26
	v_lshlrev_b32_e32 v30, 6, v25
	v_bfe_u32 v33, v26, 16, 4
	v_and_or_b32 v24, v32, s12, v24
	v_bitop3_b32 v32, v10, s14, v10 bitop3:0xc
	v_bfe_u32 v31, v26, 8, 4
	v_bfe_u32 v34, v26, 20, 4
	v_lshlrev_b32_e32 v25, 2, v25
	v_and_b32_e32 v12, 15, v13
	v_and_or_b32 v13, v30, s12, v29
	v_mul_lo_u32 v30, v33, s13
	v_bitop3_b32 v33, v10, s16, v10 bitop3:0xc
	v_cmp_gt_u32_e32 vcc, s15, v32
	v_lshrrev_b32_e32 v11, 8, v26
	v_mul_lo_u32 v29, v31, s13
	v_mul_lo_u32 v31, v34, s13
	v_and_or_b32 v8, v25, s12, v8
	v_lshlrev_b32_e32 v9, 3, v9
	v_bitop3_b32 v34, v10, s17, v10 bitop3:0xc
	v_cndmask_b32_e64 v32, 0, -1, vcc
	v_cmp_eq_u32_e32 vcc, 0, v33
	v_lshrrev_b16_e32 v11, 4, v11
	v_bitop3_b32 v10, v10, 1, v10 bitop3:0xc
	v_lshlrev_b32_e32 v13, 3, v13
	v_lshlrev_b32_e32 v45, 3, v8
	v_cndmask_b32_e32 v33, 0, v20, vcc
	global_load_dwordx2 v[8:9], v9, s[0:1]
	v_cmp_eq_u32_e32 vcc, 0, v34
	v_bfe_u32 v35, v26, 24, 4
	v_and_b32_e32 v12, 0xffff, v12
	v_and_b32_e32 v38, 15, v11
	v_lshlrev_b32_e32 v24, 3, v24
	v_cndmask_b32_e32 v34, 0, v21, vcc
	v_cmp_eq_u32_e32 vcc, 0, v10
	global_load_dwordx2 v[10:11], v13, s[0:1]
	v_mul_lo_u32 v25, v35, s13
	v_mul_lo_u32 v54, v12, s13
	global_load_dwordx2 v[12:13], v24, s[0:1]
	v_bitop3_b32 v46, v25, s14, v25 bitop3:0xc
	v_bitop3_b32 v47, v25, s16, v25 bitop3:0xc
	;; [unrolled: 1-line block ×4, first 2 shown]
	global_load_dwordx2 v[24:25], v45, s[0:1]
	v_bitop3_b32 v35, v29, s14, v29 bitop3:0xc
	v_bitop3_b32 v36, v29, s16, v29 bitop3:0xc
	v_cndmask_b32_e32 v53, 0, v22, vcc
	v_cmp_gt_u32_e32 vcc, s15, v35
	v_bitop3_b32 v37, v29, s17, v29 bitop3:0xc
	v_bitop3_b32 v29, v29, 1, v29 bitop3:0xc
	v_cndmask_b32_e64 v35, 0, -1, vcc
	v_cmp_eq_u32_e32 vcc, 0, v36
	v_bitop3_b32 v39, v30, s14, v30 bitop3:0xc
	v_bitop3_b32 v40, v30, s16, v30 bitop3:0xc
	v_cndmask_b32_e32 v36, 0, v20, vcc
	v_cmp_eq_u32_e32 vcc, 0, v37
	v_bitop3_b32 v41, v30, s17, v30 bitop3:0xc
	v_bitop3_b32 v30, v30, 1, v30 bitop3:0xc
	v_cndmask_b32_e32 v37, 0, v21, vcc
	;; [unrolled: 4-line block ×3, first 2 shown]
	v_cmp_gt_u32_e32 vcc, s15, v39
	v_bitop3_b32 v44, v31, s17, v31 bitop3:0xc
	v_bitop3_b32 v31, v31, 1, v31 bitop3:0xc
	v_cndmask_b32_e64 v39, 0, -1, vcc
	v_cmp_eq_u32_e32 vcc, 0, v40
	v_lshrrev_b16_sdwa v26, v23, v26 dst_sel:DWORD dst_unused:UNUSED_PAD src0_sel:DWORD src1_sel:BYTE_3
	v_mul_lo_u32 v26, v26, s13
	v_cndmask_b32_e32 v40, 0, v20, vcc
	v_cmp_eq_u32_e32 vcc, 0, v41
	v_bitop3_b32 v50, v26, s14, v26 bitop3:0xc
	v_bitop3_b32 v51, v26, s16, v26 bitop3:0xc
	v_cndmask_b32_e32 v41, 0, v21, vcc
	v_cmp_eq_u32_e32 vcc, 0, v30
	v_bitop3_b32 v52, v26, s17, v26 bitop3:0xc
	v_bitop3_b32 v26, v26, 1, v26 bitop3:0xc
	v_cndmask_b32_e32 v30, 0, v22, vcc
	v_cmp_gt_u32_e32 vcc, s15, v42
	v_bitop3_b32 v55, v54, s14, v54 bitop3:0xc
	v_and_b32_e32 v38, 0xffff, v38
	v_cndmask_b32_e64 v42, 0, -1, vcc
	v_cmp_eq_u32_e32 vcc, 0, v43
	v_bitop3_b32 v56, v54, s16, v54 bitop3:0xc
	v_bitop3_b32 v57, v54, s17, v54 bitop3:0xc
	v_cndmask_b32_e32 v43, 0, v20, vcc
	v_cmp_eq_u32_e32 vcc, 0, v44
	v_mul_lo_u32 v38, v38, s13
	v_bitop3_b32 v54, v54, 1, v54 bitop3:0xc
	v_cndmask_b32_e32 v44, 0, v21, vcc
	v_cmp_eq_u32_e32 vcc, 0, v31
	v_bitop3_b32 v59, v38, s14, v38 bitop3:0xc
	v_bitop3_b32 v60, v38, s16, v38 bitop3:0xc
	v_cndmask_b32_e32 v31, 0, v22, vcc
	v_cmp_gt_u32_e32 vcc, s15, v46
	v_cmp_gt_u32_e64 s[0:1], s15, v59
	v_bitop3_b32 v61, v38, s17, v38 bitop3:0xc
	v_cndmask_b32_e64 v45, 0, -1, vcc
	v_cmp_eq_u32_e32 vcc, 0, v47
	v_bitop3_b32 v38, v38, 1, v38 bitop3:0xc
	v_cndmask_b32_e64 v59, 0, -1, s[0:1]
	v_cndmask_b32_e32 v46, 0, v20, vcc
	v_cmp_eq_u32_e32 vcc, 0, v48
	v_cmp_eq_u32_e64 s[0:1], 0, v60
	v_lshlrev_b32_e32 v32, 24, v32
	v_cndmask_b32_e32 v47, 0, v21, vcc
	v_cmp_eq_u32_e32 vcc, 0, v49
	v_cndmask_b32_e64 v60, 0, v20, s[0:1]
	v_cmp_eq_u32_e64 s[0:1], 0, v61
	v_cndmask_b32_e32 v48, 0, v22, vcc
	v_cmp_gt_u32_e32 vcc, s15, v50
	v_lshlrev_b32_e32 v35, 24, v35
	v_or3_b32 v58, v37, v29, v36
	v_cndmask_b32_e64 v49, 0, -1, vcc
	v_cmp_eq_u32_e32 vcc, 0, v51
	v_cndmask_b32_e64 v61, 0, v21, s[0:1]
	v_lshlrev_b32_e32 v39, 24, v39
	v_cndmask_b32_e32 v50, 0, v20, vcc
	v_cmp_eq_u32_e32 vcc, 0, v52
	v_or3_b32 v52, v34, v53, v33
	s_waitcnt vmcnt(3)
	v_bitop3_b32 v8, v52, v8, v32 bitop3:0x36
	v_cndmask_b32_e32 v51, 0, v21, vcc
	v_cmp_eq_u32_e32 vcc, 0, v26
	v_lshlrev_b32_e32 v52, 24, v59
	s_waitcnt vmcnt(2)
	v_bitop3_b32 v10, v58, v10, v35 bitop3:0x36
	v_cndmask_b32_e32 v26, 0, v22, vcc
	v_cmp_gt_u32_e32 vcc, s15, v55
	v_or3_b32 v58, v41, v30, v40
	v_lshlrev_b32_e32 v42, 24, v42
	v_cndmask_b32_e64 v55, 0, -1, vcc
	v_cmp_eq_u32_e32 vcc, 0, v56
	v_lshlrev_b32_e32 v55, 24, v55
	v_lshlrev_b32_e32 v45, 24, v45
	v_cndmask_b32_e32 v56, 0, v20, vcc
	v_cmp_eq_u32_e32 vcc, 0, v57
	s_waitcnt vmcnt(1)
	v_bitop3_b32 v58, v58, v12, v39 bitop3:0x36
	v_or3_b32 v12, v47, v48, v46
	v_cndmask_b32_e32 v57, 0, v21, vcc
	v_cmp_eq_u32_e32 vcc, 0, v54
	v_lshlrev_b32_e32 v49, 24, v49
	s_waitcnt vmcnt(0)
	v_bitop3_b32 v62, v12, v24, v45 bitop3:0x36
	v_cndmask_b32_e32 v54, 0, v22, vcc
	v_cmp_eq_u32_e32 vcc, 0, v38
	v_or3_b32 v38, v57, v54, v56
	v_bitop3_b32 v9, v38, v9, v55 bitop3:0x36
	v_cndmask_b32_e32 v38, 0, v22, vcc
	v_or3_b32 v59, v61, v38, v60
	v_bitop3_b32 v11, v59, v11, v52 bitop3:0x36
	v_or3_b32 v59, v44, v31, v43
	v_bitop3_b32 v59, v59, v13, v42 bitop3:0x36
	v_or3_b32 v13, v51, v26, v50
	v_lshrrev_b16_e32 v12, 4, v27
	v_and_b32_e32 v24, 15, v27
	v_bitop3_b32 v63, v13, v25, v49 bitop3:0x36
	v_cvt_f32_ubyte0_e32 v13, v12
	v_cvt_f32_ubyte0_e32 v12, v24
	v_mad_i64_i32 v[24:25], s[0:1], v19, 36, v[2:3]
	v_sub_u32_e32 v32, v8, v32
	v_sub_u32_e32 v33, v8, v33
	;; [unrolled: 1-line block ×16, first 2 shown]
	global_load_dwordx4 v[8:11], v[24:25], off
	v_sub_u32_e32 v39, v58, v39
	v_sub_u32_e32 v40, v58, v40
	;; [unrolled: 1-line block ×8, first 2 shown]
	global_load_dword v58, v[24:25], off offset:32
	v_sub_u32_e32 v59, v63, v26
	global_load_dwordx4 v[24:27], v[24:25], off offset:16
	v_sub_u32_e32 v45, v62, v45
	v_sub_u32_e32 v46, v62, v46
	;; [unrolled: 1-line block ×4, first 2 shown]
	v_perm_b32 v33, v33, v53, s18
	v_perm_b32 v29, v36, v29, s18
	v_and_b32_e32 v39, 0xff000000, v39
	v_and_b32_e32 v41, 0xff00, v41
	v_perm_b32 v30, v40, v30, s18
	v_and_b32_e32 v34, 0xff00, v34
	v_sub_u32_e32 v47, v62, v47
	v_mov_b32_e32 v53, 0
	v_perm_b32 v54, v56, v54, s18
	v_mov_b32_e32 v56, 0
	v_and_b32_e32 v40, 0xff000000, v42
	v_and_b32_e32 v42, 0xff00, v44
	v_perm_b32 v31, v43, v31, s18
	v_and_b32_e32 v43, 0xff000000, v45
	v_perm_b32 v45, v46, v48, s18
	v_and_b32_e32 v46, 0xff000000, v49
	v_and_b32_e32 v49, 0xff00, v57
	v_or3_b32 v30, v30, v39, v41
	v_sub_u32_e32 v50, v63, v50
	v_sub_u32_e32 v51, v63, v51
	v_and_b32_e32 v35, 0xff000000, v35
	v_and_b32_e32 v44, 0xff00, v47
	;; [unrolled: 1-line block ×3, first 2 shown]
	v_or3_b32 v31, v31, v40, v42
	v_and_b32_e32 v52, 0xff000000, v52
	v_perm_b32 v38, v60, v38, s18
	v_and_b32_e32 v47, 0xff00, v51
	v_perm_b32 v48, v50, v59, s18
	v_and_b32_e32 v50, 0xff00, v61
	v_or3_b32 v39, v45, v43, v44
	v_or3_b32 v29, v29, v35, v37
	;; [unrolled: 1-line block ×3, first 2 shown]
	v_cmp_le_u32_e32 vcc, s2, v16
	v_add_u32_e32 v19, 64, v19
	s_or_b64 s[10:11], vcc, s[10:11]
	s_waitcnt vmcnt(2)
	v_cvt_f32_f16_e32 v36, v8
	v_and_b32_e32 v8, 0xff000000, v32
	v_and_b32_e32 v32, 0xff000000, v55
	v_or3_b32 v8, v33, v8, v34
	v_or3_b32 v32, v54, v32, v49
	v_dot4c_i32_i8_e32 v56, v8, v9
	v_dot4c_i32_i8_e32 v56, v32, v10
	v_or3_b32 v33, v38, v52, v50
	v_dot4c_i32_i8_e32 v56, v29, v11
	v_pk_add_f32 v[10:11], v[12:13], 0.5 op_sel_hi:[1,0]
	v_mul_f32_e32 v12, v28, v36
	s_waitcnt vmcnt(0)
	v_dot4c_i32_i8_e32 v53, v30, v25
	v_dot4c_i32_i8_e32 v53, v31, v26
	;; [unrolled: 1-line block ×5, first 2 shown]
	v_mul_f32_e32 v12, 0x3e800000, v12
	s_nop 0
	v_cvt_f32_i32_e32 v9, v53
	v_cvt_f32_i32_e32 v8, v56
	v_pk_mul_f32 v[8:9], v[10:11], v[8:9]
	s_nop 0
	v_add_f32_e32 v8, v8, v9
	v_fmac_f32_e32 v18, v12, v8
	s_andn2_b64 exec, exec, s[10:11]
	s_cbranch_execnz .LBB114_3
; %bb.4:
	s_or_b64 exec, exec, s[10:11]
.LBB114_5:
	s_or_b64 exec, exec, s[8:9]
	v_mbcnt_lo_u32_b32 v0, -1, 0
	v_mbcnt_hi_u32_b32 v1, -1, v0
	v_and_b32_e32 v0, 64, v1
	v_add_u32_e32 v2, 64, v0
	v_xor_b32_e32 v0, 32, v1
	v_cmp_lt_i32_e32 vcc, v0, v2
	v_xor_b32_e32 v3, 16, v1
	v_xor_b32_e32 v4, 8, v1
	v_cndmask_b32_e32 v0, v1, v0, vcc
	v_lshlrev_b32_e32 v0, 2, v0
	ds_bpermute_b32 v0, v0, v18
	v_cmp_lt_i32_e32 vcc, v3, v2
	s_waitcnt lgkmcnt(0)
	v_add_f32_e32 v0, v18, v0
	v_cndmask_b32_e32 v3, v1, v3, vcc
	v_lshlrev_b32_e32 v3, 2, v3
	ds_bpermute_b32 v3, v3, v0
	v_cmp_lt_i32_e32 vcc, v4, v2
	s_waitcnt lgkmcnt(0)
	v_add_f32_e32 v0, v0, v3
	v_cndmask_b32_e32 v3, v1, v4, vcc
	v_lshlrev_b32_e32 v3, 2, v3
	ds_bpermute_b32 v3, v3, v0
	v_xor_b32_e32 v4, 4, v1
	v_cmp_lt_i32_e32 vcc, v4, v2
	s_waitcnt lgkmcnt(0)
	v_add_f32_e32 v0, v0, v3
	v_cndmask_b32_e32 v3, v1, v4, vcc
	v_lshlrev_b32_e32 v3, 2, v3
	ds_bpermute_b32 v3, v3, v0
	v_xor_b32_e32 v4, 2, v1
	;; [unrolled: 7-line block ×3, first 2 shown]
	v_cmp_lt_i32_e32 vcc, v4, v2
	s_waitcnt lgkmcnt(0)
	v_add_f32_e32 v0, v0, v3
	v_cndmask_b32_e32 v1, v1, v4, vcc
	v_lshlrev_b32_e32 v1, 2, v1
	ds_bpermute_b32 v1, v1, v0
	v_cmp_eq_u32_e32 vcc, 0, v15
	s_and_b64 exec, exec, vcc
	s_cbranch_execz .LBB114_7
; %bb.6:
	s_waitcnt lgkmcnt(0)
	v_add_f32_e32 v0, v0, v1
	v_bfe_u32 v1, v0, 16, 1
	s_movk_i32 s0, 0x7fff
	v_add3_u32 v1, v0, v1, s0
	v_cmp_o_f32_e32 vcc, v0, v0
	v_mov_b32_e32 v0, 0x7fc0
	s_mul_i32 s0, s5, s3
	v_cndmask_b32_sdwa v2, v0, v1, vcc dst_sel:DWORD dst_unused:UNUSED_PAD src0_sel:DWORD src1_sel:WORD_1
	v_add_u32_e32 v0, s0, v14
	v_mov_b32_e32 v1, 0
	v_lshl_add_u64 v[0:1], v[0:1], 1, s[6:7]
	global_store_short v[0:1], v2, off
.LBB114_7:
	s_endpgm
	.section	.rodata,"a",@progbits
	.p2align	6, 0x0
	.amdhsa_kernel _ZL13mul_mat_vec_qIN3c108BFloat16ELi256ELi8E11block_iq2_sLi1EXadL_ZL18vec_dot_iq2_s_q8_1PKvPK10block_q8_1RKiEEEvS4_S4_PT_iii
		.amdhsa_group_segment_fixed_size 0
		.amdhsa_private_segment_fixed_size 0
		.amdhsa_kernarg_size 296
		.amdhsa_user_sgpr_count 2
		.amdhsa_user_sgpr_dispatch_ptr 0
		.amdhsa_user_sgpr_queue_ptr 0
		.amdhsa_user_sgpr_kernarg_segment_ptr 1
		.amdhsa_user_sgpr_dispatch_id 0
		.amdhsa_user_sgpr_kernarg_preload_length 0
		.amdhsa_user_sgpr_kernarg_preload_offset 0
		.amdhsa_user_sgpr_private_segment_size 0
		.amdhsa_uses_dynamic_stack 0
		.amdhsa_enable_private_segment 0
		.amdhsa_system_sgpr_workgroup_id_x 1
		.amdhsa_system_sgpr_workgroup_id_y 1
		.amdhsa_system_sgpr_workgroup_id_z 0
		.amdhsa_system_sgpr_workgroup_info 0
		.amdhsa_system_vgpr_workitem_id 1
		.amdhsa_next_free_vgpr 64
		.amdhsa_next_free_sgpr 22
		.amdhsa_accum_offset 64
		.amdhsa_reserve_vcc 1
		.amdhsa_float_round_mode_32 0
		.amdhsa_float_round_mode_16_64 0
		.amdhsa_float_denorm_mode_32 3
		.amdhsa_float_denorm_mode_16_64 3
		.amdhsa_dx10_clamp 1
		.amdhsa_ieee_mode 1
		.amdhsa_fp16_overflow 0
		.amdhsa_tg_split 0
		.amdhsa_exception_fp_ieee_invalid_op 0
		.amdhsa_exception_fp_denorm_src 0
		.amdhsa_exception_fp_ieee_div_zero 0
		.amdhsa_exception_fp_ieee_overflow 0
		.amdhsa_exception_fp_ieee_underflow 0
		.amdhsa_exception_fp_ieee_inexact 0
		.amdhsa_exception_int_div_zero 0
	.end_amdhsa_kernel
	.section	.text._ZL13mul_mat_vec_qIN3c108BFloat16ELi256ELi8E11block_iq2_sLi1EXadL_ZL18vec_dot_iq2_s_q8_1PKvPK10block_q8_1RKiEEEvS4_S4_PT_iii,"axG",@progbits,_ZL13mul_mat_vec_qIN3c108BFloat16ELi256ELi8E11block_iq2_sLi1EXadL_ZL18vec_dot_iq2_s_q8_1PKvPK10block_q8_1RKiEEEvS4_S4_PT_iii,comdat
.Lfunc_end114:
	.size	_ZL13mul_mat_vec_qIN3c108BFloat16ELi256ELi8E11block_iq2_sLi1EXadL_ZL18vec_dot_iq2_s_q8_1PKvPK10block_q8_1RKiEEEvS4_S4_PT_iii, .Lfunc_end114-_ZL13mul_mat_vec_qIN3c108BFloat16ELi256ELi8E11block_iq2_sLi1EXadL_ZL18vec_dot_iq2_s_q8_1PKvPK10block_q8_1RKiEEEvS4_S4_PT_iii
                                        ; -- End function
	.set _ZL13mul_mat_vec_qIN3c108BFloat16ELi256ELi8E11block_iq2_sLi1EXadL_ZL18vec_dot_iq2_s_q8_1PKvPK10block_q8_1RKiEEEvS4_S4_PT_iii.num_vgpr, 64
	.set _ZL13mul_mat_vec_qIN3c108BFloat16ELi256ELi8E11block_iq2_sLi1EXadL_ZL18vec_dot_iq2_s_q8_1PKvPK10block_q8_1RKiEEEvS4_S4_PT_iii.num_agpr, 0
	.set _ZL13mul_mat_vec_qIN3c108BFloat16ELi256ELi8E11block_iq2_sLi1EXadL_ZL18vec_dot_iq2_s_q8_1PKvPK10block_q8_1RKiEEEvS4_S4_PT_iii.numbered_sgpr, 22
	.set _ZL13mul_mat_vec_qIN3c108BFloat16ELi256ELi8E11block_iq2_sLi1EXadL_ZL18vec_dot_iq2_s_q8_1PKvPK10block_q8_1RKiEEEvS4_S4_PT_iii.num_named_barrier, 0
	.set _ZL13mul_mat_vec_qIN3c108BFloat16ELi256ELi8E11block_iq2_sLi1EXadL_ZL18vec_dot_iq2_s_q8_1PKvPK10block_q8_1RKiEEEvS4_S4_PT_iii.private_seg_size, 0
	.set _ZL13mul_mat_vec_qIN3c108BFloat16ELi256ELi8E11block_iq2_sLi1EXadL_ZL18vec_dot_iq2_s_q8_1PKvPK10block_q8_1RKiEEEvS4_S4_PT_iii.uses_vcc, 1
	.set _ZL13mul_mat_vec_qIN3c108BFloat16ELi256ELi8E11block_iq2_sLi1EXadL_ZL18vec_dot_iq2_s_q8_1PKvPK10block_q8_1RKiEEEvS4_S4_PT_iii.uses_flat_scratch, 0
	.set _ZL13mul_mat_vec_qIN3c108BFloat16ELi256ELi8E11block_iq2_sLi1EXadL_ZL18vec_dot_iq2_s_q8_1PKvPK10block_q8_1RKiEEEvS4_S4_PT_iii.has_dyn_sized_stack, 0
	.set _ZL13mul_mat_vec_qIN3c108BFloat16ELi256ELi8E11block_iq2_sLi1EXadL_ZL18vec_dot_iq2_s_q8_1PKvPK10block_q8_1RKiEEEvS4_S4_PT_iii.has_recursion, 0
	.set _ZL13mul_mat_vec_qIN3c108BFloat16ELi256ELi8E11block_iq2_sLi1EXadL_ZL18vec_dot_iq2_s_q8_1PKvPK10block_q8_1RKiEEEvS4_S4_PT_iii.has_indirect_call, 0
	.section	.AMDGPU.csdata,"",@progbits
; Kernel info:
; codeLenInByte = 2280
; TotalNumSgprs: 28
; NumVgprs: 64
; NumAgprs: 0
; TotalNumVgprs: 64
; ScratchSize: 0
; MemoryBound: 0
; FloatMode: 240
; IeeeMode: 1
; LDSByteSize: 0 bytes/workgroup (compile time only)
; SGPRBlocks: 3
; VGPRBlocks: 7
; NumSGPRsForWavesPerEU: 28
; NumVGPRsForWavesPerEU: 64
; AccumOffset: 64
; Occupancy: 8
; WaveLimiterHint : 0
; COMPUTE_PGM_RSRC2:SCRATCH_EN: 0
; COMPUTE_PGM_RSRC2:USER_SGPR: 2
; COMPUTE_PGM_RSRC2:TRAP_HANDLER: 0
; COMPUTE_PGM_RSRC2:TGID_X_EN: 1
; COMPUTE_PGM_RSRC2:TGID_Y_EN: 1
; COMPUTE_PGM_RSRC2:TGID_Z_EN: 0
; COMPUTE_PGM_RSRC2:TIDIG_COMP_CNT: 1
; COMPUTE_PGM_RSRC3_GFX90A:ACCUM_OFFSET: 15
; COMPUTE_PGM_RSRC3_GFX90A:TG_SPLIT: 0
	.section	.text._ZL13mul_mat_vec_qIN3c108BFloat16ELi256ELi8E12block_iq4_xsLi1EXadL_ZL19vec_dot_iq4_xs_q8_1PKvPK10block_q8_1RKiEEEvS4_S4_PT_iii,"axG",@progbits,_ZL13mul_mat_vec_qIN3c108BFloat16ELi256ELi8E12block_iq4_xsLi1EXadL_ZL19vec_dot_iq4_xs_q8_1PKvPK10block_q8_1RKiEEEvS4_S4_PT_iii,comdat
	.globl	_ZL13mul_mat_vec_qIN3c108BFloat16ELi256ELi8E12block_iq4_xsLi1EXadL_ZL19vec_dot_iq4_xs_q8_1PKvPK10block_q8_1RKiEEEvS4_S4_PT_iii ; -- Begin function _ZL13mul_mat_vec_qIN3c108BFloat16ELi256ELi8E12block_iq4_xsLi1EXadL_ZL19vec_dot_iq4_xs_q8_1PKvPK10block_q8_1RKiEEEvS4_S4_PT_iii
	.p2align	8
	.type	_ZL13mul_mat_vec_qIN3c108BFloat16ELi256ELi8E12block_iq4_xsLi1EXadL_ZL19vec_dot_iq4_xs_q8_1PKvPK10block_q8_1RKiEEEvS4_S4_PT_iii,@function
_ZL13mul_mat_vec_qIN3c108BFloat16ELi256ELi8E12block_iq4_xsLi1EXadL_ZL19vec_dot_iq4_xs_q8_1PKvPK10block_q8_1RKiEEEvS4_S4_PT_iii: ; @_ZL13mul_mat_vec_qIN3c108BFloat16ELi256ELi8E12block_iq4_xsLi1EXadL_ZL19vec_dot_iq4_xs_q8_1PKvPK10block_q8_1RKiEEEvS4_S4_PT_iii
; %bb.0:
	s_load_dword s8, s[0:1], 0x34
	s_load_dwordx4 s[4:7], s[0:1], 0x18
	v_bfe_u32 v1, v0, 10, 10
	s_waitcnt lgkmcnt(0)
	s_lshr_b32 s7, s8, 16
	s_mul_i32 s2, s2, s7
	v_add_u32_e32 v18, s2, v1
	s_cmp_lt_u32 s3, s6
	v_cmp_gt_u32_e32 vcc, s5, v18
	s_cselect_b64 s[6:7], -1, 0
	s_and_b64 s[6:7], s[6:7], vcc
	s_and_saveexec_b64 s[8:9], s[6:7]
	s_cbranch_execz .LBB115_7
; %bb.1:
	s_load_dwordx2 s[6:7], s[0:1], 0x10
	s_ashr_i32 s2, s4, 31
	s_lshr_b32 s2, s2, 24
	s_add_i32 s2, s4, s2
	s_ashr_i32 s2, s2, 8
	v_bfe_u32 v20, v0, 3, 7
	v_and_b32_e32 v19, 0x3ff, v0
	v_cmp_gt_u32_e32 vcc, s2, v20
	v_mov_b32_e32 v21, 0
	s_and_saveexec_b64 s[8:9], vcc
	s_cbranch_execz .LBB115_5
; %bb.2:
	s_load_dwordx4 s[12:15], s[0:1], 0x0
	s_add_i32 s0, s4, 0x1ff
	s_ashr_i32 s1, s0, 31
	s_lshr_b32 s1, s1, 23
	s_add_i32 s0, s0, s1
	s_ashr_i32 s0, s0, 9
	v_and_b32_e32 v1, 7, v19
	s_mul_i32 s4, s3, s0
	s_waitcnt lgkmcnt(0)
	v_mad_u64_u32 v[8:9], s[0:1], v1, 36, s[14:15]
	v_lshlrev_b32_e32 v0, 2, v1
	v_mov_b32_e32 v11, 0
	v_lshlrev_b32_e32 v2, 2, v19
	v_lshlrev_b32_e32 v24, 1, v1
	;; [unrolled: 1-line block ×3, first 2 shown]
	v_mul_lo_u32 v22, v18, s2
	v_bfe_u32 v10, v19, 1, 2
	v_and_b32_e32 v23, 4, v2
	v_lshl_add_u32 v25, s4, 4, v1
	s_mov_b64 s[0:1], 0
	s_movk_i32 s4, 0x88
	v_mov_b64_e32 v[12:13], s[12:13]
	v_lshlrev_b32_e32 v14, 2, v0
	v_mov_b32_e32 v15, v11
	v_mov_b32_e32 v21, v11
.LBB115_3:                              ; =>This Inner Loop Header: Depth=1
	v_add_u32_e32 v0, v22, v20
	v_mad_i64_i32 v[26:27], s[12:13], v0, s4, v[12:13]
	v_lshl_add_u64 v[28:29], v[26:27], 0, v[14:15]
	v_mad_i64_i32 v[16:17], s[10:11], v25, 36, v[8:9]
	v_lshl_add_u64 v[30:31], v[26:27], 0, v[10:11]
	global_load_dwordx4 v[4:7], v[28:29], off offset:8
	global_load_ubyte v32, v[30:31], off offset:4
	global_load_dwordx4 v[0:3], v[16:17], off
	s_getpc_b64 s[10:11]
	s_add_u32 s10, s10, _ZL13kvalues_iq4nl@rel32@lo+4
	s_addc_u32 s11, s11, _ZL13kvalues_iq4nl@rel32@hi+12
	v_add_u32_e32 v20, 8, v20
	v_cmp_le_u32_e32 vcc, s2, v20
	v_add_u32_e32 v25, 64, v25
	s_or_b64 s[0:1], vcc, s[0:1]
	s_waitcnt vmcnt(2)
	v_bfe_u32 v28, v4, 24, 4
	v_and_b32_e32 v29, 15, v4
	v_bfe_u32 v30, v4, 8, 4
	v_bfe_u32 v31, v4, 16, 4
	v_bfe_u32 v33, v4, 20, 4
	v_lshrrev_b32_e32 v34, 28, v4
	v_bfe_u32 v35, v4, 4, 4
	v_bfe_u32 v36, v4, 12, 4
	v_bfe_u32 v37, v5, 24, 4
	v_and_b32_e32 v38, 15, v5
	v_bfe_u32 v39, v5, 8, 4
	v_bfe_u32 v40, v5, 16, 4
	v_bfe_u32 v41, v5, 20, 4
	v_lshrrev_b32_e32 v42, 28, v5
	v_bfe_u32 v43, v5, 4, 4
	v_bfe_u32 v44, v5, 12, 4
	;; [unrolled: 8-line block ×3, first 2 shown]
	v_bfe_u32 v53, v7, 24, 4
	v_bfe_u32 v55, v7, 8, 4
	;; [unrolled: 1-line block ×4, first 2 shown]
	v_lshrrev_b32_e32 v58, 28, v7
	v_and_b32_e32 v54, 15, v7
	v_bfe_u32 v59, v7, 4, 4
	v_bfe_u32 v60, v7, 12, 4
	global_load_dwordx4 v[4:7], v[16:17], off offset:16
	global_load_dword v61, v[26:27], off
	global_load_ubyte v62, v29, s[10:11]
	global_load_ubyte v63, v30, s[10:11]
                                        ; kill: killed $vgpr26_vgpr27
                                        ; kill: killed $vgpr29
                                        ; kill: killed $vgpr30
	s_nop 0
	global_load_ubyte v26, v31, s[10:11]
	global_load_ubyte v27, v35, s[10:11]
	;; [unrolled: 1-line block ×4, first 2 shown]
                                        ; kill: killed $vgpr33
                                        ; kill: killed $vgpr36
                                        ; kill: killed $vgpr31
                                        ; kill: killed $vgpr35
	s_nop 0
	global_load_ubyte v31, v34, s[10:11]
	global_load_ubyte v33, v28, s[10:11]
	;; [unrolled: 1-line block ×4, first 2 shown]
                                        ; kill: killed $vgpr34
                                        ; kill: killed $vgpr39
                                        ; kill: killed $vgpr38
                                        ; kill: killed $vgpr28
	s_nop 0
	global_load_ubyte v28, v40, s[10:11]
	global_load_ubyte v34, v43, s[10:11]
	;; [unrolled: 1-line block ×4, first 2 shown]
                                        ; kill: killed $vgpr41
                                        ; kill: killed $vgpr40
                                        ; kill: killed $vgpr44
                                        ; kill: killed $vgpr43
	s_nop 0
	global_load_ubyte v40, v42, s[10:11]
	global_load_ubyte v41, v37, s[10:11]
	;; [unrolled: 1-line block ×4, first 2 shown]
                                        ; kill: killed $vgpr37
                                        ; kill: killed $vgpr47
                                        ; kill: killed $vgpr46
                                        ; kill: killed $vgpr42
	s_nop 0
	global_load_ubyte v37, v48, s[10:11]
	global_load_ubyte v42, v51, s[10:11]
	;; [unrolled: 1-line block ×4, first 2 shown]
                                        ; kill: killed $vgpr49
                                        ; kill: killed $vgpr48
                                        ; kill: killed $vgpr52
                                        ; kill: killed $vgpr51
	s_nop 0
	global_load_ubyte v48, v50, s[10:11]
	global_load_ubyte v49, v45, s[10:11]
	;; [unrolled: 1-line block ×4, first 2 shown]
                                        ; kill: killed $vgpr45
                                        ; kill: killed $vgpr56
                                        ; kill: killed $vgpr55
                                        ; kill: killed $vgpr50
	s_nop 0
	global_load_ubyte v45, v60, s[10:11]
	global_load_ubyte v50, v57, s[10:11]
	;; [unrolled: 1-line block ×4, first 2 shown]
                                        ; kill: killed $vgpr53
                                        ; kill: killed $vgpr57
                                        ; kill: killed $vgpr58
                                        ; kill: killed $vgpr60
	s_nop 0
	global_load_ubyte v53, v54, s[10:11]
	global_load_ubyte v57, v59, s[10:11]
	global_load_dword v58, v[16:17], off offset:32
	v_mov_b32_e32 v16, 0
	v_mov_b32_e32 v17, 0
	s_waitcnt vmcnt(36)
	v_bfe_u32 v32, v32, v23, 4
	s_waitcnt vmcnt(35)
	v_cvt_f32_f16_e32 v0, v0
	s_waitcnt vmcnt(33)
	v_lshrrev_b32_sdwa v54, v24, v61 dst_sel:DWORD dst_unused:UNUSED_PAD src0_sel:DWORD src1_sel:WORD_1
	v_lshlrev_b32_e32 v54, 4, v54
	s_waitcnt vmcnt(31)
	v_lshl_or_b32 v59, v63, 8, v62
	v_and_or_b32 v32, v54, 48, v32
	v_subrev_u32_e32 v32, 32, v32
	v_cvt_f32_f16_e32 v54, v61
	s_waitcnt vmcnt(30)
	v_lshlrev_b32_e32 v26, 16, v26
	v_cvt_f32_i32_e32 v32, v32
	s_waitcnt vmcnt(28)
	v_lshl_or_b32 v27, v29, 8, v27
	s_waitcnt vmcnt(27)
	v_lshlrev_b32_e32 v30, 16, v30
	s_waitcnt vmcnt(26)
	v_lshlrev_b32_e32 v31, 24, v31
	;; [unrolled: 2-line block ×3, first 2 shown]
	v_or3_b32 v26, v59, v26, v33
	s_waitcnt vmcnt(23)
	v_lshl_or_b32 v35, v36, 8, v35
	v_or3_b32 v27, v27, v30, v31
	v_dot4c_i32_i8_e32 v16, v26, v1
	v_dot4c_i32_i8_e32 v17, v27, v5
	s_waitcnt vmcnt(22)
	v_lshlrev_b32_e32 v28, 16, v28
	s_waitcnt vmcnt(20)
	v_lshl_or_b32 v34, v38, 8, v34
	s_waitcnt vmcnt(19)
	v_lshlrev_b32_e32 v39, 16, v39
	s_waitcnt vmcnt(18)
	v_lshlrev_b32_e32 v36, 24, v40
	;; [unrolled: 2-line block ×3, first 2 shown]
	v_or3_b32 v28, v35, v28, v29
	s_waitcnt vmcnt(15)
	v_lshl_or_b32 v40, v44, 8, v43
	v_or3_b32 v29, v34, v39, v36
	v_dot4c_i32_i8_e32 v16, v28, v2
	v_dot4c_i32_i8_e32 v17, v29, v6
	v_mul_f32_e32 v2, v54, v32
	s_waitcnt vmcnt(14)
	v_lshlrev_b32_e32 v37, 16, v37
	v_mul_f32_e32 v0, v2, v0
	s_waitcnt vmcnt(12)
	v_lshl_or_b32 v42, v46, 8, v42
	s_waitcnt vmcnt(11)
	v_lshlrev_b32_e32 v43, 16, v47
	s_waitcnt vmcnt(10)
	v_lshlrev_b32_e32 v41, 24, v48
	;; [unrolled: 2-line block ×3, first 2 shown]
	v_or3_b32 v30, v40, v37, v38
	s_waitcnt vmcnt(7)
	v_lshlrev_b32_e32 v46, 16, v52
	v_or3_b32 v31, v42, v43, v41
	v_dot4c_i32_i8_e32 v16, v30, v3
	v_dot4c_i32_i8_e32 v17, v31, v7
	s_waitcnt vmcnt(5)
	v_lshlrev_b32_e32 v49, 16, v50
	s_waitcnt vmcnt(4)
	v_lshlrev_b32_e32 v48, 24, v55
	;; [unrolled: 2-line block ×3, first 2 shown]
	s_waitcnt vmcnt(2)
	v_lshl_or_b32 v47, v51, 8, v53
	s_waitcnt vmcnt(1)
	v_lshl_or_b32 v45, v45, 8, v57
	v_or3_b32 v33, v47, v46, v44
	v_or3_b32 v34, v45, v49, v48
	v_dot4c_i32_i8_e32 v16, v33, v4
	s_waitcnt vmcnt(0)
	v_dot4c_i32_i8_e32 v17, v34, v58
	s_nop 2
	v_add_u32_e32 v1, v17, v16
	v_cvt_f32_i32_e32 v1, v1
	v_fmac_f32_e32 v21, v0, v1
	s_andn2_b64 exec, exec, s[0:1]
	s_cbranch_execnz .LBB115_3
; %bb.4:
	s_or_b64 exec, exec, s[0:1]
.LBB115_5:
	s_or_b64 exec, exec, s[8:9]
	v_mbcnt_lo_u32_b32 v0, -1, 0
	v_mbcnt_hi_u32_b32 v1, -1, v0
	v_and_b32_e32 v0, 64, v1
	v_add_u32_e32 v2, 64, v0
	v_xor_b32_e32 v0, 32, v1
	v_cmp_lt_i32_e32 vcc, v0, v2
	v_xor_b32_e32 v3, 16, v1
	v_xor_b32_e32 v4, 8, v1
	v_cndmask_b32_e32 v0, v1, v0, vcc
	v_lshlrev_b32_e32 v0, 2, v0
	ds_bpermute_b32 v0, v0, v21
	v_cmp_lt_i32_e32 vcc, v3, v2
	s_waitcnt lgkmcnt(0)
	v_add_f32_e32 v0, v21, v0
	v_cndmask_b32_e32 v3, v1, v3, vcc
	v_lshlrev_b32_e32 v3, 2, v3
	ds_bpermute_b32 v3, v3, v0
	v_cmp_lt_i32_e32 vcc, v4, v2
	s_waitcnt lgkmcnt(0)
	v_add_f32_e32 v0, v0, v3
	v_cndmask_b32_e32 v3, v1, v4, vcc
	v_lshlrev_b32_e32 v3, 2, v3
	ds_bpermute_b32 v3, v3, v0
	v_xor_b32_e32 v4, 4, v1
	v_cmp_lt_i32_e32 vcc, v4, v2
	s_waitcnt lgkmcnt(0)
	v_add_f32_e32 v0, v0, v3
	v_cndmask_b32_e32 v3, v1, v4, vcc
	v_lshlrev_b32_e32 v3, 2, v3
	ds_bpermute_b32 v3, v3, v0
	v_xor_b32_e32 v4, 2, v1
	;; [unrolled: 7-line block ×3, first 2 shown]
	v_cmp_lt_i32_e32 vcc, v4, v2
	s_waitcnt lgkmcnt(0)
	v_add_f32_e32 v0, v0, v3
	v_cndmask_b32_e32 v1, v1, v4, vcc
	v_lshlrev_b32_e32 v1, 2, v1
	ds_bpermute_b32 v1, v1, v0
	v_cmp_eq_u32_e32 vcc, 0, v19
	s_and_b64 exec, exec, vcc
	s_cbranch_execz .LBB115_7
; %bb.6:
	s_waitcnt lgkmcnt(0)
	v_add_f32_e32 v0, v0, v1
	v_bfe_u32 v1, v0, 16, 1
	s_movk_i32 s0, 0x7fff
	v_add3_u32 v1, v0, v1, s0
	v_cmp_o_f32_e32 vcc, v0, v0
	v_mov_b32_e32 v0, 0x7fc0
	s_mul_i32 s0, s5, s3
	v_cndmask_b32_sdwa v2, v0, v1, vcc dst_sel:DWORD dst_unused:UNUSED_PAD src0_sel:DWORD src1_sel:WORD_1
	v_add_u32_e32 v0, s0, v18
	v_mov_b32_e32 v1, 0
	v_lshl_add_u64 v[0:1], v[0:1], 1, s[6:7]
	global_store_short v[0:1], v2, off
.LBB115_7:
	s_endpgm
	.section	.rodata,"a",@progbits
	.p2align	6, 0x0
	.amdhsa_kernel _ZL13mul_mat_vec_qIN3c108BFloat16ELi256ELi8E12block_iq4_xsLi1EXadL_ZL19vec_dot_iq4_xs_q8_1PKvPK10block_q8_1RKiEEEvS4_S4_PT_iii
		.amdhsa_group_segment_fixed_size 0
		.amdhsa_private_segment_fixed_size 0
		.amdhsa_kernarg_size 296
		.amdhsa_user_sgpr_count 2
		.amdhsa_user_sgpr_dispatch_ptr 0
		.amdhsa_user_sgpr_queue_ptr 0
		.amdhsa_user_sgpr_kernarg_segment_ptr 1
		.amdhsa_user_sgpr_dispatch_id 0
		.amdhsa_user_sgpr_kernarg_preload_length 0
		.amdhsa_user_sgpr_kernarg_preload_offset 0
		.amdhsa_user_sgpr_private_segment_size 0
		.amdhsa_uses_dynamic_stack 0
		.amdhsa_enable_private_segment 0
		.amdhsa_system_sgpr_workgroup_id_x 1
		.amdhsa_system_sgpr_workgroup_id_y 1
		.amdhsa_system_sgpr_workgroup_id_z 0
		.amdhsa_system_sgpr_workgroup_info 0
		.amdhsa_system_vgpr_workitem_id 1
		.amdhsa_next_free_vgpr 64
		.amdhsa_next_free_sgpr 16
		.amdhsa_accum_offset 64
		.amdhsa_reserve_vcc 1
		.amdhsa_float_round_mode_32 0
		.amdhsa_float_round_mode_16_64 0
		.amdhsa_float_denorm_mode_32 3
		.amdhsa_float_denorm_mode_16_64 3
		.amdhsa_dx10_clamp 1
		.amdhsa_ieee_mode 1
		.amdhsa_fp16_overflow 0
		.amdhsa_tg_split 0
		.amdhsa_exception_fp_ieee_invalid_op 0
		.amdhsa_exception_fp_denorm_src 0
		.amdhsa_exception_fp_ieee_div_zero 0
		.amdhsa_exception_fp_ieee_overflow 0
		.amdhsa_exception_fp_ieee_underflow 0
		.amdhsa_exception_fp_ieee_inexact 0
		.amdhsa_exception_int_div_zero 0
	.end_amdhsa_kernel
	.section	.text._ZL13mul_mat_vec_qIN3c108BFloat16ELi256ELi8E12block_iq4_xsLi1EXadL_ZL19vec_dot_iq4_xs_q8_1PKvPK10block_q8_1RKiEEEvS4_S4_PT_iii,"axG",@progbits,_ZL13mul_mat_vec_qIN3c108BFloat16ELi256ELi8E12block_iq4_xsLi1EXadL_ZL19vec_dot_iq4_xs_q8_1PKvPK10block_q8_1RKiEEEvS4_S4_PT_iii,comdat
.Lfunc_end115:
	.size	_ZL13mul_mat_vec_qIN3c108BFloat16ELi256ELi8E12block_iq4_xsLi1EXadL_ZL19vec_dot_iq4_xs_q8_1PKvPK10block_q8_1RKiEEEvS4_S4_PT_iii, .Lfunc_end115-_ZL13mul_mat_vec_qIN3c108BFloat16ELi256ELi8E12block_iq4_xsLi1EXadL_ZL19vec_dot_iq4_xs_q8_1PKvPK10block_q8_1RKiEEEvS4_S4_PT_iii
                                        ; -- End function
	.set _ZL13mul_mat_vec_qIN3c108BFloat16ELi256ELi8E12block_iq4_xsLi1EXadL_ZL19vec_dot_iq4_xs_q8_1PKvPK10block_q8_1RKiEEEvS4_S4_PT_iii.num_vgpr, 64
	.set _ZL13mul_mat_vec_qIN3c108BFloat16ELi256ELi8E12block_iq4_xsLi1EXadL_ZL19vec_dot_iq4_xs_q8_1PKvPK10block_q8_1RKiEEEvS4_S4_PT_iii.num_agpr, 0
	.set _ZL13mul_mat_vec_qIN3c108BFloat16ELi256ELi8E12block_iq4_xsLi1EXadL_ZL19vec_dot_iq4_xs_q8_1PKvPK10block_q8_1RKiEEEvS4_S4_PT_iii.numbered_sgpr, 16
	.set _ZL13mul_mat_vec_qIN3c108BFloat16ELi256ELi8E12block_iq4_xsLi1EXadL_ZL19vec_dot_iq4_xs_q8_1PKvPK10block_q8_1RKiEEEvS4_S4_PT_iii.num_named_barrier, 0
	.set _ZL13mul_mat_vec_qIN3c108BFloat16ELi256ELi8E12block_iq4_xsLi1EXadL_ZL19vec_dot_iq4_xs_q8_1PKvPK10block_q8_1RKiEEEvS4_S4_PT_iii.private_seg_size, 0
	.set _ZL13mul_mat_vec_qIN3c108BFloat16ELi256ELi8E12block_iq4_xsLi1EXadL_ZL19vec_dot_iq4_xs_q8_1PKvPK10block_q8_1RKiEEEvS4_S4_PT_iii.uses_vcc, 1
	.set _ZL13mul_mat_vec_qIN3c108BFloat16ELi256ELi8E12block_iq4_xsLi1EXadL_ZL19vec_dot_iq4_xs_q8_1PKvPK10block_q8_1RKiEEEvS4_S4_PT_iii.uses_flat_scratch, 0
	.set _ZL13mul_mat_vec_qIN3c108BFloat16ELi256ELi8E12block_iq4_xsLi1EXadL_ZL19vec_dot_iq4_xs_q8_1PKvPK10block_q8_1RKiEEEvS4_S4_PT_iii.has_dyn_sized_stack, 0
	.set _ZL13mul_mat_vec_qIN3c108BFloat16ELi256ELi8E12block_iq4_xsLi1EXadL_ZL19vec_dot_iq4_xs_q8_1PKvPK10block_q8_1RKiEEEvS4_S4_PT_iii.has_recursion, 0
	.set _ZL13mul_mat_vec_qIN3c108BFloat16ELi256ELi8E12block_iq4_xsLi1EXadL_ZL19vec_dot_iq4_xs_q8_1PKvPK10block_q8_1RKiEEEvS4_S4_PT_iii.has_indirect_call, 0
	.section	.AMDGPU.csdata,"",@progbits
; Kernel info:
; codeLenInByte = 1608
; TotalNumSgprs: 22
; NumVgprs: 64
; NumAgprs: 0
; TotalNumVgprs: 64
; ScratchSize: 0
; MemoryBound: 0
; FloatMode: 240
; IeeeMode: 1
; LDSByteSize: 0 bytes/workgroup (compile time only)
; SGPRBlocks: 2
; VGPRBlocks: 7
; NumSGPRsForWavesPerEU: 22
; NumVGPRsForWavesPerEU: 64
; AccumOffset: 64
; Occupancy: 8
; WaveLimiterHint : 0
; COMPUTE_PGM_RSRC2:SCRATCH_EN: 0
; COMPUTE_PGM_RSRC2:USER_SGPR: 2
; COMPUTE_PGM_RSRC2:TRAP_HANDLER: 0
; COMPUTE_PGM_RSRC2:TGID_X_EN: 1
; COMPUTE_PGM_RSRC2:TGID_Y_EN: 1
; COMPUTE_PGM_RSRC2:TGID_Z_EN: 0
; COMPUTE_PGM_RSRC2:TIDIG_COMP_CNT: 1
; COMPUTE_PGM_RSRC3_GFX90A:ACCUM_OFFSET: 15
; COMPUTE_PGM_RSRC3_GFX90A:TG_SPLIT: 0
	.section	.text._ZL13mul_mat_vec_qIN3c108BFloat16ELi256ELi8E11block_iq1_mLi1EXadL_ZL18vec_dot_iq1_m_q8_1PKvPK10block_q8_1RKiEEEvS4_S4_PT_iii,"axG",@progbits,_ZL13mul_mat_vec_qIN3c108BFloat16ELi256ELi8E11block_iq1_mLi1EXadL_ZL18vec_dot_iq1_m_q8_1PKvPK10block_q8_1RKiEEEvS4_S4_PT_iii,comdat
	.globl	_ZL13mul_mat_vec_qIN3c108BFloat16ELi256ELi8E11block_iq1_mLi1EXadL_ZL18vec_dot_iq1_m_q8_1PKvPK10block_q8_1RKiEEEvS4_S4_PT_iii ; -- Begin function _ZL13mul_mat_vec_qIN3c108BFloat16ELi256ELi8E11block_iq1_mLi1EXadL_ZL18vec_dot_iq1_m_q8_1PKvPK10block_q8_1RKiEEEvS4_S4_PT_iii
	.p2align	8
	.type	_ZL13mul_mat_vec_qIN3c108BFloat16ELi256ELi8E11block_iq1_mLi1EXadL_ZL18vec_dot_iq1_m_q8_1PKvPK10block_q8_1RKiEEEvS4_S4_PT_iii,@function
_ZL13mul_mat_vec_qIN3c108BFloat16ELi256ELi8E11block_iq1_mLi1EXadL_ZL18vec_dot_iq1_m_q8_1PKvPK10block_q8_1RKiEEEvS4_S4_PT_iii: ; @_ZL13mul_mat_vec_qIN3c108BFloat16ELi256ELi8E11block_iq1_mLi1EXadL_ZL18vec_dot_iq1_m_q8_1PKvPK10block_q8_1RKiEEEvS4_S4_PT_iii
; %bb.0:
	s_load_dword s8, s[0:1], 0x34
	s_load_dwordx4 s[4:7], s[0:1], 0x18
	v_bfe_u32 v1, v0, 10, 10
	s_waitcnt lgkmcnt(0)
	s_lshr_b32 s7, s8, 16
	s_mul_i32 s2, s2, s7
	v_add_u32_e32 v18, s2, v1
	s_cmp_lt_u32 s3, s6
	v_cmp_gt_u32_e32 vcc, s5, v18
	s_cselect_b64 s[6:7], -1, 0
	s_and_b64 s[6:7], s[6:7], vcc
	s_and_saveexec_b64 s[8:9], s[6:7]
	s_cbranch_execz .LBB116_7
; %bb.1:
	s_load_dwordx2 s[6:7], s[0:1], 0x10
	s_ashr_i32 s2, s4, 31
	s_lshr_b32 s2, s2, 24
	s_add_i32 s2, s4, s2
	s_ashr_i32 s14, s2, 8
	v_bfe_u32 v20, v0, 3, 7
	v_and_b32_e32 v19, 0x3ff, v0
	v_cmp_gt_u32_e32 vcc, s14, v20
	v_mov_b32_e32 v22, 0
	s_and_saveexec_b64 s[12:13], vcc
	s_cbranch_execz .LBB116_5
; %bb.2:
	s_load_dwordx4 s[8:11], s[0:1], 0x0
	s_add_i32 s0, s4, 0x1ff
	s_ashr_i32 s1, s0, 31
	s_lshr_b32 s1, s1, 23
	s_add_i32 s0, s0, s1
	s_ashr_i32 s0, s0, 9
	v_and_b32_e32 v0, 7, v19
	v_and_b32_e32 v1, 1, v19
	s_mul_i32 s2, s3, s0
	v_mov_b32_e32 v9, 0
	s_waitcnt lgkmcnt(0)
	v_mad_u64_u32 v[10:11], s[0:1], v0, 36, s[10:11]
	v_bfe_u32 v2, v19, 1, 2
	v_cmp_eq_u32_e32 vcc, 1, v1
	v_lshlrev_b32_e32 v1, 3, v20
	s_mov_b32 s10, 0xbf600000
	v_mul_lo_u32 v21, v18, s14
	v_lshlrev_b32_e32 v8, 1, v0
	v_cndmask_b32_e64 v23, 0, 6, vcc
	v_lshl_add_u32 v24, s2, 4, v1
	s_mov_b64 s[0:1], 0
	v_lshlrev_b32_e32 v12, 2, v0
	v_mov_b32_e32 v13, v9
	s_movk_i32 s4, 0x700
	s_mov_b32 s2, 0x3d000000
	v_mov_b64_e32 v[14:15], s[10:11]
	s_mov_b32 s15, 0x8000c
	s_movk_i32 s16, 0xf0
	v_lshlrev_b32_e32 v16, 1, v2
	v_mov_b32_e32 v17, v9
	v_mov_b32_e32 v25, 8
	;; [unrolled: 1-line block ×4, first 2 shown]
.LBB116_3:                              ; =>This Inner Loop Header: Depth=1
	v_add_u32_e32 v0, v21, v20
	v_mad_i64_i32 v[28:29], s[10:11], v0, 56, s[8:9]
	v_lshl_add_u64 v[0:1], v[28:29], 0, v[12:13]
	v_lshl_add_u64 v[2:3], v[28:29], 0, v[8:9]
	global_load_dword v27, v[0:1], off
	global_load_ushort v34, v[2:3], off offset:32
	v_mad_i64_i32 v[30:31], s[10:11], v24, 36, v[10:11]
	global_load_dwordx4 v[0:3], v[30:31], off
	global_load_dwordx4 v[4:7], v[30:31], off offset:16
	global_load_dword v38, v[30:31], off offset:32
	v_lshl_add_u64 v[30:31], v[28:29], 0, v[16:17]
	global_load_dwordx2 v[32:33], v[28:29], off offset:48
	global_load_ushort v35, v[30:31], off offset:48
	s_getpc_b64 s[10:11]
	s_add_u32 s10, s10, _ZL13iq1s_grid_gpu@rel32@lo+4
	s_addc_u32 s11, s11, _ZL13iq1s_grid_gpu@rel32@hi+12
	v_mov_b32_e32 v43, 0
	v_add_u32_e32 v20, 8, v20
	v_cmp_le_u32_e32 vcc, s14, v20
	v_add_u32_e32 v24, 64, v24
	s_or_b64 s[0:1], vcc, s[0:1]
	s_waitcnt vmcnt(6)
	v_and_b32_e32 v29, 0xff, v27
	s_waitcnt vmcnt(5)
	v_lshlrev_b32_e32 v30, 8, v34
	v_lshrrev_b32_e32 v28, 24, v27
	v_bfe_u32 v31, v27, 8, 8
	v_lshlrev_b32_e32 v36, 4, v34
	v_bfe_u32 v27, v27, 16, 8
	v_lshlrev_b32_sdwa v37, v25, v34 dst_sel:DWORD dst_unused:UNUSED_PAD src0_sel:DWORD src1_sel:BYTE_1
	v_lshlrev_b32_sdwa v39, v26, v34 dst_sel:DWORD dst_unused:UNUSED_PAD src0_sel:DWORD src1_sel:BYTE_1
	v_and_or_b32 v29, v30, s4, v29
	v_and_or_b32 v30, v36, s4, v31
	;; [unrolled: 1-line block ×4, first 2 shown]
	v_lshlrev_b32_e32 v29, 3, v29
	v_lshlrev_b32_e32 v30, 3, v30
	;; [unrolled: 1-line block ×4, first 2 shown]
	global_load_dword v39, v29, s[10:11]
	global_load_dword v40, v30, s[10:11]
	;; [unrolled: 1-line block ×4, first 2 shown]
	v_mov_b32_e32 v28, 0
	v_mov_b32_e32 v29, 0
	s_waitcnt vmcnt(8)
	v_dot4c_i32_i8_e32 v28, 0x1010101, v1
	v_dot4c_i32_i8_e32 v29, 0x1010101, v3
	;; [unrolled: 1-line block ×3, first 2 shown]
	s_waitcnt vmcnt(7)
	v_dot4c_i32_i8_e32 v29, 0x1010101, v4
	v_mov_b32_e32 v30, 0
	v_mov_b32_e32 v31, 0
	v_bfe_u32 v36, v34, 4, 4
	v_cvt_f32_i32_e32 v29, v29
	v_cvt_f32_i32_e32 v28, v28
	v_dot4c_i32_i8_e32 v30, 0x1010101, v5
	v_dot4c_i32_i8_e32 v31, 0x1010101, v7
	v_and_b32_sdwa v37, v34, v25 dst_sel:DWORD dst_unused:UNUSED_PAD src0_sel:BYTE_0 src1_sel:DWORD
	s_waitcnt vmcnt(5)
	v_pk_lshrrev_b16 v33, 4, v33
	v_and_b32_e32 v36, 8, v36
	v_dot4c_i32_i8_e32 v30, 0x1010101, v6
	v_dot4c_i32_i8_e32 v31, 0x1010101, v38
	v_pk_lshrrev_b16 v45, s15, v32
	v_cvt_f32_ubyte0_e32 v32, v37
	v_and_b32_e32 v46, 0xf0000f00, v33
	v_cvt_f32_ubyte0_e32 v33, v36
	v_lshrrev_b32_sdwa v44, v26, v34 dst_sel:DWORD dst_unused:UNUSED_PAD src0_sel:DWORD src1_sel:BYTE_1
	v_cvt_f32_i32_e32 v31, v31
	v_cvt_f32_i32_e32 v30, v30
	v_pk_fma_f32 v[32:33], v[32:33], s[2:3], v[14:15] op_sel_hi:[1,0,0] neg_lo:[1,0,0] neg_hi:[1,0,0]
	v_and_b32_sdwa v34, v34, v25 dst_sel:DWORD dst_unused:UNUSED_PAD src0_sel:BYTE_1 src1_sel:DWORD
	s_waitcnt vmcnt(4)
	v_lshrrev_b32_e32 v35, v23, v35
	v_and_b32_e32 v37, 8, v44
	v_pk_mul_f32 v[28:29], v[32:33], v[28:29]
	v_cvt_f32_ubyte0_e32 v34, v34
	v_lshlrev_b32_e32 v47, 1, v35
	v_lshrrev_b32_e32 v48, 2, v35
	v_cvt_f32_ubyte0_e32 v35, v37
	v_add_f32_e32 v28, 0, v28
	v_mov_b32_e32 v27, 0
	v_pk_fma_f32 v[34:35], v[34:35], s[2:3], v[14:15] op_sel_hi:[1,0,0] neg_lo:[1,0,0] neg_hi:[1,0,0]
	v_add_f32_e32 v28, v28, v29
	v_pk_mul_f32 v[30:31], v[34:35], v[30:31]
	v_lshrrev_b32_e32 v44, 16, v45
	v_bitop3_b16 v36, v44, v45, s16 bitop3:0xec
	v_lshrrev_b32_e32 v37, 16, v46
	v_bitop3_b16 v36, v36, v37, v46 bitop3:0xfe
	v_cvt_f32_f16_e32 v0, v0
	v_cvt_f32_f16_e32 v36, v36
	v_and_or_b32 v44, v47, 14, 1
	v_add_f32_e32 v30, 0, v30
	v_and_or_b32 v45, v48, 14, 1
	v_cvt_f32_ubyte0_e32 v37, v44
	v_cvt_f32_ubyte0_e32 v44, v45
	s_waitcnt vmcnt(3)
	v_and_b32_e32 v29, 0xf0f0f0f, v39
	v_lshrrev_b32_e32 v32, 4, v39
	s_waitcnt vmcnt(1)
	v_and_b32_e32 v35, 0xf0f0f0f, v41
	v_lshrrev_b32_e32 v39, 4, v41
	v_and_b32_e32 v32, 0xf0f0f0f, v32
	v_dot4c_i32_i8_e32 v27, v29, v1
	v_and_b32_e32 v33, 0xf0f0f0f, v40
	v_lshrrev_b32_e32 v34, 4, v40
	v_and_b32_e32 v29, 0xf0f0f0f, v39
	v_dot4c_i32_i8_e32 v43, v35, v5
	v_dot4c_i32_i8_e32 v27, v32, v2
	s_waitcnt vmcnt(0)
	v_and_b32_e32 v40, 0xf0f0f0f, v42
	v_lshrrev_b32_e32 v41, 4, v42
	v_and_b32_e32 v1, 0xf0f0f0f, v34
	v_dot4c_i32_i8_e32 v43, v29, v6
	v_dot4c_i32_i8_e32 v27, v33, v3
	v_and_b32_e32 v5, 0xf0f0f0f, v41
	v_dot4c_i32_i8_e32 v43, v40, v7
	v_dot4c_i32_i8_e32 v27, v1, v4
	;; [unrolled: 1-line block ×3, first 2 shown]
	v_add_f32_e32 v3, v30, v31
	s_nop 0
	v_cvt_f32_i32_e32 v1, v27
	v_cvt_f32_i32_e32 v2, v43
	v_add_f32_e32 v1, v28, v1
	v_add_f32_e32 v2, v3, v2
	v_pk_mul_f32 v[0:1], v[0:1], v[36:37]
	s_nop 0
	v_fma_f32 v1, v2, v44, v1
	v_fmac_f32_e32 v22, v0, v1
	s_andn2_b64 exec, exec, s[0:1]
	s_cbranch_execnz .LBB116_3
; %bb.4:
	s_or_b64 exec, exec, s[0:1]
.LBB116_5:
	s_or_b64 exec, exec, s[12:13]
	v_mbcnt_lo_u32_b32 v0, -1, 0
	v_mbcnt_hi_u32_b32 v1, -1, v0
	v_and_b32_e32 v0, 64, v1
	v_add_u32_e32 v2, 64, v0
	v_xor_b32_e32 v0, 32, v1
	v_cmp_lt_i32_e32 vcc, v0, v2
	v_xor_b32_e32 v3, 16, v1
	v_xor_b32_e32 v4, 8, v1
	v_cndmask_b32_e32 v0, v1, v0, vcc
	v_lshlrev_b32_e32 v0, 2, v0
	ds_bpermute_b32 v0, v0, v22
	v_cmp_lt_i32_e32 vcc, v3, v2
	s_waitcnt lgkmcnt(0)
	v_add_f32_e32 v0, v22, v0
	v_cndmask_b32_e32 v3, v1, v3, vcc
	v_lshlrev_b32_e32 v3, 2, v3
	ds_bpermute_b32 v3, v3, v0
	v_cmp_lt_i32_e32 vcc, v4, v2
	s_waitcnt lgkmcnt(0)
	v_add_f32_e32 v0, v0, v3
	v_cndmask_b32_e32 v3, v1, v4, vcc
	v_lshlrev_b32_e32 v3, 2, v3
	ds_bpermute_b32 v3, v3, v0
	v_xor_b32_e32 v4, 4, v1
	v_cmp_lt_i32_e32 vcc, v4, v2
	s_waitcnt lgkmcnt(0)
	v_add_f32_e32 v0, v0, v3
	v_cndmask_b32_e32 v3, v1, v4, vcc
	v_lshlrev_b32_e32 v3, 2, v3
	ds_bpermute_b32 v3, v3, v0
	v_xor_b32_e32 v4, 2, v1
	;; [unrolled: 7-line block ×3, first 2 shown]
	v_cmp_lt_i32_e32 vcc, v4, v2
	s_waitcnt lgkmcnt(0)
	v_add_f32_e32 v0, v0, v3
	v_cndmask_b32_e32 v1, v1, v4, vcc
	v_lshlrev_b32_e32 v1, 2, v1
	ds_bpermute_b32 v1, v1, v0
	v_cmp_eq_u32_e32 vcc, 0, v19
	s_and_b64 exec, exec, vcc
	s_cbranch_execz .LBB116_7
; %bb.6:
	s_waitcnt lgkmcnt(0)
	v_add_f32_e32 v0, v0, v1
	v_bfe_u32 v1, v0, 16, 1
	s_movk_i32 s0, 0x7fff
	v_add3_u32 v1, v0, v1, s0
	v_cmp_o_f32_e32 vcc, v0, v0
	v_mov_b32_e32 v0, 0x7fc0
	s_mul_i32 s0, s5, s3
	v_cndmask_b32_sdwa v2, v0, v1, vcc dst_sel:DWORD dst_unused:UNUSED_PAD src0_sel:DWORD src1_sel:WORD_1
	v_add_u32_e32 v0, s0, v18
	v_mov_b32_e32 v1, 0
	v_lshl_add_u64 v[0:1], v[0:1], 1, s[6:7]
	global_store_short v[0:1], v2, off
.LBB116_7:
	s_endpgm
	.section	.rodata,"a",@progbits
	.p2align	6, 0x0
	.amdhsa_kernel _ZL13mul_mat_vec_qIN3c108BFloat16ELi256ELi8E11block_iq1_mLi1EXadL_ZL18vec_dot_iq1_m_q8_1PKvPK10block_q8_1RKiEEEvS4_S4_PT_iii
		.amdhsa_group_segment_fixed_size 0
		.amdhsa_private_segment_fixed_size 0
		.amdhsa_kernarg_size 296
		.amdhsa_user_sgpr_count 2
		.amdhsa_user_sgpr_dispatch_ptr 0
		.amdhsa_user_sgpr_queue_ptr 0
		.amdhsa_user_sgpr_kernarg_segment_ptr 1
		.amdhsa_user_sgpr_dispatch_id 0
		.amdhsa_user_sgpr_kernarg_preload_length 0
		.amdhsa_user_sgpr_kernarg_preload_offset 0
		.amdhsa_user_sgpr_private_segment_size 0
		.amdhsa_uses_dynamic_stack 0
		.amdhsa_enable_private_segment 0
		.amdhsa_system_sgpr_workgroup_id_x 1
		.amdhsa_system_sgpr_workgroup_id_y 1
		.amdhsa_system_sgpr_workgroup_id_z 0
		.amdhsa_system_sgpr_workgroup_info 0
		.amdhsa_system_vgpr_workitem_id 1
		.amdhsa_next_free_vgpr 49
		.amdhsa_next_free_sgpr 17
		.amdhsa_accum_offset 52
		.amdhsa_reserve_vcc 1
		.amdhsa_float_round_mode_32 0
		.amdhsa_float_round_mode_16_64 0
		.amdhsa_float_denorm_mode_32 3
		.amdhsa_float_denorm_mode_16_64 3
		.amdhsa_dx10_clamp 1
		.amdhsa_ieee_mode 1
		.amdhsa_fp16_overflow 0
		.amdhsa_tg_split 0
		.amdhsa_exception_fp_ieee_invalid_op 0
		.amdhsa_exception_fp_denorm_src 0
		.amdhsa_exception_fp_ieee_div_zero 0
		.amdhsa_exception_fp_ieee_overflow 0
		.amdhsa_exception_fp_ieee_underflow 0
		.amdhsa_exception_fp_ieee_inexact 0
		.amdhsa_exception_int_div_zero 0
	.end_amdhsa_kernel
	.section	.text._ZL13mul_mat_vec_qIN3c108BFloat16ELi256ELi8E11block_iq1_mLi1EXadL_ZL18vec_dot_iq1_m_q8_1PKvPK10block_q8_1RKiEEEvS4_S4_PT_iii,"axG",@progbits,_ZL13mul_mat_vec_qIN3c108BFloat16ELi256ELi8E11block_iq1_mLi1EXadL_ZL18vec_dot_iq1_m_q8_1PKvPK10block_q8_1RKiEEEvS4_S4_PT_iii,comdat
.Lfunc_end116:
	.size	_ZL13mul_mat_vec_qIN3c108BFloat16ELi256ELi8E11block_iq1_mLi1EXadL_ZL18vec_dot_iq1_m_q8_1PKvPK10block_q8_1RKiEEEvS4_S4_PT_iii, .Lfunc_end116-_ZL13mul_mat_vec_qIN3c108BFloat16ELi256ELi8E11block_iq1_mLi1EXadL_ZL18vec_dot_iq1_m_q8_1PKvPK10block_q8_1RKiEEEvS4_S4_PT_iii
                                        ; -- End function
	.set _ZL13mul_mat_vec_qIN3c108BFloat16ELi256ELi8E11block_iq1_mLi1EXadL_ZL18vec_dot_iq1_m_q8_1PKvPK10block_q8_1RKiEEEvS4_S4_PT_iii.num_vgpr, 49
	.set _ZL13mul_mat_vec_qIN3c108BFloat16ELi256ELi8E11block_iq1_mLi1EXadL_ZL18vec_dot_iq1_m_q8_1PKvPK10block_q8_1RKiEEEvS4_S4_PT_iii.num_agpr, 0
	.set _ZL13mul_mat_vec_qIN3c108BFloat16ELi256ELi8E11block_iq1_mLi1EXadL_ZL18vec_dot_iq1_m_q8_1PKvPK10block_q8_1RKiEEEvS4_S4_PT_iii.numbered_sgpr, 17
	.set _ZL13mul_mat_vec_qIN3c108BFloat16ELi256ELi8E11block_iq1_mLi1EXadL_ZL18vec_dot_iq1_m_q8_1PKvPK10block_q8_1RKiEEEvS4_S4_PT_iii.num_named_barrier, 0
	.set _ZL13mul_mat_vec_qIN3c108BFloat16ELi256ELi8E11block_iq1_mLi1EXadL_ZL18vec_dot_iq1_m_q8_1PKvPK10block_q8_1RKiEEEvS4_S4_PT_iii.private_seg_size, 0
	.set _ZL13mul_mat_vec_qIN3c108BFloat16ELi256ELi8E11block_iq1_mLi1EXadL_ZL18vec_dot_iq1_m_q8_1PKvPK10block_q8_1RKiEEEvS4_S4_PT_iii.uses_vcc, 1
	.set _ZL13mul_mat_vec_qIN3c108BFloat16ELi256ELi8E11block_iq1_mLi1EXadL_ZL18vec_dot_iq1_m_q8_1PKvPK10block_q8_1RKiEEEvS4_S4_PT_iii.uses_flat_scratch, 0
	.set _ZL13mul_mat_vec_qIN3c108BFloat16ELi256ELi8E11block_iq1_mLi1EXadL_ZL18vec_dot_iq1_m_q8_1PKvPK10block_q8_1RKiEEEvS4_S4_PT_iii.has_dyn_sized_stack, 0
	.set _ZL13mul_mat_vec_qIN3c108BFloat16ELi256ELi8E11block_iq1_mLi1EXadL_ZL18vec_dot_iq1_m_q8_1PKvPK10block_q8_1RKiEEEvS4_S4_PT_iii.has_recursion, 0
	.set _ZL13mul_mat_vec_qIN3c108BFloat16ELi256ELi8E11block_iq1_mLi1EXadL_ZL18vec_dot_iq1_m_q8_1PKvPK10block_q8_1RKiEEEvS4_S4_PT_iii.has_indirect_call, 0
	.section	.AMDGPU.csdata,"",@progbits
; Kernel info:
; codeLenInByte = 1368
; TotalNumSgprs: 23
; NumVgprs: 49
; NumAgprs: 0
; TotalNumVgprs: 49
; ScratchSize: 0
; MemoryBound: 0
; FloatMode: 240
; IeeeMode: 1
; LDSByteSize: 0 bytes/workgroup (compile time only)
; SGPRBlocks: 2
; VGPRBlocks: 6
; NumSGPRsForWavesPerEU: 23
; NumVGPRsForWavesPerEU: 49
; AccumOffset: 52
; Occupancy: 8
; WaveLimiterHint : 0
; COMPUTE_PGM_RSRC2:SCRATCH_EN: 0
; COMPUTE_PGM_RSRC2:USER_SGPR: 2
; COMPUTE_PGM_RSRC2:TRAP_HANDLER: 0
; COMPUTE_PGM_RSRC2:TGID_X_EN: 1
; COMPUTE_PGM_RSRC2:TGID_Y_EN: 1
; COMPUTE_PGM_RSRC2:TGID_Z_EN: 0
; COMPUTE_PGM_RSRC2:TIDIG_COMP_CNT: 1
; COMPUTE_PGM_RSRC3_GFX90A:ACCUM_OFFSET: 12
; COMPUTE_PGM_RSRC3_GFX90A:TG_SPLIT: 0
	.section	.text._ZL12mul_mat_q4_0IfLb0EEvPKvS1_PT_iiiii,"axG",@progbits,_ZL12mul_mat_q4_0IfLb0EEvPKvS1_PT_iiiii,comdat
	.globl	_ZL12mul_mat_q4_0IfLb0EEvPKvS1_PT_iiiii ; -- Begin function _ZL12mul_mat_q4_0IfLb0EEvPKvS1_PT_iiiii
	.p2align	8
	.type	_ZL12mul_mat_q4_0IfLb0EEvPKvS1_PT_iiiii,@function
_ZL12mul_mat_q4_0IfLb0EEvPKvS1_PT_iiiii: ; @_ZL12mul_mat_q4_0IfLb0EEvPKvS1_PT_iiiii
; %bb.0:
	s_load_dword s7, s[0:1], 0x18
	s_load_dwordx4 s[8:11], s[0:1], 0x20
	s_waitcnt lgkmcnt(0)
	s_lshl_b32 s11, s3, 6
	v_bfe_u32 v81, v0, 10, 10
	s_cmp_gt_i32 s7, 31
	s_cbranch_scc1 .LBB117_4
; %bb.1:
	v_bfe_u32 v1, v0, 10, 10
	v_and_b32_e32 v77, 0x3ff, v0
	v_add_u32_e32 v83, s11, v1
	s_load_dwordx2 s[12:13], s[0:1], 0x10
	s_lshl_b32 s6, s2, 7
	s_cbranch_execz .LBB117_5
; %bb.2:
	v_mov_b32_e32 v52, 0
	v_mov_b32_e32 v53, v52
	v_mov_b64_e32 v[60:61], v[52:53]
	v_mov_b64_e32 v[68:69], v[52:53]
	;; [unrolled: 1-line block ×15, first 2 shown]
	v_cmp_gt_u32_e32 vcc, s8, v83
	s_and_saveexec_b64 s[0:1], vcc
	s_cbranch_execnz .LBB117_15
.LBB117_3:
	s_endpgm
.LBB117_4:
                                        ; implicit-def: $vgpr1
                                        ; implicit-def: $vgpr77
                                        ; implicit-def: $vgpr83
	s_load_dwordx2 s[12:13], s[0:1], 0x10
	s_lshl_b32 s6, s2, 7
.LBB117_5:
	s_ashr_i32 s4, s7, 31
	s_load_dwordx4 s[0:3], s[0:1], 0x0
	s_lshr_b32 s4, s4, 27
	s_ashr_i32 s5, s9, 31
	s_add_i32 s4, s7, s4
	s_lshr_b32 s5, s5, 27
	s_ashr_i32 s7, s4, 5
	s_add_i32 s5, s9, s5
	s_ashr_i32 s15, s5, 5
	s_mul_i32 s5, s7, s6
	v_bfe_u32 v129, v0, 3, 7
	s_mul_hi_i32 s14, s5, 18
	s_mul_i32 s5, s5, 18
	v_and_b32_e32 v108, 7, v0
	v_lshl_add_u32 v2, v81, 2, v129
	s_waitcnt lgkmcnt(0)
	s_add_u32 s9, s0, s5
	v_and_b32_e32 v3, 0x7fc, v2
	v_lshlrev_b32_e32 v4, 2, v108
	s_movk_i32 s5, 0x6200
	v_add3_u32 v8, v3, v4, s5
	v_add_u32_e32 v3, 32, v2
	v_and_b32_e32 v77, 0x3ff, v0
	v_mul_lo_u32 v110, s7, v2
	v_lshlrev_b32_e32 v9, 5, v2
	v_and_b32_e32 v5, 0xffc, v3
	v_lshlrev_b32_e32 v11, 5, v3
	v_add_u32_e32 v3, 64, v2
	v_add_u32_e32 v2, 0x60, v2
	v_lshlrev_b32_e32 v1, 2, v77
	s_movk_i32 s0, 0x84
	v_add3_u32 v10, v5, v4, s5
	v_and_b32_e32 v5, 0xffc, v3
	v_lshlrev_b32_e32 v13, 5, v3
	v_and_b32_e32 v3, 0xffc, v2
	v_bfe_u32 v76, v0, 2, 8
	v_and_b32_e32 v78, 12, v1
	v_mad_u32_u24 v85, v81, s0, v1
	v_add3_u32 v12, v5, v4, s5
	v_add3_u32 v14, v3, v4, s5
	v_and_b32_e32 v6, 31, v0
	v_and_b32_e32 v4, 28, v1
	v_mov_b32_e32 v1, 0x4200
	v_lshl_or_b32 v1, v6, 2, v1
	v_lshl_add_u32 v6, v81, 3, v76
	v_and_b32_e32 v7, 63, v6
	s_addc_u32 s1, s1, s14
	s_and_b32 s17, s4, 0xffffffe0
	s_add_i32 s4, s8, -1
	v_or_b32_e32 v16, s11, v7
	v_and_b32_e32 v6, 3, v0
	v_min_i32_e32 v16, s4, v16
	v_lshlrev_b32_e32 v15, 5, v2
	v_cvt_f64_i32_e32 v[2:3], s4
	v_mad_u64_u32 v[116:117], s[4:5], v16, s15, v[6:7]
	v_lshlrev_b32_e32 v6, 2, v6
	v_add_u32_e32 v83, s11, v81
	v_lshl_or_b32 v6, v7, 4, v6
	v_add_u32_e32 v117, 0x7280, v6
	v_cvt_f64_u32_e32 v[6:7], v83
	v_min_f64 v[6:7], v[6:7], v[2:3]
	v_cvt_i32_f64_e32 v6, v[6:7]
	v_mul_lo_u32 v131, s15, v6
	v_add_u32_e32 v6, 8, v83
	v_cvt_f64_u32_e32 v[6:7], v6
	v_min_f64 v[6:7], v[6:7], v[2:3]
	v_cvt_i32_f64_e32 v6, v[6:7]
	v_mul_lo_u32 v133, s15, v6
	v_add_u32_e32 v6, 16, v83
	v_cvt_f64_u32_e32 v[6:7], v6
	v_min_f64 v[6:7], v[6:7], v[2:3]
	v_cvt_i32_f64_e32 v6, v[6:7]
	v_mul_lo_u32 v150, s15, v6
	v_add_u32_e32 v6, 24, v83
	v_cvt_f64_u32_e32 v[6:7], v6
	v_min_f64 v[6:7], v[6:7], v[2:3]
	v_cvt_i32_f64_e32 v6, v[6:7]
	v_mul_lo_u32 v151, s15, v6
	v_add_u32_e32 v6, 32, v83
	v_cvt_f64_u32_e32 v[6:7], v6
	v_min_f64 v[6:7], v[6:7], v[2:3]
	v_mul_lo_u32 v80, s7, v81
	s_lshl_b32 s16, s7, 3
	v_cvt_i32_f64_e32 v6, v[6:7]
	v_add_u32_e32 v82, s16, v80
	v_mul_lo_u32 v152, s15, v6
	v_add_u32_e32 v6, 40, v83
	v_add_u32_e32 v84, s16, v82
	v_cvt_f64_u32_e32 v[6:7], v6
	v_add_u32_e32 v86, s16, v84
	v_min_f64 v[6:7], v[6:7], v[2:3]
	v_add_u32_e32 v88, s16, v86
	v_cvt_i32_f64_e32 v6, v[6:7]
	v_add_u32_e32 v90, s16, v88
	v_mul_lo_u32 v153, s15, v6
	v_add_u32_e32 v6, 48, v83
	v_add_u32_e32 v92, s16, v90
	v_cvt_f64_u32_e32 v[6:7], v6
	v_add_u32_e32 v94, s16, v92
	v_min_f64 v[6:7], v[6:7], v[2:3]
	v_add_u32_e32 v96, s16, v94
	v_cvt_i32_f64_e32 v6, v[6:7]
	v_add_u32_e32 v100, s16, v96
	v_mul_lo_u32 v154, s15, v6
	v_add_u32_e32 v6, 56, v83
	v_add_u32_e32 v102, s16, v100
	v_cvt_f64_u32_e32 v[6:7], v6
	v_mov_b32_e32 v79, 0
	v_add_u32_e32 v104, s16, v102
	v_min_f64 v[2:3], v[6:7], v[2:3]
	v_mov_b32_e32 v5, v79
	v_cvt_i32_f64_e32 v2, v[2:3]
	v_add_u32_e32 v3, 32, v77
	v_add_u32_e32 v6, 64, v77
	;; [unrolled: 1-line block ×4, first 2 shown]
	v_lshlrev_b32_e32 v16, 7, v81
	v_lshrrev_b32_e32 v157, 3, v3
	v_lshl_add_u64 v[118:119], s[2:3], 0, v[4:5]
	v_lshlrev_b32_e32 v4, 5, v77
	v_and_b32_e32 v5, 0x1fc, v7
	v_and_b32_e32 v6, 0x1fc, v6
	;; [unrolled: 1-line block ×4, first 2 shown]
	v_add_u32_e32 v122, s16, v120
	v_add_u32_e32 v128, s17, v110
	;; [unrolled: 1-line block ×8, first 2 shown]
	v_mul_lo_u32 v155, s15, v2
	v_add_u32_e32 v2, 0x1c00, v16
	v_add_u32_e32 v5, v4, v5
	;; [unrolled: 1-line block ×5, first 2 shown]
	v_mov_b32_e32 v4, 0x7280
	v_mov_b32_e32 v114, v79
	;; [unrolled: 1-line block ×3, first 2 shown]
	v_add_u32_e32 v124, s16, v122
	v_add_u32_e32 v130, s17, v128
	;; [unrolled: 1-line block ×17, first 2 shown]
	s_add_i32 s14, s7, 3
	v_mul_u32_u24_e32 v156, 0x84, v77
	v_add_u32_e32 v158, 0x6e00, v5
	v_add_u32_e32 v159, 0x6a00, v6
	;; [unrolled: 1-line block ×5, first 2 shown]
	v_lshl_add_u32 v163, v81, 4, v4
	v_add_u32_e32 v164, v10, v11
	v_add_u32_e32 v165, 0x4200, v16
	v_add_u32_e32 v166, v12, v13
	v_mad_u32_u24 v167, v77, s0, 64
	v_add_u32_e32 v168, 0x6e10, v5
	v_add_u32_e32 v169, 0x6a10, v6
	;; [unrolled: 1-line block ×4, first 2 shown]
	s_mov_b32 s15, 0
	v_add_u32_e32 v172, v14, v15
	v_add_u32_e32 v173, v1, v16
	;; [unrolled: 1-line block ×9, first 2 shown]
	s_mov_b32 s0, 0x41000000
	v_add_u32_e32 v126, s16, v124
	v_add_u32_e32 v132, s17, v130
	v_mov_b64_e32 v[74:75], v[114:115]
	v_mov_b64_e32 v[66:67], v[114:115]
	;; [unrolled: 1-line block ×15, first 2 shown]
	s_branch .LBB117_7
.LBB117_6:                              ;   in Loop: Header=BB117_7 Depth=1
	s_add_i32 s15, s15, 8
	s_add_i32 s14, s14, -8
	s_cmp_ge_i32 s15, s7
	s_cbranch_scc1 .LBB117_14
.LBB117_7:                              ; =>This Loop Header: Depth=1
                                        ;     Child Loop BB117_9 Depth 2
                                        ;     Child Loop BB117_12 Depth 2
	s_mul_i32 s4, s15, 18
	s_mul_hi_u32 s5, s15, 18
	s_add_u32 s4, s9, s4
	s_addc_u32 s5, s1, s5
	v_mad_u64_u32 v[0:1], s[16:17], v76, 18, s[4:5]
	v_mad_u64_u32 v[2:3], s[16:17], v80, 18, v[0:1]
	v_lshl_add_u64 v[2:3], v[2:3], 0, v[78:79]
	global_load_dword v2, v[2:3], off offset:2
	s_cmp_gt_u32 s14, 3
	s_waitcnt vmcnt(0)
	ds_write_b32 v85, v2
	v_mad_u64_u32 v[2:3], s[16:17], v82, 18, v[0:1]
	v_lshl_add_u64 v[2:3], v[2:3], 0, v[78:79]
	global_load_dword v2, v[2:3], off offset:2
	s_waitcnt vmcnt(0)
	ds_write_b32 v87, v2
	v_mad_u64_u32 v[2:3], s[16:17], v84, 18, v[0:1]
	v_lshl_add_u64 v[2:3], v[2:3], 0, v[78:79]
	global_load_dword v2, v[2:3], off offset:2
	;; [unrolled: 5-line block ×13, first 2 shown]
	s_waitcnt vmcnt(0)
	ds_write_b32 v123, v2
	v_mad_u64_u32 v[2:3], s[16:17], v124, 18, v[0:1]
	v_mad_u64_u32 v[0:1], s[16:17], v126, 18, v[0:1]
	v_lshl_add_u64 v[2:3], v[2:3], 0, v[78:79]
	v_lshl_add_u64 v[0:1], v[0:1], 0, v[78:79]
	global_load_dword v2, v[2:3], off offset:2
	s_nop 0
	global_load_dword v0, v[0:1], off offset:2
	s_waitcnt vmcnt(1)
	ds_write_b32 v125, v2
	s_waitcnt vmcnt(0)
	ds_write_b32 v127, v0
	v_mad_u64_u32 v[0:1], s[4:5], v108, 18, s[4:5]
	v_mad_u64_u32 v[2:3], s[4:5], v110, 18, v[0:1]
	global_load_ushort v2, v[2:3], off
	s_waitcnt vmcnt(0)
	v_cvt_f32_f16_e32 v2, v2
	ds_write_b32 v162, v2
	v_mad_u64_u32 v[2:3], s[4:5], v128, 18, v[0:1]
	global_load_ushort v2, v[2:3], off
	s_waitcnt vmcnt(0)
	v_cvt_f32_f16_e32 v2, v2
	ds_write_b32 v164, v2
	v_mad_u64_u32 v[2:3], s[4:5], v130, 18, v[0:1]
	v_mad_u64_u32 v[0:1], s[4:5], v132, 18, v[0:1]
	global_load_ushort v2, v[2:3], off
	s_nop 0
	global_load_ushort v0, v[0:1], off
	s_waitcnt vmcnt(1)
	v_cvt_f32_f16_e32 v2, v2
	s_waitcnt vmcnt(0)
	v_cvt_f32_f16_e32 v0, v0
	ds_write_b32 v166, v2
	ds_write_b32 v172, v0
	s_cbranch_scc0 .LBB117_6
; %bb.8:                                ;   in Loop: Header=BB117_7 Depth=1
	v_add_u32_e32 v2, s15, v129
	v_add_u32_e32 v0, v2, v131
	v_mad_i64_i32 v[0:1], s[4:5], v0, 36, v[118:119]
	global_load_dword v0, v[0:1], off offset:4
	v_add_u32_e32 v181, s15, v116
	v_mov_b32_e32 v182, v165
	v_mov_b32_e32 v183, v163
	;; [unrolled: 1-line block ×7, first 2 shown]
	s_waitcnt vmcnt(0)
	ds_write_b32 v173, v0
	v_add_u32_e32 v0, v2, v133
	v_mad_i64_i32 v[0:1], s[4:5], v0, 36, v[118:119]
	global_load_dword v0, v[0:1], off offset:4
	s_waitcnt vmcnt(0)
	ds_write_b32 v174, v0
	v_add_u32_e32 v0, v2, v150
	v_mad_i64_i32 v[0:1], s[4:5], v0, 36, v[118:119]
	global_load_dword v0, v[0:1], off offset:4
	;; [unrolled: 5-line block ×7, first 2 shown]
	s_waitcnt vmcnt(0)
	ds_write_b32 v180, v0
	v_mad_u64_u32 v[0:1], s[4:5], v181, 36, s[2:3]
	global_load_dword v0, v[0:1], off
	s_mov_b32 s4, -4
	s_waitcnt vmcnt(0)
	ds_write_b32 v117, v0
	s_waitcnt lgkmcnt(0)
	s_barrier
.LBB117_9:                              ;   Parent Loop BB117_7 Depth=1
                                        ; =>  This Inner Loop Header: Depth=2
	ds_read_b128 v[32:35], v182
	ds_read_b128 v[0:3], v182 offset:16
	ds_read2_b32 v[134:135], v188 offset0:2 offset1:3
	ds_read2_b32 v[136:137], v188 offset1:1
	v_add_u32_e32 v138, 0x1080, v188
	v_add_u32_e32 v139, 0x1088, v188
	;; [unrolled: 1-line block ×6, first 2 shown]
	ds_read_b128 v[36:39], v182 offset:1024
	ds_read_b128 v[4:7], v182 offset:1040
	;; [unrolled: 1-line block ×11, first 2 shown]
	ds_read2_b32 v[144:145], v183 offset1:32
	ds_read2_b32 v[146:147], v183 offset0:64 offset1:96
	ds_read2_b32 v[148:149], v183 offset0:128 offset1:160
	;; [unrolled: 1-line block ×3, first 2 shown]
	ds_read2_b32 v[210:211], v138 offset1:1
	ds_read2_b32 v[212:213], v139 offset1:1
	;; [unrolled: 1-line block ×6, first 2 shown]
	v_mov_b32_e32 v189, 0
	v_mov_b32_e32 v190, 0
	;; [unrolled: 1-line block ×17, first 2 shown]
	s_waitcnt lgkmcnt(14)
	v_and_b32_e32 v215, 0xf0f0f0f, v136
	v_lshrrev_b32_e32 v222, 4, v136
	v_lshrrev_b32_e32 v227, 4, v137
	s_waitcnt lgkmcnt(5)
	v_and_b32_e32 v230, 0xf0f0f0f, v210
	v_lshrrev_b32_e32 v231, 4, v210
	s_waitcnt lgkmcnt(3)
	v_and_b32_e32 v234, 0xf0f0f0f, v216
	v_lshrrev_b32_e32 v235, 4, v216
	v_lshrrev_b32_e32 v237, 4, v217
	s_waitcnt lgkmcnt(1)
	v_and_b32_e32 v239, 0xf0f0f0f, v220
	v_lshrrev_b32_e32 v220, 4, v220
	v_and_b32_e32 v228, 0xf0f0f0f, v134
	v_lshrrev_b32_e32 v229, 4, v134
	v_cvt_f32_f16_e32 v140, v144
	v_cvt_f32_f16_sdwa v142, v144 dst_sel:DWORD dst_unused:UNUSED_PAD src0_sel:WORD_1
	v_cvt_f32_f16_e32 v138, v146
	v_cvt_f32_f16_sdwa v144, v146 dst_sel:DWORD dst_unused:UNUSED_PAD src0_sel:WORD_1
	;; [unrolled: 2-line block ×4, first 2 shown]
	v_dot4c_i32_i8_e32 v189, v215, v32
	v_and_b32_e32 v207, 0xf0f0f0f, v213
	v_and_b32_e32 v208, 0xf0f0f0f, v219
	v_dot4c_i32_i8_e32 v193, v215, v36
	v_dot4c_i32_i8_e32 v198, v215, v44
	;; [unrolled: 1-line block ×7, first 2 shown]
	s_waitcnt lgkmcnt(0)
	v_and_b32_e32 v241, 0xf0f0f0f, v224
	v_lshrrev_b32_e32 v215, 4, v213
	v_lshrrev_b32_e32 v213, 4, v224
	v_lshrrev_b32_e32 v216, 4, v219
	v_and_b32_e32 v219, 0xf0f0f0f, v222
	v_and_b32_e32 v224, 0xf0f0f0f, v227
	;; [unrolled: 1-line block ×3, first 2 shown]
	v_dot4c_i32_i8_e32 v190, v230, v32
	v_and_b32_e32 v231, 0xf0f0f0f, v235
	v_dot4c_i32_i8_e32 v191, v234, v32
	v_and_b32_e32 v235, 0xf0f0f0f, v237
	v_and_b32_e32 v237, 0xf0f0f0f, v220
	v_dot4c_i32_i8_e32 v192, v239, v32
	v_dot4c_i32_i8_e32 v194, v230, v36
	;; [unrolled: 1-line block ×7, first 2 shown]
	v_and_b32_e32 v226, 0xf0f0f0f, v137
	v_and_b32_e32 v232, 0xf0f0f0f, v211
	v_lshrrev_b32_e32 v211, 4, v211
	v_and_b32_e32 v236, 0xf0f0f0f, v217
	v_and_b32_e32 v240, 0xf0f0f0f, v221
	v_lshrrev_b32_e32 v221, 4, v221
	v_dot4c_i32_i8_e32 v189, v219, v0
	v_dot4c_i32_i8_e32 v190, v227, v0
	;; [unrolled: 1-line block ×12, first 2 shown]
	v_and_b32_e32 v223, 0xf0f0f0f, v135
	v_lshrrev_b32_e32 v214, 4, v135
	v_cvt_f32_f16_e32 v141, v145
	v_cvt_f32_f16_sdwa v143, v145 dst_sel:DWORD dst_unused:UNUSED_PAD src0_sel:WORD_1
	v_cvt_f32_f16_e32 v139, v147
	v_cvt_f32_f16_sdwa v145, v147 dst_sel:DWORD dst_unused:UNUSED_PAD src0_sel:WORD_1
	;; [unrolled: 2-line block ×4, first 2 shown]
	v_and_b32_e32 v209, 0xf0f0f0f, v225
	v_lshrrev_b32_e32 v217, 4, v225
	v_and_b32_e32 v225, 0xf0f0f0f, v229
	v_and_b32_e32 v229, 0xf0f0f0f, v211
	;; [unrolled: 1-line block ×3, first 2 shown]
	v_dot4c_i32_i8_e32 v189, v226, v33
	v_dot4c_i32_i8_e32 v190, v232, v33
	;; [unrolled: 1-line block ×12, first 2 shown]
	v_and_b32_e32 v233, 0xf0f0f0f, v212
	v_lshrrev_b32_e32 v212, 4, v212
	v_and_b32_e32 v238, 0xf0f0f0f, v218
	v_lshrrev_b32_e32 v218, 4, v218
	v_dot4c_i32_i8_e32 v189, v224, v1
	v_dot4c_i32_i8_e32 v190, v229, v1
	;; [unrolled: 1-line block ×12, first 2 shown]
	v_and_b32_e32 v211, 0xf0f0f0f, v212
	v_and_b32_e32 v212, 0xf0f0f0f, v218
	;; [unrolled: 1-line block ×3, first 2 shown]
	v_dot4c_i32_i8_e32 v189, v228, v34
	v_dot4c_i32_i8_e32 v190, v233, v34
	;; [unrolled: 1-line block ×28, first 2 shown]
	ds_read_b128 v[32:35], v182 offset:5136
	v_dot4c_i32_i8_e32 v193, v223, v39
	v_dot4c_i32_i8_e32 v194, v207, v39
	;; [unrolled: 1-line block ×4, first 2 shown]
	ds_read_b128 v[36:39], v182 offset:6160
	v_dot4c_i32_i8_e32 v198, v223, v47
	v_dot4c_i32_i8_e32 v197, v207, v47
	;; [unrolled: 1-line block ×4, first 2 shown]
	ds_read_b128 v[44:47], v182 offset:7184
	ds_read_b32 v2, v184
	ds_read_b32 v4, v185
	;; [unrolled: 1-line block ×3, first 2 shown]
	v_mov_b32_e32 v202, 0
	v_mov_b32_e32 v218, 0
	;; [unrolled: 1-line block ×4, first 2 shown]
	v_dot4c_i32_i8_e32 v201, v219, v12
	v_dot4c_i32_i8_e32 v203, v219, v20
	s_waitcnt lgkmcnt(5)
	v_dot4c_i32_i8_e32 v204, v219, v32
	s_waitcnt lgkmcnt(4)
	;; [unrolled: 2-line block ×3, first 2 shown]
	v_dot4c_i32_i8_e32 v206, v219, v44
	v_mov_b32_e32 v1, 0
	v_dot4c_i32_i8_e32 v202, v230, v16
	v_dot4c_i32_i8_e32 v218, v234, v16
	v_mov_b32_e32 v9, 0
	v_mov_b32_e32 v219, 0
	v_dot4c_i32_i8_e32 v221, v239, v16
	v_mov_b32_e32 v16, 0
	v_mov_b32_e32 v222, 0
	v_dot4c_i32_i8_e32 v210, v230, v24
	v_dot4c_i32_i8_e32 v1, v230, v28
	v_mov_b32_e32 v5, 0
	v_mov_b32_e32 v8, 0
	v_dot4c_i32_i8_e32 v9, v234, v24
	;; [unrolled: 4-line block ×4, first 2 shown]
	v_dot4c_i32_i8_e32 v8, v230, v48
	v_dot4c_i32_i8_e32 v10, v234, v40
	v_dot4c_i32_i8_e32 v220, v234, v48
	v_dot4c_i32_i8_e32 v24, v239, v40
	v_dot4c_i32_i8_e32 v28, v239, v48
	v_dot4c_i32_i8_e32 v201, v226, v17
	v_dot4c_i32_i8_e32 v203, v226, v25
	v_dot4c_i32_i8_e32 v204, v226, v29
	v_dot4c_i32_i8_e32 v205, v226, v41
	v_dot4c_i32_i8_e32 v206, v226, v49
	v_dot4c_i32_i8_e32 v202, v227, v12
	v_dot4c_i32_i8_e32 v210, v227, v20
	v_dot4c_i32_i8_e32 v1, v227, v32
	v_dot4c_i32_i8_e32 v5, v227, v36
	v_dot4c_i32_i8_e32 v8, v227, v44
	v_dot4c_i32_i8_e32 v218, v231, v12
	v_dot4c_i32_i8_e32 v9, v231, v20
	v_dot4c_i32_i8_e32 v219, v231, v32
	v_dot4c_i32_i8_e32 v10, v231, v36
	v_dot4c_i32_i8_e32 v220, v231, v44
	v_dot4c_i32_i8_e32 v221, v237, v12
	v_dot4c_i32_i8_e32 v16, v237, v20
	v_dot4c_i32_i8_e32 v222, v237, v32
	v_dot4c_i32_i8_e32 v24, v237, v36
	v_dot4c_i32_i8_e32 v28, v237, v44
	v_dot4c_i32_i8_e32 v201, v224, v13
	v_dot4c_i32_i8_e32 v203, v224, v21
	v_dot4c_i32_i8_e32 v204, v224, v33
	v_dot4c_i32_i8_e32 v205, v224, v37
	v_dot4c_i32_i8_e32 v206, v224, v45
	v_dot4c_i32_i8_e32 v202, v232, v17
	v_dot4c_i32_i8_e32 v210, v232, v25
	v_dot4c_i32_i8_e32 v1, v232, v29
	v_dot4c_i32_i8_e32 v5, v232, v41
	v_dot4c_i32_i8_e32 v8, v232, v49
	v_dot4c_i32_i8_e32 v218, v236, v17
	v_dot4c_i32_i8_e32 v9, v236, v25
	v_dot4c_i32_i8_e32 v219, v236, v29
	v_dot4c_i32_i8_e32 v10, v236, v41
	v_dot4c_i32_i8_e32 v220, v236, v49
	v_dot4c_i32_i8_e32 v221, v240, v17
	v_dot4c_i32_i8_e32 v16, v240, v25
	v_dot4c_i32_i8_e32 v222, v240, v29
	v_dot4c_i32_i8_e32 v24, v240, v41
	v_dot4c_i32_i8_e32 v28, v240, v49
	v_dot4c_i32_i8_e32 v201, v228, v18
	v_dot4c_i32_i8_e32 v203, v228, v26
	v_dot4c_i32_i8_e32 v204, v228, v30
	v_dot4c_i32_i8_e32 v205, v228, v42
	v_dot4c_i32_i8_e32 v206, v228, v50
	v_dot4c_i32_i8_e32 v202, v229, v13
	v_dot4c_i32_i8_e32 v218, v235, v13
	v_dot4c_i32_i8_e32 v210, v229, v21
	v_dot4c_i32_i8_e32 v9, v235, v21
	v_dot4c_i32_i8_e32 v1, v229, v33
	v_dot4c_i32_i8_e32 v219, v235, v33
	v_dot4c_i32_i8_e32 v5, v229, v37
	v_dot4c_i32_i8_e32 v10, v235, v37
	v_dot4c_i32_i8_e32 v8, v229, v45
	v_dot4c_i32_i8_e32 v220, v235, v45
	v_dot4c_i32_i8_e32 v221, v242, v13
	v_dot4c_i32_i8_e32 v16, v242, v21
	v_dot4c_i32_i8_e32 v222, v242, v33
	v_dot4c_i32_i8_e32 v24, v242, v37
	v_dot4c_i32_i8_e32 v28, v242, v45
	v_dot4c_i32_i8_e32 v201, v225, v14
	v_dot4c_i32_i8_e32 v203, v225, v22
	v_dot4c_i32_i8_e32 v204, v225, v34
	v_dot4c_i32_i8_e32 v205, v225, v38
	v_dot4c_i32_i8_e32 v206, v225, v46
	v_dot4c_i32_i8_e32 v202, v233, v18
	v_dot4c_i32_i8_e32 v218, v238, v18
	v_dot4c_i32_i8_e32 v210, v233, v26
	v_dot4c_i32_i8_e32 v9, v238, v26
	v_dot4c_i32_i8_e32 v1, v233, v30
	v_dot4c_i32_i8_e32 v219, v238, v30
	v_dot4c_i32_i8_e32 v5, v233, v42
	v_dot4c_i32_i8_e32 v10, v238, v42
	v_dot4c_i32_i8_e32 v8, v233, v50
	v_dot4c_i32_i8_e32 v220, v238, v50
	v_dot4c_i32_i8_e32 v221, v241, v18
	v_dot4c_i32_i8_e32 v16, v241, v26
	v_dot4c_i32_i8_e32 v222, v241, v30
	v_dot4c_i32_i8_e32 v24, v241, v42
	v_dot4c_i32_i8_e32 v28, v241, v50
	v_dot4c_i32_i8_e32 v201, v223, v19
	v_dot4c_i32_i8_e32 v203, v223, v27
	v_dot4c_i32_i8_e32 v204, v223, v31
	v_dot4c_i32_i8_e32 v205, v223, v43
	v_dot4c_i32_i8_e32 v206, v223, v51
	v_and_b32_e32 v17, 0xf0f0f0f, v214
	v_dot4c_i32_i8_e32 v202, v211, v14
	v_dot4c_i32_i8_e32 v218, v212, v14
	;; [unrolled: 1-line block ×15, first 2 shown]
	v_and_b32_e32 v25, 0xf0f0f0f, v215
	v_and_b32_e32 v29, 0xf0f0f0f, v216
	;; [unrolled: 1-line block ×3, first 2 shown]
	v_dot4c_i32_i8_e32 v202, v207, v19
	v_dot4c_i32_i8_e32 v218, v208, v19
	;; [unrolled: 1-line block ×29, first 2 shown]
	v_cvt_f32_i32_e32 v19, v193
	v_cvt_f32_i32_e32 v18, v189
	v_dot4c_i32_i8_e32 v197, v25, v11
	v_dot4c_i32_i8_e32 v199, v29, v11
	v_dot4c_i32_i8_e32 v200, v30, v11
	v_cvt_f32_i32_e32 v27, v201
	v_cvt_f32_i32_e32 v26, v198
	v_dot4c_i32_i8_e32 v202, v25, v15
	v_dot4c_i32_i8_e32 v218, v29, v15
	v_dot4c_i32_i8_e32 v221, v30, v15
	v_dot4c_i32_i8_e32 v210, v25, v23
	v_dot4c_i32_i8_e32 v9, v29, v23
	v_dot4c_i32_i8_e32 v16, v30, v23
	v_cvt_f32_i32_e32 v15, v204
	v_cvt_f32_i32_e32 v14, v203
	v_dot4c_i32_i8_e32 v1, v25, v35
	v_dot4c_i32_i8_e32 v219, v29, v35
	v_dot4c_i32_i8_e32 v222, v30, v35
	;; [unrolled: 8-line block ×3, first 2 shown]
	ds_read_b32 v0, v187
	v_cvt_f32_i32_e32 v31, v194
	v_cvt_f32_i32_e32 v30, v190
	v_cvt_f32_i32_e32 v35, v195
	v_cvt_f32_i32_e32 v34, v191
	v_cvt_f32_i32_e32 v39, v196
	v_cvt_f32_i32_e32 v38, v192
	v_cvt_f32_i32_e32 v41, v202
	v_cvt_f32_i32_e32 v40, v197
	v_cvt_f32_i32_e32 v43, v218
	v_cvt_f32_i32_e32 v42, v199
	v_cvt_f32_i32_e32 v45, v221
	v_cvt_f32_i32_e32 v44, v200
	v_cvt_f32_i32_e32 v47, v1
	v_cvt_f32_i32_e32 v46, v210
	v_cvt_f32_i32_e32 v49, v219
	v_cvt_f32_i32_e32 v48, v9
	v_cvt_f32_i32_e32 v17, v222
	v_cvt_f32_i32_e32 v16, v16
	v_cvt_f32_i32_e32 v9, v8
	v_cvt_f32_i32_e32 v8, v5
	v_cvt_f32_i32_e32 v11, v220
	v_cvt_f32_i32_e32 v10, v10
	v_cvt_f32_i32_e32 v25, v28
	v_cvt_f32_i32_e32 v24, v24
	v_pk_mul_f32 v[12:13], v[142:143], s[0:1] op_sel_hi:[1,0]
	v_pk_mul_f32 v[20:21], v[144:145], s[0:1] op_sel_hi:[1,0]
	;; [unrolled: 1-line block ×4, first 2 shown]
	v_pk_fma_f32 v[18:19], v[140:141], v[18:19], v[12:13] neg_lo:[0,0,1] neg_hi:[0,0,1]
	v_pk_fma_f32 v[26:27], v[26:27], v[138:139], v[20:21] neg_lo:[0,0,1] neg_hi:[0,0,1]
	;; [unrolled: 1-line block ×4, first 2 shown]
	s_add_i32 s4, s4, 4
	s_waitcnt lgkmcnt(3)
	v_pk_fma_f32 v[114:115], v[2:3], v[18:19], v[114:115] op_sel_hi:[0,1,1]
	v_pk_fma_f32 v[18:19], v[140:141], v[30:31], v[12:13] neg_lo:[0,0,1] neg_hi:[0,0,1]
	v_pk_fma_f32 v[28:29], v[140:141], v[34:35], v[12:13] neg_lo:[0,0,1] neg_hi:[0,0,1]
	v_pk_fma_f32 v[12:13], v[140:141], v[38:39], v[12:13] neg_lo:[0,0,1] neg_hi:[0,0,1]
	v_pk_fma_f32 v[74:75], v[2:3], v[26:27], v[74:75] op_sel_hi:[0,1,1]
	v_pk_fma_f32 v[26:27], v[40:41], v[138:139], v[20:21] neg_lo:[0,0,1] neg_hi:[0,0,1]
	v_pk_fma_f32 v[30:31], v[42:43], v[138:139], v[20:21] neg_lo:[0,0,1] neg_hi:[0,0,1]
	v_pk_fma_f32 v[20:21], v[44:45], v[138:139], v[20:21] neg_lo:[0,0,1] neg_hi:[0,0,1]
	v_pk_fma_f32 v[66:67], v[2:3], v[14:15], v[66:67] op_sel_hi:[0,1,1]
	v_pk_fma_f32 v[14:15], v[46:47], v[136:137], v[32:33] neg_lo:[0,0,1] neg_hi:[0,0,1]
	v_pk_fma_f32 v[34:35], v[48:49], v[136:137], v[32:33] neg_lo:[0,0,1] neg_hi:[0,0,1]
	v_pk_fma_f32 v[16:17], v[16:17], v[136:137], v[32:33] neg_lo:[0,0,1] neg_hi:[0,0,1]
	v_pk_fma_f32 v[58:59], v[2:3], v[22:23], v[58:59] op_sel_hi:[0,1,1]
	v_pk_fma_f32 v[2:3], v[8:9], v[134:135], v[36:37] neg_lo:[0,0,1] neg_hi:[0,0,1]
	v_pk_fma_f32 v[8:9], v[10:11], v[134:135], v[36:37] neg_lo:[0,0,1] neg_hi:[0,0,1]
	v_pk_fma_f32 v[10:11], v[24:25], v[134:135], v[36:37] neg_lo:[0,0,1] neg_hi:[0,0,1]
	v_add_u32_e32 v188, 16, v188
	v_add_u32_e32 v187, 4, v187
	;; [unrolled: 1-line block ×7, first 2 shown]
	s_cmp_lt_u32 s4, 12
	s_waitcnt lgkmcnt(2)
	v_pk_fma_f32 v[112:113], v[4:5], v[18:19], v[112:113] op_sel_hi:[0,1,1]
	s_waitcnt lgkmcnt(1)
	v_pk_fma_f32 v[106:107], v[6:7], v[28:29], v[106:107] op_sel_hi:[0,1,1]
	;; [unrolled: 2-line block ×3, first 2 shown]
	v_pk_fma_f32 v[72:73], v[4:5], v[26:27], v[72:73] op_sel_hi:[0,1,1]
	v_pk_fma_f32 v[70:71], v[6:7], v[30:31], v[70:71] op_sel_hi:[0,1,1]
	;; [unrolled: 1-line block ×9, first 2 shown]
	s_cbranch_scc1 .LBB117_9
; %bb.10:                               ;   in Loop: Header=BB117_7 Depth=1
	s_and_b32 s4, s14, -4
	s_cmp_eq_u32 s4, 4
	s_barrier
	s_cbranch_scc1 .LBB117_6
; %bb.11:                               ;   in Loop: Header=BB117_7 Depth=1
	v_add_u32_e32 v14, s15, v157
	v_add_u32_e32 v0, v14, v131
	;; [unrolled: 1-line block ×6, first 2 shown]
	v_mad_i64_i32 v[0:1], s[4:5], v0, 36, v[118:119]
	v_mad_i64_i32 v[2:3], s[4:5], v2, 36, v[118:119]
	;; [unrolled: 1-line block ×4, first 2 shown]
	v_add_u32_e32 v8, v14, v152
	v_add_u32_e32 v10, v14, v153
	;; [unrolled: 1-line block ×4, first 2 shown]
	v_mad_u64_u32 v[16:17], s[4:5], v16, 36, s[2:3]
	v_mad_i64_i32 v[8:9], s[4:5], v8, 36, v[118:119]
	v_mad_i64_i32 v[10:11], s[4:5], v10, 36, v[118:119]
	;; [unrolled: 1-line block ×4, first 2 shown]
	global_load_dword v16, v[16:17], off
	s_nop 0
	global_load_dword v0, v[0:1], off offset:4
	s_nop 0
	global_load_dword v1, v[2:3], off offset:4
	;; [unrolled: 2-line block ×3, first 2 shown]
	global_load_dword v3, v[6:7], off offset:4
	s_nop 0
	global_load_dword v4, v[8:9], off offset:4
	global_load_dword v5, v[10:11], off offset:4
                                        ; kill: killed $vgpr8_vgpr9
                                        ; kill: killed $vgpr10_vgpr11
	global_load_dword v6, v[12:13], off offset:4
	global_load_dword v7, v[14:15], off offset:4
	s_mov_b32 s4, 12
	v_mov_b32_e32 v9, v163
	v_mov_b32_e32 v11, v165
	v_mov_b32_e32 v13, v171
	v_mov_b32_e32 v15, v170
	v_mov_b32_e32 v18, v169
	v_mov_b32_e32 v19, v168
	v_mov_b32_e32 v20, v167
	s_waitcnt vmcnt(8)
	ds_write_b32 v117, v16
	s_waitcnt vmcnt(7)
	ds_write_b32 v173, v0
	;; [unrolled: 2-line block ×9, first 2 shown]
	s_waitcnt lgkmcnt(0)
	s_barrier
.LBB117_12:                             ;   Parent Loop BB117_7 Depth=1
                                        ; =>  This Inner Loop Header: Depth=2
	ds_read_b128 v[0:3], v11
	ds_read_b128 v[4:7], v11 offset:16
	ds_read2_b32 v[16:17], v9 offset1:32
	ds_read_b32 v8, v13
	ds_read2_b32 v[22:23], v20 offset1:1
	ds_read2_b32 v[32:33], v20 offset0:2 offset1:3
	v_add_u32_e32 v12, 0x1080, v20
	v_add_u32_e32 v14, 0x2100, v20
	v_mov_b32_e32 v140, 0
	s_waitcnt lgkmcnt(1)
	v_lshrrev_b32_e32 v10, 4, v22
	v_and_b32_e32 v21, 0xf0f0f0f, v22
	v_and_b32_e32 v22, 0xf0f0f0f, v10
	v_lshrrev_b32_e32 v10, 4, v23
	v_and_b32_e32 v26, 0xf0f0f0f, v10
	s_waitcnt lgkmcnt(0)
	v_lshrrev_b32_e32 v10, 4, v32
	v_and_b32_e32 v30, 0xf0f0f0f, v10
	v_lshrrev_b32_e32 v10, 4, v33
	v_and_b32_e32 v29, 0xf0f0f0f, v32
	v_and_b32_e32 v32, 0xf0f0f0f, v10
	ds_read_b32 v10, v15
	ds_read2_b32 v[34:35], v12 offset1:1
	v_and_b32_e32 v25, 0xf0f0f0f, v23
	v_and_b32_e32 v31, 0xf0f0f0f, v33
	v_mov_b32_e32 v142, 0
	v_mov_b32_e32 v143, 0
	s_waitcnt lgkmcnt(0)
	v_lshrrev_b32_e32 v12, 4, v34
	v_and_b32_e32 v24, 0xf0f0f0f, v12
	v_lshrrev_b32_e32 v12, 4, v35
	v_and_b32_e32 v28, 0xf0f0f0f, v12
	v_add_u32_e32 v12, 0x1088, v20
	ds_read2_b32 v[38:39], v12 offset1:1
	v_and_b32_e32 v27, 0xf0f0f0f, v35
	v_and_b32_e32 v23, 0xf0f0f0f, v34
	v_mov_b32_e32 v144, 0
	v_dot4c_i32_i8_e32 v140, v21, v0
	s_waitcnt lgkmcnt(0)
	v_lshrrev_b32_e32 v12, 4, v38
	v_and_b32_e32 v36, 0xf0f0f0f, v12
	v_lshrrev_b32_e32 v12, 4, v39
	v_and_b32_e32 v35, 0xf0f0f0f, v38
	v_and_b32_e32 v38, 0xf0f0f0f, v12
	ds_read_b32 v12, v18
	ds_read2_b32 v[40:41], v14 offset1:1
	v_and_b32_e32 v37, 0xf0f0f0f, v39
	v_dot4c_i32_i8_e32 v142, v23, v0
	v_dot4c_i32_i8_e32 v140, v22, v4
	v_dot4c_i32_i8_e32 v142, v24, v4
	s_waitcnt lgkmcnt(0)
	v_lshrrev_b32_e32 v14, 4, v40
	v_and_b32_e32 v34, 0xf0f0f0f, v14
	v_lshrrev_b32_e32 v14, 4, v41
	v_and_b32_e32 v33, 0xf0f0f0f, v40
	v_and_b32_e32 v40, 0xf0f0f0f, v14
	v_add_u32_e32 v14, 0x2108, v20
	ds_read2_b32 v[44:45], v14 offset1:1
	v_and_b32_e32 v39, 0xf0f0f0f, v41
	v_dot4c_i32_i8_e32 v143, v33, v0
	v_dot4c_i32_i8_e32 v143, v34, v4
	;; [unrolled: 1-line block ×3, first 2 shown]
	s_waitcnt lgkmcnt(0)
	v_lshrrev_b32_e32 v14, 4, v44
	v_and_b32_e32 v42, 0xf0f0f0f, v14
	v_lshrrev_b32_e32 v14, 4, v45
	v_and_b32_e32 v41, 0xf0f0f0f, v44
	v_and_b32_e32 v43, 0xf0f0f0f, v45
	;; [unrolled: 1-line block ×3, first 2 shown]
	v_add_u32_e32 v45, 0x3180, v20
	ds_read_b32 v14, v19
	ds_read2_b32 v[46:47], v45 offset1:1
	v_dot4c_i32_i8_e32 v142, v27, v1
	v_dot4c_i32_i8_e32 v143, v39, v1
	;; [unrolled: 1-line block ×4, first 2 shown]
	s_waitcnt lgkmcnt(0)
	v_and_b32_e32 v45, 0xf0f0f0f, v46
	v_lshrrev_b32_e32 v46, 4, v46
	v_and_b32_e32 v46, 0xf0f0f0f, v46
	v_dot4c_i32_i8_e32 v144, v45, v0
	v_dot4c_i32_i8_e32 v144, v46, v4
	v_and_b32_e32 v0, 0xf0f0f0f, v47
	v_dot4c_i32_i8_e32 v144, v0, v1
	v_add_u32_e32 v1, 0x3188, v20
	ds_read2_b32 v[48:49], v1 offset1:1
	v_lshrrev_b32_e32 v4, 4, v47
	v_and_b32_e32 v4, 0xf0f0f0f, v4
	v_dot4c_i32_i8_e32 v143, v40, v5
	v_dot4c_i32_i8_e32 v144, v4, v5
	s_waitcnt lgkmcnt(0)
	v_and_b32_e32 v1, 0xf0f0f0f, v48
	v_lshrrev_b32_e32 v5, 4, v48
	v_dot4c_i32_i8_e32 v140, v29, v2
	v_dot4c_i32_i8_e32 v142, v35, v2
	v_dot4c_i32_i8_e32 v143, v41, v2
	v_and_b32_e32 v5, 0xf0f0f0f, v5
	v_dot4c_i32_i8_e32 v144, v1, v2
	v_dot4c_i32_i8_e32 v140, v30, v6
	v_dot4c_i32_i8_e32 v142, v36, v6
	v_dot4c_i32_i8_e32 v143, v42, v6
	v_dot4c_i32_i8_e32 v144, v5, v6
	v_and_b32_e32 v2, 0xf0f0f0f, v49
	v_lshrrev_b32_e32 v6, 4, v49
	ds_read_b128 v[48:51], v11 offset:1024
	ds_read_b128 v[134:137], v11 offset:1040
	v_dot4c_i32_i8_e32 v140, v31, v3
	v_dot4c_i32_i8_e32 v142, v37, v3
	;; [unrolled: 1-line block ×4, first 2 shown]
	v_mov_b32_e32 v3, 0
	s_waitcnt lgkmcnt(1)
	v_dot4c_i32_i8_e32 v3, v21, v48
	s_waitcnt lgkmcnt(0)
	v_dot4c_i32_i8_e32 v3, v22, v134
	v_dot4c_i32_i8_e32 v3, v25, v49
	;; [unrolled: 1-line block ×8, first 2 shown]
	v_cvt_f32_f16_e32 v139, v17
	v_cvt_f32_f16_e32 v138, v16
	v_cvt_f32_i32_e32 v141, v3
	v_mov_b32_e32 v3, 0
	v_dot4c_i32_i8_e32 v3, v23, v48
	v_dot4c_i32_i8_e32 v3, v24, v134
	v_cvt_f32_f16_sdwa v17, v17 dst_sel:DWORD dst_unused:UNUSED_PAD src0_sel:WORD_1
	v_cvt_f32_f16_sdwa v16, v16 dst_sel:DWORD dst_unused:UNUSED_PAD src0_sel:WORD_1
	v_dot4c_i32_i8_e32 v3, v27, v49
	v_cvt_f32_i32_e32 v140, v140
	v_dot4c_i32_i8_e32 v3, v28, v135
	v_dot4c_i32_i8_e32 v3, v35, v50
	;; [unrolled: 1-line block ×3, first 2 shown]
	v_pk_mul_f32 v[16:17], v[16:17], s[0:1] op_sel_hi:[1,0]
	v_dot4c_i32_i8_e32 v3, v37, v51
	v_pk_fma_f32 v[140:141], v[138:139], v[140:141], v[16:17] neg_lo:[0,0,1] neg_hi:[0,0,1]
	v_dot4c_i32_i8_e32 v3, v38, v137
	v_pk_fma_f32 v[114:115], v[8:9], v[140:141], v[114:115] op_sel_hi:[0,1,1]
	v_dot4c_i32_i8_e32 v142, v38, v7
	v_and_b32_e32 v6, 0xf0f0f0f, v6
	v_cvt_f32_i32_e32 v141, v3
	v_mov_b32_e32 v3, 0
	v_dot4c_i32_i8_e32 v3, v33, v48
	v_dot4c_i32_i8_e32 v3, v34, v134
	;; [unrolled: 1-line block ×3, first 2 shown]
	v_cvt_f32_i32_e32 v140, v142
	v_dot4c_i32_i8_e32 v3, v40, v135
	v_dot4c_i32_i8_e32 v3, v41, v50
	;; [unrolled: 1-line block ×4, first 2 shown]
	v_pk_fma_f32 v[140:141], v[138:139], v[140:141], v[16:17] neg_lo:[0,0,1] neg_hi:[0,0,1]
	v_dot4c_i32_i8_e32 v3, v44, v137
	v_pk_fma_f32 v[112:113], v[10:11], v[140:141], v[112:113] op_sel_hi:[0,1,1]
	v_dot4c_i32_i8_e32 v143, v44, v7
	v_dot4c_i32_i8_e32 v144, v6, v7
	v_cvt_f32_i32_e32 v141, v3
	v_mov_b32_e32 v3, 0
	v_dot4c_i32_i8_e32 v3, v45, v48
	v_dot4c_i32_i8_e32 v3, v46, v134
	;; [unrolled: 1-line block ×8, first 2 shown]
	v_cvt_f32_i32_e32 v140, v143
	v_cvt_f32_i32_e32 v48, v144
	v_mov_b32_e32 v7, 0
	v_cvt_f32_i32_e32 v49, v3
	v_pk_fma_f32 v[140:141], v[138:139], v[140:141], v[16:17] neg_lo:[0,0,1] neg_hi:[0,0,1]
	v_mov_b32_e32 v3, 0
	v_mov_b32_e32 v47, 0
	v_pk_fma_f32 v[16:17], v[138:139], v[48:49], v[16:17] neg_lo:[0,0,1] neg_hi:[0,0,1]
	v_mov_b32_e32 v142, 0
	v_pk_fma_f32 v[98:99], v[14:15], v[16:17], v[98:99] op_sel_hi:[0,1,1]
	ds_read_b128 v[48:51], v11 offset:2048
	ds_read_b128 v[134:137], v11 offset:2064
	ds_read2_b32 v[16:17], v9 offset0:64 offset1:96
	v_pk_fma_f32 v[106:107], v[12:13], v[140:141], v[106:107] op_sel_hi:[0,1,1]
	v_mov_b32_e32 v140, 0
	s_waitcnt lgkmcnt(2)
	v_dot4c_i32_i8_e32 v3, v21, v48
	v_dot4c_i32_i8_e32 v7, v23, v48
	;; [unrolled: 1-line block ×4, first 2 shown]
	s_waitcnt lgkmcnt(1)
	v_dot4c_i32_i8_e32 v3, v22, v134
	v_dot4c_i32_i8_e32 v7, v24, v134
	;; [unrolled: 1-line block ×28, first 2 shown]
	ds_read_b128 v[48:51], v11 offset:3072
	ds_read_b128 v[134:137], v11 offset:3088
	s_waitcnt lgkmcnt(2)
	v_cvt_f32_f16_e32 v139, v17
	v_cvt_f32_f16_e32 v138, v16
	v_cvt_f32_f16_sdwa v17, v17 dst_sel:DWORD dst_unused:UNUSED_PAD src0_sel:WORD_1
	s_waitcnt lgkmcnt(1)
	v_dot4c_i32_i8_e32 v140, v21, v48
	s_waitcnt lgkmcnt(0)
	v_dot4c_i32_i8_e32 v140, v22, v134
	v_dot4c_i32_i8_e32 v140, v25, v49
	;; [unrolled: 1-line block ×7, first 2 shown]
	v_cvt_f32_f16_sdwa v16, v16 dst_sel:DWORD dst_unused:UNUSED_PAD src0_sel:WORD_1
	s_add_i32 s4, s4, 4
	v_add_u32_e32 v20, 16, v20
	v_cvt_f32_i32_e32 v141, v140
	v_cvt_f32_i32_e32 v140, v3
	v_mov_b32_e32 v3, 0
	v_dot4c_i32_i8_e32 v3, v23, v48
	v_dot4c_i32_i8_e32 v3, v24, v134
	;; [unrolled: 1-line block ×6, first 2 shown]
	v_pk_mul_f32 v[16:17], v[16:17], s[0:1] op_sel_hi:[1,0]
	v_dot4c_i32_i8_e32 v3, v37, v51
	v_pk_fma_f32 v[140:141], v[140:141], v[138:139], v[16:17] neg_lo:[0,0,1] neg_hi:[0,0,1]
	v_dot4c_i32_i8_e32 v3, v38, v137
	v_pk_fma_f32 v[74:75], v[8:9], v[140:141], v[74:75] op_sel_hi:[0,1,1]
	v_cvt_f32_i32_e32 v140, v7
	v_mov_b32_e32 v7, 0
	v_cvt_f32_i32_e32 v141, v3
	v_mov_b32_e32 v3, 0
	v_dot4c_i32_i8_e32 v3, v33, v48
	v_dot4c_i32_i8_e32 v3, v34, v134
	;; [unrolled: 1-line block ×7, first 2 shown]
	v_pk_fma_f32 v[140:141], v[140:141], v[138:139], v[16:17] neg_lo:[0,0,1] neg_hi:[0,0,1]
	v_dot4c_i32_i8_e32 v3, v44, v137
	v_pk_fma_f32 v[72:73], v[10:11], v[140:141], v[72:73] op_sel_hi:[0,1,1]
	v_cvt_f32_i32_e32 v140, v47
	v_mov_b32_e32 v47, 0
	v_cvt_f32_i32_e32 v141, v3
	v_mov_b32_e32 v3, 0
	v_dot4c_i32_i8_e32 v3, v45, v48
	v_dot4c_i32_i8_e32 v3, v46, v134
	;; [unrolled: 1-line block ×8, first 2 shown]
	v_cvt_f32_i32_e32 v48, v142
	v_pk_fma_f32 v[140:141], v[140:141], v[138:139], v[16:17] neg_lo:[0,0,1] neg_hi:[0,0,1]
	v_mov_b32_e32 v142, 0
	v_cvt_f32_i32_e32 v49, v3
	v_mov_b32_e32 v3, 0
	v_pk_fma_f32 v[70:71], v[12:13], v[140:141], v[70:71] op_sel_hi:[0,1,1]
	v_mov_b32_e32 v140, 0
	v_pk_fma_f32 v[16:17], v[48:49], v[138:139], v[16:17] neg_lo:[0,0,1] neg_hi:[0,0,1]
	v_add_u32_e32 v19, 4, v19
	v_pk_fma_f32 v[68:69], v[14:15], v[16:17], v[68:69] op_sel_hi:[0,1,1]
	ds_read_b128 v[48:51], v11 offset:4096
	ds_read_b128 v[134:137], v11 offset:4112
	ds_read2_b32 v[16:17], v9 offset0:128 offset1:160
	v_add_u32_e32 v18, 4, v18
	s_cmp_lt_u32 s4, 28
	s_waitcnt lgkmcnt(2)
	v_dot4c_i32_i8_e32 v3, v21, v48
	v_dot4c_i32_i8_e32 v7, v23, v48
	;; [unrolled: 1-line block ×4, first 2 shown]
	s_waitcnt lgkmcnt(1)
	v_dot4c_i32_i8_e32 v3, v22, v134
	v_dot4c_i32_i8_e32 v7, v24, v134
	v_dot4c_i32_i8_e32 v47, v34, v134
	v_dot4c_i32_i8_e32 v142, v46, v134
	v_dot4c_i32_i8_e32 v3, v25, v49
	v_dot4c_i32_i8_e32 v7, v27, v49
	v_dot4c_i32_i8_e32 v47, v39, v49
	v_dot4c_i32_i8_e32 v142, v0, v49
	v_dot4c_i32_i8_e32 v3, v26, v135
	v_dot4c_i32_i8_e32 v7, v28, v135
	v_dot4c_i32_i8_e32 v47, v40, v135
	v_dot4c_i32_i8_e32 v142, v4, v135
	v_dot4c_i32_i8_e32 v3, v29, v50
	v_dot4c_i32_i8_e32 v7, v35, v50
	v_dot4c_i32_i8_e32 v47, v41, v50
	v_dot4c_i32_i8_e32 v142, v1, v50
	v_dot4c_i32_i8_e32 v3, v30, v136
	v_dot4c_i32_i8_e32 v7, v36, v136
	v_dot4c_i32_i8_e32 v47, v42, v136
	v_dot4c_i32_i8_e32 v142, v5, v136
	v_dot4c_i32_i8_e32 v3, v31, v51
	v_dot4c_i32_i8_e32 v7, v37, v51
	v_dot4c_i32_i8_e32 v47, v43, v51
	v_dot4c_i32_i8_e32 v142, v2, v51
	v_dot4c_i32_i8_e32 v3, v32, v137
	v_dot4c_i32_i8_e32 v7, v38, v137
	v_dot4c_i32_i8_e32 v47, v44, v137
	v_dot4c_i32_i8_e32 v142, v6, v137
	ds_read_b128 v[48:51], v11 offset:5120
	ds_read_b128 v[134:137], v11 offset:5136
	s_waitcnt lgkmcnt(2)
	v_cvt_f32_f16_e32 v139, v17
	v_cvt_f32_f16_e32 v138, v16
	v_cvt_f32_f16_sdwa v17, v17 dst_sel:DWORD dst_unused:UNUSED_PAD src0_sel:WORD_1
	s_waitcnt lgkmcnt(1)
	v_dot4c_i32_i8_e32 v140, v21, v48
	s_waitcnt lgkmcnt(0)
	v_dot4c_i32_i8_e32 v140, v22, v134
	v_dot4c_i32_i8_e32 v140, v25, v49
	;; [unrolled: 1-line block ×7, first 2 shown]
	v_cvt_f32_f16_sdwa v16, v16 dst_sel:DWORD dst_unused:UNUSED_PAD src0_sel:WORD_1
	v_pk_mul_f32 v[16:17], v[16:17], s[0:1] op_sel_hi:[1,0]
	s_nop 0
	v_cvt_f32_i32_e32 v141, v140
	v_cvt_f32_i32_e32 v140, v3
	v_mov_b32_e32 v3, 0
	v_dot4c_i32_i8_e32 v3, v23, v48
	v_dot4c_i32_i8_e32 v3, v24, v134
	;; [unrolled: 1-line block ×7, first 2 shown]
	v_pk_fma_f32 v[140:141], v[140:141], v[138:139], v[16:17] neg_lo:[0,0,1] neg_hi:[0,0,1]
	v_dot4c_i32_i8_e32 v3, v38, v137
	v_pk_fma_f32 v[66:67], v[8:9], v[140:141], v[66:67] op_sel_hi:[0,1,1]
	v_cvt_f32_i32_e32 v140, v7
	v_mov_b32_e32 v7, 0
	v_cvt_f32_i32_e32 v141, v3
	v_mov_b32_e32 v3, 0
	v_dot4c_i32_i8_e32 v3, v33, v48
	v_dot4c_i32_i8_e32 v3, v34, v134
	;; [unrolled: 1-line block ×7, first 2 shown]
	v_pk_fma_f32 v[140:141], v[140:141], v[138:139], v[16:17] neg_lo:[0,0,1] neg_hi:[0,0,1]
	v_dot4c_i32_i8_e32 v3, v44, v137
	v_pk_fma_f32 v[64:65], v[10:11], v[140:141], v[64:65] op_sel_hi:[0,1,1]
	v_cvt_f32_i32_e32 v140, v47
	v_mov_b32_e32 v47, 0
	v_cvt_f32_i32_e32 v141, v3
	v_mov_b32_e32 v3, 0
	v_dot4c_i32_i8_e32 v3, v45, v48
	v_dot4c_i32_i8_e32 v3, v46, v134
	;; [unrolled: 1-line block ×8, first 2 shown]
	v_cvt_f32_i32_e32 v48, v142
	v_pk_fma_f32 v[140:141], v[140:141], v[138:139], v[16:17] neg_lo:[0,0,1] neg_hi:[0,0,1]
	s_nop 0
	v_cvt_f32_i32_e32 v49, v3
	v_pk_fma_f32 v[62:63], v[12:13], v[140:141], v[62:63] op_sel_hi:[0,1,1]
	v_mov_b32_e32 v3, 0
	v_mov_b32_e32 v140, 0
	v_pk_fma_f32 v[16:17], v[48:49], v[138:139], v[16:17] neg_lo:[0,0,1] neg_hi:[0,0,1]
	v_mov_b32_e32 v138, 0
	v_pk_fma_f32 v[60:61], v[14:15], v[16:17], v[60:61] op_sel_hi:[0,1,1]
	ds_read_b128 v[48:51], v11 offset:6144
	ds_read_b128 v[134:137], v11 offset:6160
	ds_read2_b32 v[16:17], v9 offset0:192 offset1:224
	s_waitcnt lgkmcnt(2)
	v_dot4c_i32_i8_e32 v3, v21, v48
	v_dot4c_i32_i8_e32 v7, v23, v48
	;; [unrolled: 1-line block ×4, first 2 shown]
	s_waitcnt lgkmcnt(1)
	v_dot4c_i32_i8_e32 v3, v22, v134
	v_dot4c_i32_i8_e32 v7, v24, v134
	;; [unrolled: 1-line block ×28, first 2 shown]
	ds_read_b128 v[48:51], v11 offset:7168
	ds_read_b128 v[134:137], v11 offset:7184
	s_waitcnt lgkmcnt(1)
	v_dot4c_i32_i8_e32 v138, v21, v48
	s_waitcnt lgkmcnt(0)
	v_dot4c_i32_i8_e32 v138, v22, v134
	v_dot4c_i32_i8_e32 v138, v25, v49
	v_dot4c_i32_i8_e32 v138, v26, v135
	v_dot4c_i32_i8_e32 v138, v29, v50
	v_dot4c_i32_i8_e32 v138, v30, v136
	v_dot4c_i32_i8_e32 v138, v31, v51
	v_dot4c_i32_i8_e32 v138, v32, v137
	v_cvt_f32_f16_e32 v31, v17
	v_cvt_f32_f16_e32 v30, v16
	v_cvt_f32_f16_sdwa v17, v17 dst_sel:DWORD dst_unused:UNUSED_PAD src0_sel:WORD_1
	v_cvt_f32_i32_e32 v139, v138
	v_cvt_f32_i32_e32 v138, v3
	v_mov_b32_e32 v3, 0
	v_dot4c_i32_i8_e32 v3, v23, v48
	v_dot4c_i32_i8_e32 v3, v24, v134
	v_dot4c_i32_i8_e32 v3, v27, v49
	v_dot4c_i32_i8_e32 v3, v28, v135
	v_dot4c_i32_i8_e32 v3, v35, v50
	v_dot4c_i32_i8_e32 v3, v36, v136
	v_dot4c_i32_i8_e32 v3, v37, v51
	v_dot4c_i32_i8_e32 v3, v38, v137
	v_cvt_f32_f16_sdwa v16, v16 dst_sel:DWORD dst_unused:UNUSED_PAD src0_sel:WORD_1
	v_cvt_f32_i32_e32 v22, v7
	v_pk_mul_f32 v[16:17], v[16:17], s[0:1] op_sel_hi:[1,0]
	v_cvt_f32_i32_e32 v23, v3
	v_mov_b32_e32 v3, 0
	v_dot4c_i32_i8_e32 v3, v33, v48
	v_dot4c_i32_i8_e32 v3, v34, v134
	;; [unrolled: 1-line block ×7, first 2 shown]
	v_pk_fma_f32 v[22:23], v[22:23], v[30:31], v[16:17] neg_lo:[0,0,1] neg_hi:[0,0,1]
	v_dot4c_i32_i8_e32 v3, v44, v137
	v_pk_fma_f32 v[56:57], v[10:11], v[22:23], v[56:57] op_sel_hi:[0,1,1]
	v_cvt_f32_i32_e32 v22, v47
	v_pk_fma_f32 v[138:139], v[138:139], v[30:31], v[16:17] neg_lo:[0,0,1] neg_hi:[0,0,1]
	v_cvt_f32_i32_e32 v23, v3
	v_mov_b32_e32 v3, 0
	v_dot4c_i32_i8_e32 v3, v45, v48
	v_dot4c_i32_i8_e32 v3, v46, v134
	;; [unrolled: 1-line block ×8, first 2 shown]
	v_cvt_f32_i32_e32 v0, v140
	v_pk_fma_f32 v[22:23], v[22:23], v[30:31], v[16:17] neg_lo:[0,0,1] neg_hi:[0,0,1]
	v_pk_fma_f32 v[58:59], v[8:9], v[138:139], v[58:59] op_sel_hi:[0,1,1]
	v_cvt_f32_i32_e32 v1, v3
	v_pk_fma_f32 v[54:55], v[12:13], v[22:23], v[54:55] op_sel_hi:[0,1,1]
	v_add_u32_e32 v13, 4, v13
	v_add_u32_e32 v11, 32, v11
	v_pk_fma_f32 v[0:1], v[0:1], v[30:31], v[16:17] neg_lo:[0,0,1] neg_hi:[0,0,1]
	v_add_u32_e32 v9, 4, v9
	v_pk_fma_f32 v[52:53], v[14:15], v[0:1], v[52:53] op_sel_hi:[0,1,1]
	v_add_u32_e32 v15, 4, v15
	s_cbranch_scc1 .LBB117_12
; %bb.13:                               ;   in Loop: Header=BB117_7 Depth=1
	s_barrier
	s_branch .LBB117_6
.LBB117_14:
	v_mov_b32_e32 v1, v81
	v_cmp_gt_u32_e32 vcc, s8, v83
	s_and_saveexec_b64 s[0:1], vcc
	s_cbranch_execz .LBB117_3
.LBB117_15:
	v_add_u32_e32 v0, s6, v77
	v_mul_lo_u32 v5, v83, s10
	v_cmp_gt_u32_e32 vcc, s10, v0
	s_and_saveexec_b64 s[0:1], vcc
	s_cbranch_execz .LBB117_17
; %bb.16:
	v_add_u32_e32 v2, v0, v5
	v_mov_b32_e32 v3, 0
	s_waitcnt lgkmcnt(0)
	v_lshl_add_u64 v[2:3], v[2:3], 2, s[12:13]
	global_store_dword v[2:3], v114, off
.LBB117_17:
	s_or_b64 exec, exec, s[0:1]
	v_add_u32_e32 v2, 32, v0
	v_cmp_gt_u32_e64 s[0:1], s10, v2
	s_and_saveexec_b64 s[2:3], s[0:1]
	s_cbranch_execz .LBB117_19
; %bb.18:
	v_add_u32_e32 v6, v2, v5
	v_mov_b32_e32 v7, 0
	s_waitcnt lgkmcnt(0)
	v_lshl_add_u64 v[6:7], v[6:7], 2, s[12:13]
	global_store_dword v[6:7], v112, off
.LBB117_19:
	s_or_b64 exec, exec, s[2:3]
	v_add_u32_e32 v3, 64, v0
	v_cmp_gt_u32_e64 s[2:3], s10, v3
	s_and_saveexec_b64 s[4:5], s[2:3]
	;; [unrolled: 12-line block ×3, first 2 shown]
	s_cbranch_execz .LBB117_23
; %bb.22:
	v_add_u32_e32 v6, v4, v5
	v_mov_b32_e32 v7, 0
	s_waitcnt lgkmcnt(0)
	v_lshl_add_u64 v[6:7], v[6:7], 2, s[12:13]
	global_store_dword v[6:7], v98, off
.LBB117_23:
	s_or_b64 exec, exec, s[6:7]
	v_add3_u32 v5, v1, s11, 8
	v_cmp_gt_u32_e64 s[6:7], s8, v5
	s_and_b64 exec, exec, s[6:7]
	s_cbranch_execz .LBB117_3
; %bb.24:
	v_mul_lo_u32 v5, v5, s10
	s_and_saveexec_b64 s[6:7], vcc
	s_cbranch_execnz .LBB117_64
; %bb.25:
	s_or_b64 exec, exec, s[6:7]
	s_and_saveexec_b64 s[6:7], s[0:1]
	s_cbranch_execnz .LBB117_65
.LBB117_26:
	s_or_b64 exec, exec, s[6:7]
	s_and_saveexec_b64 s[6:7], s[2:3]
	s_cbranch_execnz .LBB117_66
.LBB117_27:
	s_or_b64 exec, exec, s[6:7]
	s_and_saveexec_b64 s[6:7], s[4:5]
	s_cbranch_execz .LBB117_29
.LBB117_28:
	v_add_u32_e32 v6, v5, v4
	v_mov_b32_e32 v7, 0
	s_waitcnt lgkmcnt(0)
	v_lshl_add_u64 v[6:7], v[6:7], 2, s[12:13]
	global_store_dword v[6:7], v99, off
.LBB117_29:
	s_or_b64 exec, exec, s[6:7]
	v_add3_u32 v5, v1, s11, 16
	v_cmp_gt_u32_e64 s[6:7], s8, v5
	s_and_b64 exec, exec, s[6:7]
	s_cbranch_execz .LBB117_3
; %bb.30:
	v_mul_lo_u32 v5, v5, s10
	s_and_saveexec_b64 s[6:7], vcc
	s_cbranch_execnz .LBB117_67
; %bb.31:
	s_or_b64 exec, exec, s[6:7]
	s_and_saveexec_b64 s[6:7], s[0:1]
	s_cbranch_execnz .LBB117_68
.LBB117_32:
	s_or_b64 exec, exec, s[6:7]
	s_and_saveexec_b64 s[6:7], s[2:3]
	s_cbranch_execnz .LBB117_69
.LBB117_33:
	s_or_b64 exec, exec, s[6:7]
	s_and_saveexec_b64 s[6:7], s[4:5]
	s_cbranch_execz .LBB117_35
.LBB117_34:
	v_add_u32_e32 v6, v5, v4
	v_mov_b32_e32 v7, 0
	s_waitcnt lgkmcnt(0)
	v_lshl_add_u64 v[6:7], v[6:7], 2, s[12:13]
	global_store_dword v[6:7], v68, off
.LBB117_35:
	s_or_b64 exec, exec, s[6:7]
	v_add3_u32 v5, v1, s11, 24
	v_cmp_gt_u32_e64 s[6:7], s8, v5
	s_and_b64 exec, exec, s[6:7]
	s_cbranch_execz .LBB117_3
; %bb.36:
	v_mul_lo_u32 v5, v5, s10
	s_and_saveexec_b64 s[6:7], vcc
	s_cbranch_execnz .LBB117_70
; %bb.37:
	s_or_b64 exec, exec, s[6:7]
	s_and_saveexec_b64 s[6:7], s[0:1]
	s_cbranch_execnz .LBB117_71
.LBB117_38:
	s_or_b64 exec, exec, s[6:7]
	s_and_saveexec_b64 s[6:7], s[2:3]
	s_cbranch_execnz .LBB117_72
.LBB117_39:
	s_or_b64 exec, exec, s[6:7]
	s_and_saveexec_b64 s[6:7], s[4:5]
	s_cbranch_execz .LBB117_41
.LBB117_40:
	v_add_u32_e32 v6, v5, v4
	v_mov_b32_e32 v7, 0
	s_waitcnt lgkmcnt(0)
	v_lshl_add_u64 v[6:7], v[6:7], 2, s[12:13]
	global_store_dword v[6:7], v69, off
.LBB117_41:
	s_or_b64 exec, exec, s[6:7]
	v_add3_u32 v5, v1, s11, 32
	v_cmp_gt_u32_e64 s[6:7], s8, v5
	s_and_b64 exec, exec, s[6:7]
	s_cbranch_execz .LBB117_3
; %bb.42:
	v_mul_lo_u32 v5, v5, s10
	s_and_saveexec_b64 s[6:7], vcc
	s_cbranch_execnz .LBB117_73
; %bb.43:
	s_or_b64 exec, exec, s[6:7]
	s_and_saveexec_b64 s[6:7], s[0:1]
	s_cbranch_execnz .LBB117_74
.LBB117_44:
	s_or_b64 exec, exec, s[6:7]
	s_and_saveexec_b64 s[6:7], s[2:3]
	s_cbranch_execnz .LBB117_75
.LBB117_45:
	s_or_b64 exec, exec, s[6:7]
	s_and_saveexec_b64 s[6:7], s[4:5]
	s_cbranch_execz .LBB117_47
.LBB117_46:
	v_add_u32_e32 v6, v5, v4
	v_mov_b32_e32 v7, 0
	s_waitcnt lgkmcnt(0)
	v_lshl_add_u64 v[6:7], v[6:7], 2, s[12:13]
	global_store_dword v[6:7], v60, off
.LBB117_47:
	s_or_b64 exec, exec, s[6:7]
	v_add3_u32 v5, v1, s11, 40
	v_cmp_gt_u32_e64 s[6:7], s8, v5
	s_and_b64 exec, exec, s[6:7]
	s_cbranch_execz .LBB117_3
; %bb.48:
	v_mul_lo_u32 v5, v5, s10
	s_and_saveexec_b64 s[6:7], vcc
	s_cbranch_execnz .LBB117_76
; %bb.49:
	s_or_b64 exec, exec, s[6:7]
	s_and_saveexec_b64 s[6:7], s[0:1]
	s_cbranch_execnz .LBB117_77
.LBB117_50:
	s_or_b64 exec, exec, s[6:7]
	s_and_saveexec_b64 s[6:7], s[2:3]
	s_cbranch_execnz .LBB117_78
.LBB117_51:
	s_or_b64 exec, exec, s[6:7]
	s_and_saveexec_b64 s[6:7], s[4:5]
	s_cbranch_execz .LBB117_53
.LBB117_52:
	v_add_u32_e32 v6, v5, v4
	v_mov_b32_e32 v7, 0
	s_waitcnt lgkmcnt(0)
	v_lshl_add_u64 v[6:7], v[6:7], 2, s[12:13]
	global_store_dword v[6:7], v61, off
.LBB117_53:
	s_or_b64 exec, exec, s[6:7]
	v_add3_u32 v5, v1, s11, 48
	v_cmp_gt_u32_e64 s[6:7], s8, v5
	s_and_b64 exec, exec, s[6:7]
	s_cbranch_execz .LBB117_3
; %bb.54:
	v_mul_lo_u32 v5, v5, s10
	s_and_saveexec_b64 s[6:7], vcc
	s_cbranch_execnz .LBB117_79
; %bb.55:
	s_or_b64 exec, exec, s[6:7]
	s_and_saveexec_b64 s[6:7], s[0:1]
	s_cbranch_execnz .LBB117_80
.LBB117_56:
	s_or_b64 exec, exec, s[6:7]
	s_and_saveexec_b64 s[6:7], s[2:3]
	s_cbranch_execnz .LBB117_81
.LBB117_57:
	s_or_b64 exec, exec, s[6:7]
	s_and_saveexec_b64 s[6:7], s[4:5]
	s_cbranch_execz .LBB117_59
.LBB117_58:
	v_add_u32_e32 v6, v5, v4
	v_mov_b32_e32 v7, 0
	s_waitcnt lgkmcnt(0)
	v_lshl_add_u64 v[6:7], v[6:7], 2, s[12:13]
	global_store_dword v[6:7], v52, off
.LBB117_59:
	s_or_b64 exec, exec, s[6:7]
	v_add3_u32 v1, v1, s11, 56
	v_cmp_gt_u32_e64 s[6:7], s8, v1
	s_and_b64 exec, exec, s[6:7]
	s_cbranch_execz .LBB117_3
; %bb.60:
	v_mul_lo_u32 v1, v1, s10
	s_and_saveexec_b64 s[6:7], vcc
	s_cbranch_execnz .LBB117_82
; %bb.61:
	s_or_b64 exec, exec, s[6:7]
	s_and_saveexec_b64 s[6:7], s[0:1]
	s_cbranch_execnz .LBB117_83
.LBB117_62:
	s_or_b64 exec, exec, s[6:7]
	s_and_saveexec_b64 s[0:1], s[2:3]
	s_cbranch_execnz .LBB117_84
.LBB117_63:
	s_or_b64 exec, exec, s[0:1]
	s_and_b64 exec, exec, s[4:5]
	s_cbranch_execz .LBB117_3
	s_branch .LBB117_85
.LBB117_64:
	v_add_u32_e32 v6, v5, v0
	v_mov_b32_e32 v7, 0
	s_waitcnt lgkmcnt(0)
	v_lshl_add_u64 v[6:7], v[6:7], 2, s[12:13]
	global_store_dword v[6:7], v115, off
	s_or_b64 exec, exec, s[6:7]
	s_and_saveexec_b64 s[6:7], s[0:1]
	s_cbranch_execz .LBB117_26
.LBB117_65:
	v_add_u32_e32 v6, v5, v2
	v_mov_b32_e32 v7, 0
	s_waitcnt lgkmcnt(0)
	v_lshl_add_u64 v[6:7], v[6:7], 2, s[12:13]
	global_store_dword v[6:7], v113, off
	s_or_b64 exec, exec, s[6:7]
	s_and_saveexec_b64 s[6:7], s[2:3]
	s_cbranch_execz .LBB117_27
.LBB117_66:
	v_add_u32_e32 v6, v5, v3
	v_mov_b32_e32 v7, 0
	s_waitcnt lgkmcnt(0)
	v_lshl_add_u64 v[6:7], v[6:7], 2, s[12:13]
	global_store_dword v[6:7], v107, off
	s_or_b64 exec, exec, s[6:7]
	s_and_saveexec_b64 s[6:7], s[4:5]
	s_cbranch_execnz .LBB117_28
	s_branch .LBB117_29
.LBB117_67:
	v_add_u32_e32 v6, v5, v0
	v_mov_b32_e32 v7, 0
	s_waitcnt lgkmcnt(0)
	v_lshl_add_u64 v[6:7], v[6:7], 2, s[12:13]
	global_store_dword v[6:7], v74, off
	s_or_b64 exec, exec, s[6:7]
	s_and_saveexec_b64 s[6:7], s[0:1]
	s_cbranch_execz .LBB117_32
.LBB117_68:
	v_add_u32_e32 v6, v5, v2
	v_mov_b32_e32 v7, 0
	s_waitcnt lgkmcnt(0)
	v_lshl_add_u64 v[6:7], v[6:7], 2, s[12:13]
	global_store_dword v[6:7], v72, off
	s_or_b64 exec, exec, s[6:7]
	s_and_saveexec_b64 s[6:7], s[2:3]
	s_cbranch_execz .LBB117_33
.LBB117_69:
	v_add_u32_e32 v6, v5, v3
	v_mov_b32_e32 v7, 0
	s_waitcnt lgkmcnt(0)
	v_lshl_add_u64 v[6:7], v[6:7], 2, s[12:13]
	global_store_dword v[6:7], v70, off
	s_or_b64 exec, exec, s[6:7]
	s_and_saveexec_b64 s[6:7], s[4:5]
	s_cbranch_execnz .LBB117_34
	s_branch .LBB117_35
.LBB117_70:
	v_add_u32_e32 v6, v5, v0
	v_mov_b32_e32 v7, 0
	s_waitcnt lgkmcnt(0)
	v_lshl_add_u64 v[6:7], v[6:7], 2, s[12:13]
	global_store_dword v[6:7], v75, off
	s_or_b64 exec, exec, s[6:7]
	s_and_saveexec_b64 s[6:7], s[0:1]
	s_cbranch_execz .LBB117_38
.LBB117_71:
	v_add_u32_e32 v6, v5, v2
	v_mov_b32_e32 v7, 0
	s_waitcnt lgkmcnt(0)
	v_lshl_add_u64 v[6:7], v[6:7], 2, s[12:13]
	global_store_dword v[6:7], v73, off
	s_or_b64 exec, exec, s[6:7]
	s_and_saveexec_b64 s[6:7], s[2:3]
	s_cbranch_execz .LBB117_39
.LBB117_72:
	v_add_u32_e32 v6, v5, v3
	v_mov_b32_e32 v7, 0
	s_waitcnt lgkmcnt(0)
	v_lshl_add_u64 v[6:7], v[6:7], 2, s[12:13]
	global_store_dword v[6:7], v71, off
	s_or_b64 exec, exec, s[6:7]
	s_and_saveexec_b64 s[6:7], s[4:5]
	s_cbranch_execnz .LBB117_40
	s_branch .LBB117_41
.LBB117_73:
	v_add_u32_e32 v6, v5, v0
	v_mov_b32_e32 v7, 0
	s_waitcnt lgkmcnt(0)
	v_lshl_add_u64 v[6:7], v[6:7], 2, s[12:13]
	global_store_dword v[6:7], v66, off
	s_or_b64 exec, exec, s[6:7]
	s_and_saveexec_b64 s[6:7], s[0:1]
	s_cbranch_execz .LBB117_44
.LBB117_74:
	v_add_u32_e32 v6, v5, v2
	v_mov_b32_e32 v7, 0
	s_waitcnt lgkmcnt(0)
	v_lshl_add_u64 v[6:7], v[6:7], 2, s[12:13]
	global_store_dword v[6:7], v64, off
	s_or_b64 exec, exec, s[6:7]
	s_and_saveexec_b64 s[6:7], s[2:3]
	s_cbranch_execz .LBB117_45
.LBB117_75:
	v_add_u32_e32 v6, v5, v3
	v_mov_b32_e32 v7, 0
	s_waitcnt lgkmcnt(0)
	v_lshl_add_u64 v[6:7], v[6:7], 2, s[12:13]
	global_store_dword v[6:7], v62, off
	s_or_b64 exec, exec, s[6:7]
	s_and_saveexec_b64 s[6:7], s[4:5]
	s_cbranch_execnz .LBB117_46
	s_branch .LBB117_47
.LBB117_76:
	v_add_u32_e32 v6, v5, v0
	v_mov_b32_e32 v7, 0
	s_waitcnt lgkmcnt(0)
	v_lshl_add_u64 v[6:7], v[6:7], 2, s[12:13]
	global_store_dword v[6:7], v67, off
	s_or_b64 exec, exec, s[6:7]
	s_and_saveexec_b64 s[6:7], s[0:1]
	s_cbranch_execz .LBB117_50
.LBB117_77:
	v_add_u32_e32 v6, v5, v2
	v_mov_b32_e32 v7, 0
	s_waitcnt lgkmcnt(0)
	v_lshl_add_u64 v[6:7], v[6:7], 2, s[12:13]
	global_store_dword v[6:7], v65, off
	s_or_b64 exec, exec, s[6:7]
	s_and_saveexec_b64 s[6:7], s[2:3]
	s_cbranch_execz .LBB117_51
.LBB117_78:
	v_add_u32_e32 v6, v5, v3
	v_mov_b32_e32 v7, 0
	s_waitcnt lgkmcnt(0)
	v_lshl_add_u64 v[6:7], v[6:7], 2, s[12:13]
	global_store_dword v[6:7], v63, off
	s_or_b64 exec, exec, s[6:7]
	s_and_saveexec_b64 s[6:7], s[4:5]
	s_cbranch_execnz .LBB117_52
	s_branch .LBB117_53
.LBB117_79:
	v_add_u32_e32 v6, v5, v0
	v_mov_b32_e32 v7, 0
	s_waitcnt lgkmcnt(0)
	v_lshl_add_u64 v[6:7], v[6:7], 2, s[12:13]
	global_store_dword v[6:7], v58, off
	s_or_b64 exec, exec, s[6:7]
	s_and_saveexec_b64 s[6:7], s[0:1]
	s_cbranch_execz .LBB117_56
.LBB117_80:
	v_add_u32_e32 v6, v5, v2
	v_mov_b32_e32 v7, 0
	s_waitcnt lgkmcnt(0)
	v_lshl_add_u64 v[6:7], v[6:7], 2, s[12:13]
	global_store_dword v[6:7], v56, off
	s_or_b64 exec, exec, s[6:7]
	s_and_saveexec_b64 s[6:7], s[2:3]
	s_cbranch_execz .LBB117_57
.LBB117_81:
	v_add_u32_e32 v6, v5, v3
	v_mov_b32_e32 v7, 0
	s_waitcnt lgkmcnt(0)
	v_lshl_add_u64 v[6:7], v[6:7], 2, s[12:13]
	global_store_dword v[6:7], v54, off
	s_or_b64 exec, exec, s[6:7]
	s_and_saveexec_b64 s[6:7], s[4:5]
	s_cbranch_execnz .LBB117_58
	s_branch .LBB117_59
.LBB117_82:
	v_add_u32_e32 v6, v1, v0
	v_mov_b32_e32 v7, 0
	s_waitcnt lgkmcnt(0)
	v_lshl_add_u64 v[6:7], v[6:7], 2, s[12:13]
	global_store_dword v[6:7], v59, off
	s_or_b64 exec, exec, s[6:7]
	s_and_saveexec_b64 s[6:7], s[0:1]
	s_cbranch_execz .LBB117_62
.LBB117_83:
	v_add_u32_e32 v6, v1, v2
	v_mov_b32_e32 v7, 0
	s_waitcnt lgkmcnt(0)
	v_lshl_add_u64 v[6:7], v[6:7], 2, s[12:13]
	global_store_dword v[6:7], v57, off
	s_or_b64 exec, exec, s[6:7]
	s_and_saveexec_b64 s[0:1], s[2:3]
	s_cbranch_execz .LBB117_63
.LBB117_84:
	v_add_u32_e32 v2, v1, v3
	v_mov_b32_e32 v3, 0
	s_waitcnt lgkmcnt(0)
	v_lshl_add_u64 v[2:3], v[2:3], 2, s[12:13]
	global_store_dword v[2:3], v55, off
	s_or_b64 exec, exec, s[0:1]
	s_and_b64 exec, exec, s[4:5]
	s_cbranch_execz .LBB117_3
.LBB117_85:
	v_add_u32_e32 v0, v1, v4
	v_mov_b32_e32 v1, 0
	s_waitcnt lgkmcnt(0)
	v_lshl_add_u64 v[0:1], v[0:1], 2, s[12:13]
	global_store_dword v[0:1], v53, off
	s_endpgm
	.section	.rodata,"a",@progbits
	.p2align	6, 0x0
	.amdhsa_kernel _ZL12mul_mat_q4_0IfLb0EEvPKvS1_PT_iiiii
		.amdhsa_group_segment_fixed_size 30336
		.amdhsa_private_segment_fixed_size 0
		.amdhsa_kernarg_size 44
		.amdhsa_user_sgpr_count 2
		.amdhsa_user_sgpr_dispatch_ptr 0
		.amdhsa_user_sgpr_queue_ptr 0
		.amdhsa_user_sgpr_kernarg_segment_ptr 1
		.amdhsa_user_sgpr_dispatch_id 0
		.amdhsa_user_sgpr_kernarg_preload_length 0
		.amdhsa_user_sgpr_kernarg_preload_offset 0
		.amdhsa_user_sgpr_private_segment_size 0
		.amdhsa_uses_dynamic_stack 0
		.amdhsa_enable_private_segment 0
		.amdhsa_system_sgpr_workgroup_id_x 1
		.amdhsa_system_sgpr_workgroup_id_y 1
		.amdhsa_system_sgpr_workgroup_id_z 0
		.amdhsa_system_sgpr_workgroup_info 0
		.amdhsa_system_vgpr_workitem_id 1
		.amdhsa_next_free_vgpr 243
		.amdhsa_next_free_sgpr 96
		.amdhsa_accum_offset 244
		.amdhsa_reserve_vcc 1
		.amdhsa_float_round_mode_32 0
		.amdhsa_float_round_mode_16_64 0
		.amdhsa_float_denorm_mode_32 3
		.amdhsa_float_denorm_mode_16_64 3
		.amdhsa_dx10_clamp 1
		.amdhsa_ieee_mode 1
		.amdhsa_fp16_overflow 0
		.amdhsa_tg_split 0
		.amdhsa_exception_fp_ieee_invalid_op 0
		.amdhsa_exception_fp_denorm_src 0
		.amdhsa_exception_fp_ieee_div_zero 0
		.amdhsa_exception_fp_ieee_overflow 0
		.amdhsa_exception_fp_ieee_underflow 0
		.amdhsa_exception_fp_ieee_inexact 0
		.amdhsa_exception_int_div_zero 0
	.end_amdhsa_kernel
	.section	.text._ZL12mul_mat_q4_0IfLb0EEvPKvS1_PT_iiiii,"axG",@progbits,_ZL12mul_mat_q4_0IfLb0EEvPKvS1_PT_iiiii,comdat
.Lfunc_end117:
	.size	_ZL12mul_mat_q4_0IfLb0EEvPKvS1_PT_iiiii, .Lfunc_end117-_ZL12mul_mat_q4_0IfLb0EEvPKvS1_PT_iiiii
                                        ; -- End function
	.set _ZL12mul_mat_q4_0IfLb0EEvPKvS1_PT_iiiii.num_vgpr, 243
	.set _ZL12mul_mat_q4_0IfLb0EEvPKvS1_PT_iiiii.num_agpr, 0
	.set _ZL12mul_mat_q4_0IfLb0EEvPKvS1_PT_iiiii.numbered_sgpr, 18
	.set _ZL12mul_mat_q4_0IfLb0EEvPKvS1_PT_iiiii.num_named_barrier, 0
	.set _ZL12mul_mat_q4_0IfLb0EEvPKvS1_PT_iiiii.private_seg_size, 0
	.set _ZL12mul_mat_q4_0IfLb0EEvPKvS1_PT_iiiii.uses_vcc, 1
	.set _ZL12mul_mat_q4_0IfLb0EEvPKvS1_PT_iiiii.uses_flat_scratch, 0
	.set _ZL12mul_mat_q4_0IfLb0EEvPKvS1_PT_iiiii.has_dyn_sized_stack, 0
	.set _ZL12mul_mat_q4_0IfLb0EEvPKvS1_PT_iiiii.has_recursion, 0
	.set _ZL12mul_mat_q4_0IfLb0EEvPKvS1_PT_iiiii.has_indirect_call, 0
	.section	.AMDGPU.csdata,"",@progbits
; Kernel info:
; codeLenInByte = 9448
; TotalNumSgprs: 24
; NumVgprs: 243
; NumAgprs: 0
; TotalNumVgprs: 243
; ScratchSize: 0
; MemoryBound: 0
; FloatMode: 240
; IeeeMode: 1
; LDSByteSize: 30336 bytes/workgroup (compile time only)
; SGPRBlocks: 12
; VGPRBlocks: 30
; NumSGPRsForWavesPerEU: 102
; NumVGPRsForWavesPerEU: 243
; AccumOffset: 244
; Occupancy: 2
; WaveLimiterHint : 0
; COMPUTE_PGM_RSRC2:SCRATCH_EN: 0
; COMPUTE_PGM_RSRC2:USER_SGPR: 2
; COMPUTE_PGM_RSRC2:TRAP_HANDLER: 0
; COMPUTE_PGM_RSRC2:TGID_X_EN: 1
; COMPUTE_PGM_RSRC2:TGID_Y_EN: 1
; COMPUTE_PGM_RSRC2:TGID_Z_EN: 0
; COMPUTE_PGM_RSRC2:TIDIG_COMP_CNT: 1
; COMPUTE_PGM_RSRC3_GFX90A:ACCUM_OFFSET: 60
; COMPUTE_PGM_RSRC3_GFX90A:TG_SPLIT: 0
	.section	.text._ZL12mul_mat_q4_0IfLb1EEvPKvS1_PT_iiiii,"axG",@progbits,_ZL12mul_mat_q4_0IfLb1EEvPKvS1_PT_iiiii,comdat
	.globl	_ZL12mul_mat_q4_0IfLb1EEvPKvS1_PT_iiiii ; -- Begin function _ZL12mul_mat_q4_0IfLb1EEvPKvS1_PT_iiiii
	.p2align	8
	.type	_ZL12mul_mat_q4_0IfLb1EEvPKvS1_PT_iiiii,@function
_ZL12mul_mat_q4_0IfLb1EEvPKvS1_PT_iiiii: ; @_ZL12mul_mat_q4_0IfLb1EEvPKvS1_PT_iiiii
; %bb.0:
	s_load_dwordx4 s[8:11], s[0:1], 0x18
	s_load_dword s14, s[0:1], 0x28
	s_lshl_b32 s15, s3, 6
	v_bfe_u32 v111, v0, 10, 10
	s_waitcnt lgkmcnt(0)
	s_cmp_gt_i32 s8, 31
	s_cbranch_scc1 .LBB118_4
; %bb.1:
	v_bfe_u32 v1, v0, 10, 10
	v_and_b32_e32 v71, 0x3ff, v0
	v_add_u32_e32 v77, s15, v1
	s_load_dwordx2 s[12:13], s[0:1], 0x10
	s_lshl_b32 s6, s2, 7
	s_cbranch_execz .LBB118_5
; %bb.2:
	v_mov_b32_e32 v52, 0
	v_mov_b32_e32 v53, v52
	v_mov_b64_e32 v[60:61], v[52:53]
	v_mov_b64_e32 v[68:69], v[52:53]
	;; [unrolled: 1-line block ×15, first 2 shown]
	v_cmp_gt_u32_e32 vcc, s10, v77
	s_and_saveexec_b64 s[0:1], vcc
	s_cbranch_execnz .LBB118_15
.LBB118_3:
	s_endpgm
.LBB118_4:
                                        ; implicit-def: $vgpr1
                                        ; implicit-def: $vgpr71
                                        ; implicit-def: $vgpr77
	s_load_dwordx2 s[12:13], s[0:1], 0x10
	s_lshl_b32 s6, s2, 7
.LBB118_5:
	s_ashr_i32 s4, s8, 31
	s_lshr_b32 s4, s4, 27
	s_add_i32 s4, s8, s4
	s_load_dwordx4 s[0:3], s[0:1], 0x0
	s_ashr_i32 s7, s4, 5
	s_ashr_i32 s4, s11, 31
	s_lshr_b32 s4, s4, 27
	s_add_i32 s4, s11, s4
	s_ashr_i32 s5, s4, 5
	s_mul_i32 s4, s7, s6
	s_mul_hi_i32 s11, s4, 18
	s_mul_i32 s4, s4, 18
	s_waitcnt lgkmcnt(0)
	s_add_u32 s8, s0, s4
	s_addc_u32 s1, s1, s11
	s_not_b32 s0, s6
	s_add_i32 s0, s9, s0
	v_add_u32_e32 v1, 64, v111
	v_min_i32_e32 v22, s0, v1
	v_add_u32_e32 v1, 0x48, v111
	v_min_i32_e32 v23, s0, v1
	;; [unrolled: 2-line block ×3, first 2 shown]
	v_add_u32_e32 v1, 0x58, v111
	v_and_b32_e32 v71, 0x3ff, v0
	v_add_u32_e32 v8, 8, v111
	v_min_i32_e32 v25, s0, v1
	v_add_u32_e32 v1, 0x60, v111
	v_lshlrev_b32_e32 v2, 2, v71
	v_min_i32_e32 v3, s0, v111
	s_movk_i32 s4, 0x84
	v_min_i32_e32 v9, s0, v8
	v_min_i32_e32 v26, s0, v1
	v_add_u32_e32 v1, 0x68, v111
	v_mad_u64_u32 v[78:79], s[16:17], v9, s4, v[2:3]
	v_min_i32_e32 v27, s0, v1
	v_add_u32_e32 v1, 0x70, v111
	v_min_i32_e32 v28, s0, v1
	v_add_u32_e32 v1, 0x78, v111
	v_bfe_u32 v79, v0, 3, 7
	v_min_i32_e32 v29, s0, v1
	v_lshl_add_u32 v1, v111, 2, v79
	v_min_i32_e32 v30, s0, v1
	v_ashrrev_i32_e32 v4, 31, v30
	v_lshrrev_b32_e32 v4, 30, v4
	v_and_b32_e32 v110, 7, v0
	v_add_u32_e32 v4, v30, v4
	v_and_b32_e32 v4, -4, v4
	v_lshlrev_b32_e32 v5, 2, v110
	s_movk_i32 s9, 0x6200
	v_add3_u32 v31, v4, v5, s9
	v_add_u32_e32 v4, 32, v1
	v_min_i32_e32 v33, s0, v4
	v_ashrrev_i32_e32 v4, 31, v33
	v_lshrrev_b32_e32 v4, 30, v4
	v_add_u32_e32 v4, v33, v4
	v_and_b32_e32 v4, -4, v4
	v_bfe_u32 v70, v0, 2, 8
	v_add3_u32 v34, v4, v5, s9
	v_add_u32_e32 v4, 64, v1
	v_add_u32_e32 v1, 0x60, v1
	v_and_b32_e32 v6, 31, v0
	v_mov_b32_e32 v7, 0x4200
	v_min_i32_e32 v35, s0, v4
	v_min_i32_e32 v37, s0, v1
	v_lshl_or_b32 v38, v6, 2, v7
	v_lshl_add_u32 v6, v111, 3, v70
	v_add_u32_e32 v10, 16, v111
	v_add_u32_e32 v12, 24, v111
	;; [unrolled: 1-line block ×6, first 2 shown]
	v_ashrrev_i32_e32 v4, 31, v35
	v_ashrrev_i32_e32 v1, 31, v37
	v_and_b32_e32 v7, 63, v6
	v_min_i32_e32 v11, s0, v10
	v_min_i32_e32 v13, s0, v12
	;; [unrolled: 1-line block ×6, first 2 shown]
	v_lshrrev_b32_e32 v4, 30, v4
	v_lshrrev_b32_e32 v1, 30, v1
	s_add_i32 s0, s10, -1
	v_or_b32_e32 v39, s15, v7
	v_mad_u64_u32 v[76:77], s[16:17], v3, s4, v[2:3]
	v_add_u32_e32 v4, v35, v4
	v_add_u32_e32 v1, v37, v1
	v_and_b32_e32 v6, 3, v0
	v_min_i32_e32 v39, s0, v39
	v_and_b32_e32 v4, -4, v4
	v_and_b32_e32 v1, -4, v1
	v_add_u32_e32 v77, s15, v111
	v_mad_u64_u32 v[118:119], s[16:17], v39, s5, v[6:7]
	v_lshlrev_b32_e32 v6, 2, v6
	v_add3_u32 v36, v4, v5, s9
	v_add3_u32 v1, v1, v5, s9
	v_cvt_f64_i32_e32 v[4:5], s0
	v_lshl_or_b32 v39, v7, 4, v6
	v_cvt_f64_u32_e32 v[6:7], v77
	v_min_f64 v[6:7], v[6:7], v[4:5]
	v_cvt_i32_f64_e32 v40, v[6:7]
	v_add_u32_e32 v6, 8, v77
	v_cvt_f64_u32_e32 v[6:7], v6
	v_min_f64 v[6:7], v[6:7], v[4:5]
	v_cvt_i32_f64_e32 v41, v[6:7]
	v_add_u32_e32 v6, 16, v77
	;; [unrolled: 4-line block ×8, first 2 shown]
	v_add_u32_e32 v6, 64, v71
	v_add_u32_e32 v7, 0x60, v71
	v_lshlrev_b32_e32 v47, 5, v71
	v_and_b32_e32 v7, 0x1fc, v7
	v_and_b32_e32 v6, 0x1fc, v6
	;; [unrolled: 1-line block ×4, first 2 shown]
	v_mad_u64_u32 v[84:85], s[16:17], v13, s4, v[2:3]
	v_add_u32_e32 v7, v47, v7
	v_add_u32_e32 v6, v47, v6
	;; [unrolled: 1-line block ×4, first 2 shown]
	v_lshlrev_b32_e32 v0, 5, v33
	v_mov_b32_e32 v73, 0
	v_mad_u64_u32 v[88:89], s[16:17], v17, s4, v[2:3]
	v_add_u32_e32 v85, v34, v0
	v_lshlrev_b32_e32 v0, 5, v37
	v_add_u32_e32 v89, v1, v0
	v_and_b32_e32 v0, 28, v2
	v_mov_b32_e32 v1, v73
	v_mad_u64_u32 v[80:81], s[16:17], v11, s4, v[2:3]
	v_mad_u64_u32 v[108:109], s[16:17], v28, s4, v[2:3]
	v_lshlrev_b32_e32 v32, 5, v30
	v_mad_u64_u32 v[122:123], s[16:17], v29, s4, v[2:3]
	v_lshl_add_u64 v[124:125], s[2:3], 0, v[0:1]
	v_mov_b32_e32 v0, 0x7280
	v_and_b32_e32 v72, 12, v2
	v_mad_u64_u32 v[86:87], s[16:17], v15, s4, v[2:3]
	v_mad_u64_u32 v[92:93], s[16:17], v19, s4, v[2:3]
	;; [unrolled: 1-line block ×9, first 2 shown]
	v_add_u32_e32 v81, v31, v32
	v_lshlrev_b32_e32 v31, 5, v35
	v_lshlrev_b32_e32 v2, 7, v8
	;; [unrolled: 1-line block ×7, first 2 shown]
	v_mul_lo_u32 v109, s5, v4
	v_lshlrev_b32_e32 v4, 7, v20
	v_lshl_add_u32 v123, v111, 4, v0
	v_lshlrev_b32_e32 v0, 7, v111
	v_mov_b32_e32 v114, v73
	v_mov_b32_e32 v115, v73
	v_add_u32_e32 v87, v36, v31
	v_add_u32_e32 v93, 0x7280, v39
	s_add_i32 s9, s7, 3
	v_mul_lo_u32 v95, s5, v40
	v_mul_lo_u32 v97, s5, v41
	v_mul_lo_u32 v99, s5, v42
	v_mul_lo_u32 v101, s5, v43
	v_mul_lo_u32 v103, s5, v44
	v_mul_lo_u32 v105, s5, v45
	v_mul_lo_u32 v107, s5, v46
	v_lshrrev_b32_e32 v119, 3, v5
	v_add_u32_e32 v127, v38, v2
	v_add_u32_e32 v129, v38, v8
	v_add_u32_e32 v131, v38, v10
	v_add_u32_e32 v133, v38, v12
	v_add_u32_e32 v135, v38, v14
	v_add_u32_e32 v137, v38, v16
	v_add_u32_e32 v139, v38, v4
	v_add_u32_e32 v141, v38, v0
	v_add_u32_e32 v143, 0x4200, v0
	v_add_u32_e32 v145, 0x6e00, v7
	v_add_u32_e32 v147, 0x6e10, v7
	v_add_u32_e32 v149, 0x6a00, v6
	v_add_u32_e32 v151, 0x6a10, v6
	v_add_u32_e32 v153, 0x6600, v48
	v_add_u32_e32 v155, 0x6610, v48
	v_add_u32_e32 v157, 0x6200, v47
	v_add_u32_e32 v159, 0x6210, v47
	s_mov_b32 s11, 0
	s_mov_b32 s0, 0x41000000
	v_mul_lo_u32 v126, v3, s7
	v_mul_lo_u32 v128, v9, s7
	;; [unrolled: 1-line block ×20, first 2 shown]
	v_mul_u32_u24_e32 v161, 0x84, v71
	v_mad_u32_u24 v163, v71, s4, 64
	v_mov_b64_e32 v[90:91], v[114:115]
	v_mov_b64_e32 v[66:67], v[114:115]
	;; [unrolled: 1-line block ×15, first 2 shown]
	s_branch .LBB118_7
.LBB118_6:                              ;   in Loop: Header=BB118_7 Depth=1
	s_add_i32 s11, s11, 8
	s_add_i32 s9, s9, -8
	s_cmp_ge_i32 s11, s7
	s_cbranch_scc1 .LBB118_14
.LBB118_7:                              ; =>This Loop Header: Depth=1
                                        ;     Child Loop BB118_9 Depth 2
                                        ;     Child Loop BB118_12 Depth 2
	s_mul_i32 s4, s11, 18
	s_mul_hi_u32 s5, s11, 18
	s_add_u32 s4, s8, s4
	s_addc_u32 s5, s1, s5
	v_mad_u64_u32 v[0:1], s[16:17], v70, 18, s[4:5]
	v_mad_i64_i32 v[2:3], s[16:17], v126, 18, v[0:1]
	v_lshl_add_u64 v[2:3], v[2:3], 0, v[72:73]
	global_load_dword v2, v[2:3], off offset:2
	s_cmp_gt_u32 s9, 3
	s_waitcnt vmcnt(0)
	ds_write_b32 v76, v2
	v_mad_i64_i32 v[2:3], s[16:17], v128, 18, v[0:1]
	v_lshl_add_u64 v[2:3], v[2:3], 0, v[72:73]
	global_load_dword v2, v[2:3], off offset:2
	s_waitcnt vmcnt(0)
	ds_write_b32 v78, v2
	v_mad_i64_i32 v[2:3], s[16:17], v130, 18, v[0:1]
	v_lshl_add_u64 v[2:3], v[2:3], 0, v[72:73]
	global_load_dword v2, v[2:3], off offset:2
	;; [unrolled: 5-line block ×13, first 2 shown]
	s_waitcnt vmcnt(0)
	ds_write_b32 v106, v2
	v_mad_i64_i32 v[2:3], s[16:17], v154, 18, v[0:1]
	v_mad_i64_i32 v[0:1], s[16:17], v156, 18, v[0:1]
	v_lshl_add_u64 v[2:3], v[2:3], 0, v[72:73]
	v_lshl_add_u64 v[0:1], v[0:1], 0, v[72:73]
	global_load_dword v2, v[2:3], off offset:2
	s_nop 0
	global_load_dword v0, v[0:1], off offset:2
	s_waitcnt vmcnt(1)
	ds_write_b32 v108, v2
	s_waitcnt vmcnt(0)
	ds_write_b32 v122, v0
	v_mad_u64_u32 v[0:1], s[4:5], v110, 18, s[4:5]
	v_mad_i64_i32 v[2:3], s[4:5], v158, 18, v[0:1]
	global_load_ushort v2, v[2:3], off
	s_waitcnt vmcnt(0)
	v_cvt_f32_f16_e32 v2, v2
	ds_write_b32 v81, v2
	v_mad_i64_i32 v[2:3], s[4:5], v160, 18, v[0:1]
	global_load_ushort v2, v[2:3], off
	s_waitcnt vmcnt(0)
	v_cvt_f32_f16_e32 v2, v2
	ds_write_b32 v85, v2
	v_mad_i64_i32 v[2:3], s[4:5], v162, 18, v[0:1]
	v_mad_i64_i32 v[0:1], s[4:5], v164, 18, v[0:1]
	global_load_ushort v2, v[2:3], off
	s_nop 0
	global_load_ushort v0, v[0:1], off
	s_waitcnt vmcnt(1)
	v_cvt_f32_f16_e32 v2, v2
	s_waitcnt vmcnt(0)
	v_cvt_f32_f16_e32 v0, v0
	ds_write_b32 v87, v2
	ds_write_b32 v89, v0
	s_cbranch_scc0 .LBB118_6
; %bb.8:                                ;   in Loop: Header=BB118_7 Depth=1
	v_add_u32_e32 v2, s11, v79
	v_add_u32_e32 v0, v2, v95
	v_mad_i64_i32 v[0:1], s[4:5], v0, 36, v[124:125]
	global_load_dword v0, v[0:1], off offset:4
	v_add_u32_e32 v165, s11, v118
	v_mov_b32_e32 v182, v143
	v_mov_b32_e32 v183, v123
	v_mov_b32_e32 v184, v157
	v_mov_b32_e32 v185, v153
	v_mov_b32_e32 v186, v149
	v_mov_b32_e32 v187, v145
	v_mov_b32_e32 v188, v161
	s_waitcnt vmcnt(0)
	ds_write_b32 v141, v0
	v_add_u32_e32 v0, v2, v97
	v_mad_i64_i32 v[0:1], s[4:5], v0, 36, v[124:125]
	global_load_dword v0, v[0:1], off offset:4
	s_waitcnt vmcnt(0)
	ds_write_b32 v127, v0
	v_add_u32_e32 v0, v2, v99
	v_mad_i64_i32 v[0:1], s[4:5], v0, 36, v[124:125]
	global_load_dword v0, v[0:1], off offset:4
	;; [unrolled: 5-line block ×7, first 2 shown]
	s_waitcnt vmcnt(0)
	ds_write_b32 v139, v0
	v_mad_u64_u32 v[0:1], s[4:5], v165, 36, s[2:3]
	global_load_dword v0, v[0:1], off
	s_mov_b32 s4, -4
	s_waitcnt vmcnt(0)
	ds_write_b32 v93, v0
	s_waitcnt lgkmcnt(0)
	s_barrier
.LBB118_9:                              ;   Parent Loop BB118_7 Depth=1
                                        ; =>  This Inner Loop Header: Depth=2
	ds_read_b128 v[32:35], v182
	ds_read_b128 v[0:3], v182 offset:16
	ds_read2_b32 v[166:167], v188 offset0:2 offset1:3
	ds_read2_b32 v[168:169], v188 offset1:1
	v_add_u32_e32 v170, 0x1080, v188
	v_add_u32_e32 v171, 0x1088, v188
	;; [unrolled: 1-line block ×6, first 2 shown]
	ds_read_b128 v[36:39], v182 offset:1024
	ds_read_b128 v[4:7], v182 offset:1040
	;; [unrolled: 1-line block ×11, first 2 shown]
	ds_read2_b32 v[176:177], v183 offset1:32
	ds_read2_b32 v[178:179], v183 offset0:64 offset1:96
	ds_read2_b32 v[180:181], v183 offset0:128 offset1:160
	;; [unrolled: 1-line block ×3, first 2 shown]
	ds_read2_b32 v[210:211], v170 offset1:1
	ds_read2_b32 v[212:213], v171 offset1:1
	;; [unrolled: 1-line block ×6, first 2 shown]
	v_mov_b32_e32 v189, 0
	v_mov_b32_e32 v190, 0
	v_mov_b32_e32 v191, 0
	v_mov_b32_e32 v192, 0
	v_mov_b32_e32 v193, 0
	v_mov_b32_e32 v194, 0
	v_mov_b32_e32 v195, 0
	v_mov_b32_e32 v196, 0
	v_mov_b32_e32 v198, 0
	v_mov_b32_e32 v197, 0
	v_mov_b32_e32 v199, 0
	v_mov_b32_e32 v200, 0
	v_mov_b32_e32 v201, 0
	v_mov_b32_e32 v203, 0
	v_mov_b32_e32 v204, 0
	v_mov_b32_e32 v205, 0
	v_mov_b32_e32 v206, 0
	s_waitcnt lgkmcnt(14)
	v_and_b32_e32 v215, 0xf0f0f0f, v168
	v_lshrrev_b32_e32 v222, 4, v168
	v_lshrrev_b32_e32 v227, 4, v169
	s_waitcnt lgkmcnt(5)
	v_and_b32_e32 v230, 0xf0f0f0f, v210
	v_lshrrev_b32_e32 v231, 4, v210
	s_waitcnt lgkmcnt(3)
	v_and_b32_e32 v234, 0xf0f0f0f, v216
	v_lshrrev_b32_e32 v235, 4, v216
	v_lshrrev_b32_e32 v237, 4, v217
	s_waitcnt lgkmcnt(1)
	v_and_b32_e32 v239, 0xf0f0f0f, v220
	v_lshrrev_b32_e32 v220, 4, v220
	v_and_b32_e32 v228, 0xf0f0f0f, v166
	v_lshrrev_b32_e32 v229, 4, v166
	v_cvt_f32_f16_e32 v172, v176
	v_cvt_f32_f16_sdwa v174, v176 dst_sel:DWORD dst_unused:UNUSED_PAD src0_sel:WORD_1
	v_cvt_f32_f16_e32 v170, v178
	v_cvt_f32_f16_sdwa v176, v178 dst_sel:DWORD dst_unused:UNUSED_PAD src0_sel:WORD_1
	;; [unrolled: 2-line block ×4, first 2 shown]
	v_dot4c_i32_i8_e32 v189, v215, v32
	v_and_b32_e32 v207, 0xf0f0f0f, v213
	v_and_b32_e32 v208, 0xf0f0f0f, v219
	v_dot4c_i32_i8_e32 v193, v215, v36
	v_dot4c_i32_i8_e32 v198, v215, v44
	;; [unrolled: 1-line block ×7, first 2 shown]
	s_waitcnt lgkmcnt(0)
	v_and_b32_e32 v241, 0xf0f0f0f, v224
	v_lshrrev_b32_e32 v215, 4, v213
	v_lshrrev_b32_e32 v213, 4, v224
	;; [unrolled: 1-line block ×3, first 2 shown]
	v_and_b32_e32 v219, 0xf0f0f0f, v222
	v_and_b32_e32 v224, 0xf0f0f0f, v227
	;; [unrolled: 1-line block ×3, first 2 shown]
	v_dot4c_i32_i8_e32 v190, v230, v32
	v_and_b32_e32 v231, 0xf0f0f0f, v235
	v_dot4c_i32_i8_e32 v191, v234, v32
	v_and_b32_e32 v235, 0xf0f0f0f, v237
	v_and_b32_e32 v237, 0xf0f0f0f, v220
	v_dot4c_i32_i8_e32 v192, v239, v32
	v_dot4c_i32_i8_e32 v194, v230, v36
	;; [unrolled: 1-line block ×7, first 2 shown]
	v_and_b32_e32 v226, 0xf0f0f0f, v169
	v_and_b32_e32 v232, 0xf0f0f0f, v211
	v_lshrrev_b32_e32 v211, 4, v211
	v_and_b32_e32 v236, 0xf0f0f0f, v217
	v_and_b32_e32 v240, 0xf0f0f0f, v221
	v_lshrrev_b32_e32 v221, 4, v221
	v_dot4c_i32_i8_e32 v189, v219, v0
	v_dot4c_i32_i8_e32 v190, v227, v0
	;; [unrolled: 1-line block ×12, first 2 shown]
	v_and_b32_e32 v223, 0xf0f0f0f, v167
	v_lshrrev_b32_e32 v214, 4, v167
	v_cvt_f32_f16_e32 v173, v177
	v_cvt_f32_f16_sdwa v175, v177 dst_sel:DWORD dst_unused:UNUSED_PAD src0_sel:WORD_1
	v_cvt_f32_f16_e32 v171, v179
	v_cvt_f32_f16_sdwa v177, v179 dst_sel:DWORD dst_unused:UNUSED_PAD src0_sel:WORD_1
	;; [unrolled: 2-line block ×4, first 2 shown]
	v_and_b32_e32 v209, 0xf0f0f0f, v225
	v_lshrrev_b32_e32 v217, 4, v225
	v_and_b32_e32 v225, 0xf0f0f0f, v229
	v_and_b32_e32 v229, 0xf0f0f0f, v211
	;; [unrolled: 1-line block ×3, first 2 shown]
	v_dot4c_i32_i8_e32 v189, v226, v33
	v_dot4c_i32_i8_e32 v190, v232, v33
	;; [unrolled: 1-line block ×12, first 2 shown]
	v_and_b32_e32 v233, 0xf0f0f0f, v212
	v_lshrrev_b32_e32 v212, 4, v212
	v_and_b32_e32 v238, 0xf0f0f0f, v218
	v_lshrrev_b32_e32 v218, 4, v218
	v_dot4c_i32_i8_e32 v189, v224, v1
	v_dot4c_i32_i8_e32 v190, v229, v1
	;; [unrolled: 1-line block ×12, first 2 shown]
	v_and_b32_e32 v211, 0xf0f0f0f, v212
	v_and_b32_e32 v212, 0xf0f0f0f, v218
	;; [unrolled: 1-line block ×3, first 2 shown]
	v_dot4c_i32_i8_e32 v189, v228, v34
	v_dot4c_i32_i8_e32 v190, v233, v34
	;; [unrolled: 1-line block ×28, first 2 shown]
	ds_read_b128 v[32:35], v182 offset:5136
	v_dot4c_i32_i8_e32 v193, v223, v39
	v_dot4c_i32_i8_e32 v194, v207, v39
	;; [unrolled: 1-line block ×4, first 2 shown]
	ds_read_b128 v[36:39], v182 offset:6160
	v_dot4c_i32_i8_e32 v198, v223, v47
	v_dot4c_i32_i8_e32 v197, v207, v47
	;; [unrolled: 1-line block ×4, first 2 shown]
	ds_read_b128 v[44:47], v182 offset:7184
	ds_read_b32 v2, v184
	ds_read_b32 v4, v185
	;; [unrolled: 1-line block ×3, first 2 shown]
	v_mov_b32_e32 v202, 0
	v_mov_b32_e32 v218, 0
	;; [unrolled: 1-line block ×4, first 2 shown]
	v_dot4c_i32_i8_e32 v201, v219, v12
	v_dot4c_i32_i8_e32 v203, v219, v20
	s_waitcnt lgkmcnt(5)
	v_dot4c_i32_i8_e32 v204, v219, v32
	s_waitcnt lgkmcnt(4)
	;; [unrolled: 2-line block ×3, first 2 shown]
	v_dot4c_i32_i8_e32 v206, v219, v44
	v_mov_b32_e32 v1, 0
	v_dot4c_i32_i8_e32 v202, v230, v16
	v_dot4c_i32_i8_e32 v218, v234, v16
	v_mov_b32_e32 v9, 0
	v_mov_b32_e32 v219, 0
	v_dot4c_i32_i8_e32 v221, v239, v16
	v_mov_b32_e32 v16, 0
	v_mov_b32_e32 v222, 0
	v_dot4c_i32_i8_e32 v210, v230, v24
	v_dot4c_i32_i8_e32 v1, v230, v28
	v_mov_b32_e32 v5, 0
	v_mov_b32_e32 v8, 0
	v_dot4c_i32_i8_e32 v9, v234, v24
	;; [unrolled: 4-line block ×4, first 2 shown]
	v_dot4c_i32_i8_e32 v8, v230, v48
	v_dot4c_i32_i8_e32 v10, v234, v40
	;; [unrolled: 1-line block ×90, first 2 shown]
	v_and_b32_e32 v17, 0xf0f0f0f, v214
	v_dot4c_i32_i8_e32 v202, v211, v14
	v_dot4c_i32_i8_e32 v218, v212, v14
	;; [unrolled: 1-line block ×15, first 2 shown]
	v_and_b32_e32 v25, 0xf0f0f0f, v215
	v_and_b32_e32 v29, 0xf0f0f0f, v216
	;; [unrolled: 1-line block ×3, first 2 shown]
	v_dot4c_i32_i8_e32 v202, v207, v19
	v_dot4c_i32_i8_e32 v218, v208, v19
	;; [unrolled: 1-line block ×29, first 2 shown]
	v_cvt_f32_i32_e32 v19, v193
	v_cvt_f32_i32_e32 v18, v189
	v_dot4c_i32_i8_e32 v197, v25, v11
	v_dot4c_i32_i8_e32 v199, v29, v11
	v_dot4c_i32_i8_e32 v200, v30, v11
	v_cvt_f32_i32_e32 v27, v201
	v_cvt_f32_i32_e32 v26, v198
	v_dot4c_i32_i8_e32 v202, v25, v15
	v_dot4c_i32_i8_e32 v218, v29, v15
	v_dot4c_i32_i8_e32 v221, v30, v15
	v_dot4c_i32_i8_e32 v210, v25, v23
	v_dot4c_i32_i8_e32 v9, v29, v23
	v_dot4c_i32_i8_e32 v16, v30, v23
	v_cvt_f32_i32_e32 v15, v204
	v_cvt_f32_i32_e32 v14, v203
	v_dot4c_i32_i8_e32 v1, v25, v35
	v_dot4c_i32_i8_e32 v219, v29, v35
	v_dot4c_i32_i8_e32 v222, v30, v35
	;; [unrolled: 8-line block ×3, first 2 shown]
	ds_read_b32 v0, v187
	v_cvt_f32_i32_e32 v31, v194
	v_cvt_f32_i32_e32 v30, v190
	;; [unrolled: 1-line block ×24, first 2 shown]
	v_pk_mul_f32 v[12:13], v[174:175], s[0:1] op_sel_hi:[1,0]
	v_pk_mul_f32 v[20:21], v[176:177], s[0:1] op_sel_hi:[1,0]
	;; [unrolled: 1-line block ×4, first 2 shown]
	v_pk_fma_f32 v[18:19], v[172:173], v[18:19], v[12:13] neg_lo:[0,0,1] neg_hi:[0,0,1]
	v_pk_fma_f32 v[26:27], v[26:27], v[170:171], v[20:21] neg_lo:[0,0,1] neg_hi:[0,0,1]
	;; [unrolled: 1-line block ×4, first 2 shown]
	s_add_i32 s4, s4, 4
	s_waitcnt lgkmcnt(3)
	v_pk_fma_f32 v[114:115], v[2:3], v[18:19], v[114:115] op_sel_hi:[0,1,1]
	v_pk_fma_f32 v[18:19], v[172:173], v[30:31], v[12:13] neg_lo:[0,0,1] neg_hi:[0,0,1]
	v_pk_fma_f32 v[28:29], v[172:173], v[34:35], v[12:13] neg_lo:[0,0,1] neg_hi:[0,0,1]
	v_pk_fma_f32 v[12:13], v[172:173], v[38:39], v[12:13] neg_lo:[0,0,1] neg_hi:[0,0,1]
	v_pk_fma_f32 v[90:91], v[2:3], v[26:27], v[90:91] op_sel_hi:[0,1,1]
	v_pk_fma_f32 v[26:27], v[40:41], v[170:171], v[20:21] neg_lo:[0,0,1] neg_hi:[0,0,1]
	v_pk_fma_f32 v[30:31], v[42:43], v[170:171], v[20:21] neg_lo:[0,0,1] neg_hi:[0,0,1]
	v_pk_fma_f32 v[20:21], v[44:45], v[170:171], v[20:21] neg_lo:[0,0,1] neg_hi:[0,0,1]
	;; [unrolled: 4-line block ×4, first 2 shown]
	v_add_u32_e32 v188, 16, v188
	v_add_u32_e32 v187, 4, v187
	;; [unrolled: 1-line block ×7, first 2 shown]
	s_cmp_lt_u32 s4, 12
	s_waitcnt lgkmcnt(2)
	v_pk_fma_f32 v[120:121], v[4:5], v[18:19], v[120:121] op_sel_hi:[0,1,1]
	s_waitcnt lgkmcnt(1)
	v_pk_fma_f32 v[116:117], v[6:7], v[28:29], v[116:117] op_sel_hi:[0,1,1]
	;; [unrolled: 2-line block ×3, first 2 shown]
	v_pk_fma_f32 v[82:83], v[4:5], v[26:27], v[82:83] op_sel_hi:[0,1,1]
	v_pk_fma_f32 v[74:75], v[6:7], v[30:31], v[74:75] op_sel_hi:[0,1,1]
	;; [unrolled: 1-line block ×9, first 2 shown]
	s_cbranch_scc1 .LBB118_9
; %bb.10:                               ;   in Loop: Header=BB118_7 Depth=1
	s_and_b32 s4, s9, -4
	s_cmp_eq_u32 s4, 4
	s_barrier
	s_cbranch_scc1 .LBB118_6
; %bb.11:                               ;   in Loop: Header=BB118_7 Depth=1
	v_add_u32_e32 v14, s11, v119
	v_add_u32_e32 v0, v14, v95
	;; [unrolled: 1-line block ×6, first 2 shown]
	v_mad_i64_i32 v[0:1], s[4:5], v0, 36, v[124:125]
	v_mad_i64_i32 v[2:3], s[4:5], v2, 36, v[124:125]
	;; [unrolled: 1-line block ×4, first 2 shown]
	v_add_u32_e32 v8, v14, v103
	v_add_u32_e32 v10, v14, v105
	;; [unrolled: 1-line block ×4, first 2 shown]
	v_mad_u64_u32 v[16:17], s[4:5], v16, 36, s[2:3]
	v_mad_i64_i32 v[8:9], s[4:5], v8, 36, v[124:125]
	v_mad_i64_i32 v[10:11], s[4:5], v10, 36, v[124:125]
	;; [unrolled: 1-line block ×4, first 2 shown]
	global_load_dword v16, v[16:17], off
	s_nop 0
	global_load_dword v0, v[0:1], off offset:4
	s_nop 0
	global_load_dword v1, v[2:3], off offset:4
	;; [unrolled: 2-line block ×3, first 2 shown]
	global_load_dword v3, v[6:7], off offset:4
	s_nop 0
	global_load_dword v4, v[8:9], off offset:4
	global_load_dword v5, v[10:11], off offset:4
                                        ; kill: killed $vgpr8_vgpr9
                                        ; kill: killed $vgpr10_vgpr11
	global_load_dword v6, v[12:13], off offset:4
	global_load_dword v7, v[14:15], off offset:4
	s_mov_b32 s4, 12
	v_mov_b32_e32 v9, v123
	v_mov_b32_e32 v11, v143
	;; [unrolled: 1-line block ×7, first 2 shown]
	s_waitcnt vmcnt(8)
	ds_write_b32 v93, v16
	s_waitcnt vmcnt(7)
	ds_write_b32 v141, v0
	;; [unrolled: 2-line block ×9, first 2 shown]
	s_waitcnt lgkmcnt(0)
	s_barrier
.LBB118_12:                             ;   Parent Loop BB118_7 Depth=1
                                        ; =>  This Inner Loop Header: Depth=2
	ds_read_b128 v[0:3], v11
	ds_read_b128 v[4:7], v11 offset:16
	ds_read2_b32 v[16:17], v9 offset1:32
	ds_read_b32 v8, v13
	ds_read2_b32 v[22:23], v20 offset1:1
	ds_read2_b32 v[32:33], v20 offset0:2 offset1:3
	v_add_u32_e32 v12, 0x1080, v20
	v_add_u32_e32 v14, 0x2100, v20
	v_mov_b32_e32 v165, 0
	s_waitcnt lgkmcnt(1)
	v_lshrrev_b32_e32 v10, 4, v22
	v_and_b32_e32 v21, 0xf0f0f0f, v22
	v_and_b32_e32 v22, 0xf0f0f0f, v10
	v_lshrrev_b32_e32 v10, 4, v23
	v_and_b32_e32 v26, 0xf0f0f0f, v10
	s_waitcnt lgkmcnt(0)
	v_lshrrev_b32_e32 v10, 4, v32
	v_and_b32_e32 v30, 0xf0f0f0f, v10
	v_lshrrev_b32_e32 v10, 4, v33
	v_and_b32_e32 v29, 0xf0f0f0f, v32
	v_and_b32_e32 v32, 0xf0f0f0f, v10
	ds_read_b32 v10, v15
	ds_read2_b32 v[34:35], v12 offset1:1
	v_and_b32_e32 v25, 0xf0f0f0f, v23
	v_and_b32_e32 v31, 0xf0f0f0f, v33
	v_mov_b32_e32 v174, 0
	v_mov_b32_e32 v175, 0
	s_waitcnt lgkmcnt(0)
	v_lshrrev_b32_e32 v12, 4, v34
	v_and_b32_e32 v24, 0xf0f0f0f, v12
	v_lshrrev_b32_e32 v12, 4, v35
	v_and_b32_e32 v28, 0xf0f0f0f, v12
	v_add_u32_e32 v12, 0x1088, v20
	ds_read2_b32 v[38:39], v12 offset1:1
	v_and_b32_e32 v27, 0xf0f0f0f, v35
	v_and_b32_e32 v23, 0xf0f0f0f, v34
	v_mov_b32_e32 v176, 0
	v_dot4c_i32_i8_e32 v165, v21, v0
	s_waitcnt lgkmcnt(0)
	v_lshrrev_b32_e32 v12, 4, v38
	v_and_b32_e32 v36, 0xf0f0f0f, v12
	v_lshrrev_b32_e32 v12, 4, v39
	v_and_b32_e32 v35, 0xf0f0f0f, v38
	v_and_b32_e32 v38, 0xf0f0f0f, v12
	ds_read_b32 v12, v18
	ds_read2_b32 v[40:41], v14 offset1:1
	v_and_b32_e32 v37, 0xf0f0f0f, v39
	v_dot4c_i32_i8_e32 v174, v23, v0
	v_dot4c_i32_i8_e32 v165, v22, v4
	;; [unrolled: 1-line block ×3, first 2 shown]
	s_waitcnt lgkmcnt(0)
	v_lshrrev_b32_e32 v14, 4, v40
	v_and_b32_e32 v34, 0xf0f0f0f, v14
	v_lshrrev_b32_e32 v14, 4, v41
	v_and_b32_e32 v33, 0xf0f0f0f, v40
	v_and_b32_e32 v40, 0xf0f0f0f, v14
	v_add_u32_e32 v14, 0x2108, v20
	ds_read2_b32 v[44:45], v14 offset1:1
	v_and_b32_e32 v39, 0xf0f0f0f, v41
	v_dot4c_i32_i8_e32 v175, v33, v0
	v_dot4c_i32_i8_e32 v175, v34, v4
	;; [unrolled: 1-line block ×3, first 2 shown]
	s_waitcnt lgkmcnt(0)
	v_lshrrev_b32_e32 v14, 4, v44
	v_and_b32_e32 v42, 0xf0f0f0f, v14
	v_lshrrev_b32_e32 v14, 4, v45
	v_and_b32_e32 v41, 0xf0f0f0f, v44
	v_and_b32_e32 v43, 0xf0f0f0f, v45
	;; [unrolled: 1-line block ×3, first 2 shown]
	v_add_u32_e32 v45, 0x3180, v20
	ds_read_b32 v14, v19
	ds_read2_b32 v[46:47], v45 offset1:1
	v_dot4c_i32_i8_e32 v174, v27, v1
	v_dot4c_i32_i8_e32 v175, v39, v1
	;; [unrolled: 1-line block ×4, first 2 shown]
	s_waitcnt lgkmcnt(0)
	v_and_b32_e32 v45, 0xf0f0f0f, v46
	v_lshrrev_b32_e32 v46, 4, v46
	v_and_b32_e32 v46, 0xf0f0f0f, v46
	v_dot4c_i32_i8_e32 v176, v45, v0
	v_dot4c_i32_i8_e32 v176, v46, v4
	v_and_b32_e32 v0, 0xf0f0f0f, v47
	v_dot4c_i32_i8_e32 v176, v0, v1
	v_add_u32_e32 v1, 0x3188, v20
	ds_read2_b32 v[48:49], v1 offset1:1
	v_lshrrev_b32_e32 v4, 4, v47
	v_and_b32_e32 v4, 0xf0f0f0f, v4
	v_dot4c_i32_i8_e32 v175, v40, v5
	v_dot4c_i32_i8_e32 v176, v4, v5
	s_waitcnt lgkmcnt(0)
	v_and_b32_e32 v1, 0xf0f0f0f, v48
	v_lshrrev_b32_e32 v5, 4, v48
	v_dot4c_i32_i8_e32 v165, v29, v2
	v_dot4c_i32_i8_e32 v174, v35, v2
	;; [unrolled: 1-line block ×3, first 2 shown]
	v_and_b32_e32 v5, 0xf0f0f0f, v5
	v_dot4c_i32_i8_e32 v176, v1, v2
	v_dot4c_i32_i8_e32 v165, v30, v6
	;; [unrolled: 1-line block ×5, first 2 shown]
	v_and_b32_e32 v2, 0xf0f0f0f, v49
	v_lshrrev_b32_e32 v6, 4, v49
	ds_read_b128 v[48:51], v11 offset:1024
	ds_read_b128 v[166:169], v11 offset:1040
	v_dot4c_i32_i8_e32 v165, v31, v3
	v_dot4c_i32_i8_e32 v174, v37, v3
	;; [unrolled: 1-line block ×4, first 2 shown]
	v_mov_b32_e32 v3, 0
	s_waitcnt lgkmcnt(1)
	v_dot4c_i32_i8_e32 v3, v21, v48
	s_waitcnt lgkmcnt(0)
	v_dot4c_i32_i8_e32 v3, v22, v166
	v_dot4c_i32_i8_e32 v3, v25, v49
	;; [unrolled: 1-line block ×8, first 2 shown]
	v_cvt_f32_f16_e32 v171, v17
	v_cvt_f32_f16_e32 v170, v16
	v_cvt_f32_i32_e32 v173, v3
	v_mov_b32_e32 v3, 0
	v_dot4c_i32_i8_e32 v3, v23, v48
	v_dot4c_i32_i8_e32 v3, v24, v166
	v_cvt_f32_f16_sdwa v17, v17 dst_sel:DWORD dst_unused:UNUSED_PAD src0_sel:WORD_1
	v_cvt_f32_f16_sdwa v16, v16 dst_sel:DWORD dst_unused:UNUSED_PAD src0_sel:WORD_1
	v_dot4c_i32_i8_e32 v3, v27, v49
	v_cvt_f32_i32_e32 v172, v165
	v_dot4c_i32_i8_e32 v3, v28, v167
	v_dot4c_i32_i8_e32 v3, v35, v50
	;; [unrolled: 1-line block ×3, first 2 shown]
	v_pk_mul_f32 v[16:17], v[16:17], s[0:1] op_sel_hi:[1,0]
	v_dot4c_i32_i8_e32 v3, v37, v51
	v_pk_fma_f32 v[172:173], v[170:171], v[172:173], v[16:17] neg_lo:[0,0,1] neg_hi:[0,0,1]
	v_dot4c_i32_i8_e32 v3, v38, v169
	v_pk_fma_f32 v[114:115], v[8:9], v[172:173], v[114:115] op_sel_hi:[0,1,1]
	v_dot4c_i32_i8_e32 v174, v38, v7
	v_and_b32_e32 v6, 0xf0f0f0f, v6
	v_cvt_f32_i32_e32 v173, v3
	v_mov_b32_e32 v3, 0
	v_dot4c_i32_i8_e32 v3, v33, v48
	v_dot4c_i32_i8_e32 v3, v34, v166
	;; [unrolled: 1-line block ×3, first 2 shown]
	v_cvt_f32_i32_e32 v172, v174
	v_dot4c_i32_i8_e32 v3, v40, v167
	v_dot4c_i32_i8_e32 v3, v41, v50
	;; [unrolled: 1-line block ×4, first 2 shown]
	v_pk_fma_f32 v[172:173], v[170:171], v[172:173], v[16:17] neg_lo:[0,0,1] neg_hi:[0,0,1]
	v_dot4c_i32_i8_e32 v3, v44, v169
	v_pk_fma_f32 v[120:121], v[10:11], v[172:173], v[120:121] op_sel_hi:[0,1,1]
	v_dot4c_i32_i8_e32 v175, v44, v7
	v_dot4c_i32_i8_e32 v176, v6, v7
	v_cvt_f32_i32_e32 v173, v3
	v_mov_b32_e32 v3, 0
	v_dot4c_i32_i8_e32 v3, v45, v48
	v_dot4c_i32_i8_e32 v3, v46, v166
	;; [unrolled: 1-line block ×8, first 2 shown]
	v_cvt_f32_i32_e32 v172, v175
	v_cvt_f32_i32_e32 v48, v176
	v_mov_b32_e32 v7, 0
	v_cvt_f32_i32_e32 v49, v3
	v_pk_fma_f32 v[172:173], v[170:171], v[172:173], v[16:17] neg_lo:[0,0,1] neg_hi:[0,0,1]
	v_mov_b32_e32 v3, 0
	v_mov_b32_e32 v47, 0
	v_pk_fma_f32 v[16:17], v[170:171], v[48:49], v[16:17] neg_lo:[0,0,1] neg_hi:[0,0,1]
	v_mov_b32_e32 v165, 0
	v_pk_fma_f32 v[112:113], v[14:15], v[16:17], v[112:113] op_sel_hi:[0,1,1]
	ds_read_b128 v[48:51], v11 offset:2048
	ds_read_b128 v[166:169], v11 offset:2064
	ds_read2_b32 v[16:17], v9 offset0:64 offset1:96
	v_pk_fma_f32 v[116:117], v[12:13], v[172:173], v[116:117] op_sel_hi:[0,1,1]
	v_mov_b32_e32 v172, 0
	s_waitcnt lgkmcnt(2)
	v_dot4c_i32_i8_e32 v3, v21, v48
	v_dot4c_i32_i8_e32 v7, v23, v48
	;; [unrolled: 1-line block ×4, first 2 shown]
	s_waitcnt lgkmcnt(1)
	v_dot4c_i32_i8_e32 v3, v22, v166
	v_dot4c_i32_i8_e32 v7, v24, v166
	;; [unrolled: 1-line block ×28, first 2 shown]
	ds_read_b128 v[48:51], v11 offset:3072
	ds_read_b128 v[166:169], v11 offset:3088
	s_waitcnt lgkmcnt(2)
	v_cvt_f32_f16_e32 v171, v17
	v_cvt_f32_f16_e32 v170, v16
	v_cvt_f32_f16_sdwa v17, v17 dst_sel:DWORD dst_unused:UNUSED_PAD src0_sel:WORD_1
	s_waitcnt lgkmcnt(1)
	v_dot4c_i32_i8_e32 v172, v21, v48
	s_waitcnt lgkmcnt(0)
	v_dot4c_i32_i8_e32 v172, v22, v166
	v_dot4c_i32_i8_e32 v172, v25, v49
	;; [unrolled: 1-line block ×7, first 2 shown]
	v_cvt_f32_f16_sdwa v16, v16 dst_sel:DWORD dst_unused:UNUSED_PAD src0_sel:WORD_1
	s_add_i32 s4, s4, 4
	v_add_u32_e32 v20, 16, v20
	v_cvt_f32_i32_e32 v173, v172
	v_cvt_f32_i32_e32 v172, v3
	v_mov_b32_e32 v3, 0
	v_dot4c_i32_i8_e32 v3, v23, v48
	v_dot4c_i32_i8_e32 v3, v24, v166
	;; [unrolled: 1-line block ×6, first 2 shown]
	v_pk_mul_f32 v[16:17], v[16:17], s[0:1] op_sel_hi:[1,0]
	v_dot4c_i32_i8_e32 v3, v37, v51
	v_pk_fma_f32 v[172:173], v[172:173], v[170:171], v[16:17] neg_lo:[0,0,1] neg_hi:[0,0,1]
	v_dot4c_i32_i8_e32 v3, v38, v169
	v_pk_fma_f32 v[90:91], v[8:9], v[172:173], v[90:91] op_sel_hi:[0,1,1]
	v_cvt_f32_i32_e32 v172, v7
	v_mov_b32_e32 v7, 0
	v_cvt_f32_i32_e32 v173, v3
	v_mov_b32_e32 v3, 0
	v_dot4c_i32_i8_e32 v3, v33, v48
	v_dot4c_i32_i8_e32 v3, v34, v166
	;; [unrolled: 1-line block ×7, first 2 shown]
	v_pk_fma_f32 v[172:173], v[172:173], v[170:171], v[16:17] neg_lo:[0,0,1] neg_hi:[0,0,1]
	v_dot4c_i32_i8_e32 v3, v44, v169
	v_pk_fma_f32 v[82:83], v[10:11], v[172:173], v[82:83] op_sel_hi:[0,1,1]
	v_cvt_f32_i32_e32 v172, v47
	v_mov_b32_e32 v47, 0
	v_cvt_f32_i32_e32 v173, v3
	v_mov_b32_e32 v3, 0
	v_dot4c_i32_i8_e32 v3, v45, v48
	v_dot4c_i32_i8_e32 v3, v46, v166
	;; [unrolled: 1-line block ×8, first 2 shown]
	v_cvt_f32_i32_e32 v48, v165
	v_pk_fma_f32 v[172:173], v[172:173], v[170:171], v[16:17] neg_lo:[0,0,1] neg_hi:[0,0,1]
	v_mov_b32_e32 v165, 0
	v_cvt_f32_i32_e32 v49, v3
	v_mov_b32_e32 v3, 0
	v_pk_fma_f32 v[74:75], v[12:13], v[172:173], v[74:75] op_sel_hi:[0,1,1]
	v_mov_b32_e32 v172, 0
	v_pk_fma_f32 v[16:17], v[48:49], v[170:171], v[16:17] neg_lo:[0,0,1] neg_hi:[0,0,1]
	v_add_u32_e32 v19, 4, v19
	v_pk_fma_f32 v[68:69], v[14:15], v[16:17], v[68:69] op_sel_hi:[0,1,1]
	ds_read_b128 v[48:51], v11 offset:4096
	ds_read_b128 v[166:169], v11 offset:4112
	ds_read2_b32 v[16:17], v9 offset0:128 offset1:160
	v_add_u32_e32 v18, 4, v18
	s_cmp_lt_u32 s4, 28
	s_waitcnt lgkmcnt(2)
	v_dot4c_i32_i8_e32 v3, v21, v48
	v_dot4c_i32_i8_e32 v7, v23, v48
	;; [unrolled: 1-line block ×4, first 2 shown]
	s_waitcnt lgkmcnt(1)
	v_dot4c_i32_i8_e32 v3, v22, v166
	v_dot4c_i32_i8_e32 v7, v24, v166
	;; [unrolled: 1-line block ×28, first 2 shown]
	ds_read_b128 v[48:51], v11 offset:5120
	ds_read_b128 v[166:169], v11 offset:5136
	s_waitcnt lgkmcnt(2)
	v_cvt_f32_f16_e32 v171, v17
	v_cvt_f32_f16_e32 v170, v16
	v_cvt_f32_f16_sdwa v17, v17 dst_sel:DWORD dst_unused:UNUSED_PAD src0_sel:WORD_1
	s_waitcnt lgkmcnt(1)
	v_dot4c_i32_i8_e32 v172, v21, v48
	s_waitcnt lgkmcnt(0)
	v_dot4c_i32_i8_e32 v172, v22, v166
	v_dot4c_i32_i8_e32 v172, v25, v49
	;; [unrolled: 1-line block ×7, first 2 shown]
	v_cvt_f32_f16_sdwa v16, v16 dst_sel:DWORD dst_unused:UNUSED_PAD src0_sel:WORD_1
	v_pk_mul_f32 v[16:17], v[16:17], s[0:1] op_sel_hi:[1,0]
	s_nop 0
	v_cvt_f32_i32_e32 v173, v172
	v_cvt_f32_i32_e32 v172, v3
	v_mov_b32_e32 v3, 0
	v_dot4c_i32_i8_e32 v3, v23, v48
	v_dot4c_i32_i8_e32 v3, v24, v166
	;; [unrolled: 1-line block ×7, first 2 shown]
	v_pk_fma_f32 v[172:173], v[172:173], v[170:171], v[16:17] neg_lo:[0,0,1] neg_hi:[0,0,1]
	v_dot4c_i32_i8_e32 v3, v38, v169
	v_pk_fma_f32 v[66:67], v[8:9], v[172:173], v[66:67] op_sel_hi:[0,1,1]
	v_cvt_f32_i32_e32 v172, v7
	v_mov_b32_e32 v7, 0
	v_cvt_f32_i32_e32 v173, v3
	v_mov_b32_e32 v3, 0
	v_dot4c_i32_i8_e32 v3, v33, v48
	v_dot4c_i32_i8_e32 v3, v34, v166
	;; [unrolled: 1-line block ×7, first 2 shown]
	v_pk_fma_f32 v[172:173], v[172:173], v[170:171], v[16:17] neg_lo:[0,0,1] neg_hi:[0,0,1]
	v_dot4c_i32_i8_e32 v3, v44, v169
	v_pk_fma_f32 v[64:65], v[10:11], v[172:173], v[64:65] op_sel_hi:[0,1,1]
	v_cvt_f32_i32_e32 v172, v47
	v_mov_b32_e32 v47, 0
	v_cvt_f32_i32_e32 v173, v3
	v_mov_b32_e32 v3, 0
	v_dot4c_i32_i8_e32 v3, v45, v48
	v_dot4c_i32_i8_e32 v3, v46, v166
	;; [unrolled: 1-line block ×8, first 2 shown]
	v_cvt_f32_i32_e32 v48, v165
	v_pk_fma_f32 v[172:173], v[172:173], v[170:171], v[16:17] neg_lo:[0,0,1] neg_hi:[0,0,1]
	v_mov_b32_e32 v165, 0
	v_cvt_f32_i32_e32 v49, v3
	v_mov_b32_e32 v3, 0
	v_pk_fma_f32 v[62:63], v[12:13], v[172:173], v[62:63] op_sel_hi:[0,1,1]
	v_pk_fma_f32 v[16:17], v[48:49], v[170:171], v[16:17] neg_lo:[0,0,1] neg_hi:[0,0,1]
	s_nop 0
	v_pk_fma_f32 v[60:61], v[14:15], v[16:17], v[60:61] op_sel_hi:[0,1,1]
	ds_read_b128 v[48:51], v11 offset:6144
	ds_read_b128 v[166:169], v11 offset:6160
	ds_read2_b32 v[16:17], v9 offset0:192 offset1:224
	v_mov_b32_e32 v170, 0
	s_waitcnt lgkmcnt(2)
	v_dot4c_i32_i8_e32 v3, v21, v48
	v_dot4c_i32_i8_e32 v7, v23, v48
	;; [unrolled: 1-line block ×4, first 2 shown]
	s_waitcnt lgkmcnt(1)
	v_dot4c_i32_i8_e32 v3, v22, v166
	v_dot4c_i32_i8_e32 v7, v24, v166
	;; [unrolled: 1-line block ×28, first 2 shown]
	ds_read_b128 v[48:51], v11 offset:7168
	ds_read_b128 v[166:169], v11 offset:7184
	s_waitcnt lgkmcnt(1)
	v_dot4c_i32_i8_e32 v170, v21, v48
	s_waitcnt lgkmcnt(0)
	v_dot4c_i32_i8_e32 v170, v22, v166
	v_dot4c_i32_i8_e32 v170, v25, v49
	v_dot4c_i32_i8_e32 v170, v26, v167
	v_dot4c_i32_i8_e32 v170, v29, v50
	v_dot4c_i32_i8_e32 v170, v30, v168
	v_dot4c_i32_i8_e32 v170, v31, v51
	v_dot4c_i32_i8_e32 v170, v32, v169
	v_cvt_f32_f16_e32 v31, v17
	v_cvt_f32_f16_e32 v30, v16
	v_cvt_f32_f16_sdwa v17, v17 dst_sel:DWORD dst_unused:UNUSED_PAD src0_sel:WORD_1
	v_cvt_f32_i32_e32 v171, v170
	v_cvt_f32_i32_e32 v170, v3
	v_mov_b32_e32 v3, 0
	v_dot4c_i32_i8_e32 v3, v23, v48
	v_dot4c_i32_i8_e32 v3, v24, v166
	;; [unrolled: 1-line block ×8, first 2 shown]
	v_cvt_f32_f16_sdwa v16, v16 dst_sel:DWORD dst_unused:UNUSED_PAD src0_sel:WORD_1
	v_cvt_f32_i32_e32 v22, v7
	v_pk_mul_f32 v[16:17], v[16:17], s[0:1] op_sel_hi:[1,0]
	v_cvt_f32_i32_e32 v23, v3
	v_mov_b32_e32 v3, 0
	v_dot4c_i32_i8_e32 v3, v33, v48
	v_dot4c_i32_i8_e32 v3, v34, v166
	;; [unrolled: 1-line block ×7, first 2 shown]
	v_pk_fma_f32 v[22:23], v[22:23], v[30:31], v[16:17] neg_lo:[0,0,1] neg_hi:[0,0,1]
	v_dot4c_i32_i8_e32 v3, v44, v169
	v_pk_fma_f32 v[56:57], v[10:11], v[22:23], v[56:57] op_sel_hi:[0,1,1]
	v_cvt_f32_i32_e32 v22, v47
	v_pk_fma_f32 v[170:171], v[170:171], v[30:31], v[16:17] neg_lo:[0,0,1] neg_hi:[0,0,1]
	v_cvt_f32_i32_e32 v23, v3
	v_mov_b32_e32 v3, 0
	v_dot4c_i32_i8_e32 v3, v45, v48
	v_dot4c_i32_i8_e32 v3, v46, v166
	;; [unrolled: 1-line block ×8, first 2 shown]
	v_cvt_f32_i32_e32 v0, v165
	v_pk_fma_f32 v[22:23], v[22:23], v[30:31], v[16:17] neg_lo:[0,0,1] neg_hi:[0,0,1]
	v_pk_fma_f32 v[58:59], v[8:9], v[170:171], v[58:59] op_sel_hi:[0,1,1]
	v_cvt_f32_i32_e32 v1, v3
	v_pk_fma_f32 v[54:55], v[12:13], v[22:23], v[54:55] op_sel_hi:[0,1,1]
	v_add_u32_e32 v13, 4, v13
	v_add_u32_e32 v11, 32, v11
	v_pk_fma_f32 v[0:1], v[0:1], v[30:31], v[16:17] neg_lo:[0,0,1] neg_hi:[0,0,1]
	v_add_u32_e32 v9, 4, v9
	v_pk_fma_f32 v[52:53], v[14:15], v[0:1], v[52:53] op_sel_hi:[0,1,1]
	v_add_u32_e32 v15, 4, v15
	s_cbranch_scc1 .LBB118_12
; %bb.13:                               ;   in Loop: Header=BB118_7 Depth=1
	s_barrier
	s_branch .LBB118_6
.LBB118_14:
	v_mov_b32_e32 v1, v111
	v_cmp_gt_u32_e32 vcc, s10, v77
	s_and_saveexec_b64 s[0:1], vcc
	s_cbranch_execz .LBB118_3
.LBB118_15:
	v_add_u32_e32 v0, s6, v71
	v_mul_lo_u32 v5, v77, s14
	v_cmp_gt_u32_e32 vcc, s14, v0
	s_and_saveexec_b64 s[0:1], vcc
	s_cbranch_execz .LBB118_17
; %bb.16:
	v_add_u32_e32 v2, v0, v5
	v_mov_b32_e32 v3, 0
	s_waitcnt lgkmcnt(0)
	v_lshl_add_u64 v[2:3], v[2:3], 2, s[12:13]
	global_store_dword v[2:3], v114, off
.LBB118_17:
	s_or_b64 exec, exec, s[0:1]
	v_add_u32_e32 v2, 32, v0
	v_cmp_gt_u32_e64 s[0:1], s14, v2
	s_and_saveexec_b64 s[2:3], s[0:1]
	s_cbranch_execz .LBB118_19
; %bb.18:
	v_add_u32_e32 v6, v2, v5
	v_mov_b32_e32 v7, 0
	s_waitcnt lgkmcnt(0)
	v_lshl_add_u64 v[6:7], v[6:7], 2, s[12:13]
	global_store_dword v[6:7], v120, off
.LBB118_19:
	s_or_b64 exec, exec, s[2:3]
	v_add_u32_e32 v3, 64, v0
	v_cmp_gt_u32_e64 s[2:3], s14, v3
	s_and_saveexec_b64 s[4:5], s[2:3]
	;; [unrolled: 12-line block ×3, first 2 shown]
	s_cbranch_execz .LBB118_23
; %bb.22:
	v_add_u32_e32 v6, v4, v5
	v_mov_b32_e32 v7, 0
	s_waitcnt lgkmcnt(0)
	v_lshl_add_u64 v[6:7], v[6:7], 2, s[12:13]
	global_store_dword v[6:7], v112, off
.LBB118_23:
	s_or_b64 exec, exec, s[6:7]
	v_add3_u32 v5, v1, s15, 8
	v_cmp_gt_u32_e64 s[6:7], s10, v5
	s_and_b64 exec, exec, s[6:7]
	s_cbranch_execz .LBB118_3
; %bb.24:
	v_mul_lo_u32 v5, v5, s14
	s_and_saveexec_b64 s[6:7], vcc
	s_cbranch_execnz .LBB118_64
; %bb.25:
	s_or_b64 exec, exec, s[6:7]
	s_and_saveexec_b64 s[6:7], s[0:1]
	s_cbranch_execnz .LBB118_65
.LBB118_26:
	s_or_b64 exec, exec, s[6:7]
	s_and_saveexec_b64 s[6:7], s[2:3]
	s_cbranch_execnz .LBB118_66
.LBB118_27:
	s_or_b64 exec, exec, s[6:7]
	s_and_saveexec_b64 s[6:7], s[4:5]
	s_cbranch_execz .LBB118_29
.LBB118_28:
	v_add_u32_e32 v6, v5, v4
	v_mov_b32_e32 v7, 0
	s_waitcnt lgkmcnt(0)
	v_lshl_add_u64 v[6:7], v[6:7], 2, s[12:13]
	global_store_dword v[6:7], v113, off
.LBB118_29:
	s_or_b64 exec, exec, s[6:7]
	v_add3_u32 v5, v1, s15, 16
	v_cmp_gt_u32_e64 s[6:7], s10, v5
	s_and_b64 exec, exec, s[6:7]
	s_cbranch_execz .LBB118_3
; %bb.30:
	v_mul_lo_u32 v5, v5, s14
	s_and_saveexec_b64 s[6:7], vcc
	s_cbranch_execnz .LBB118_67
; %bb.31:
	s_or_b64 exec, exec, s[6:7]
	s_and_saveexec_b64 s[6:7], s[0:1]
	s_cbranch_execnz .LBB118_68
.LBB118_32:
	s_or_b64 exec, exec, s[6:7]
	s_and_saveexec_b64 s[6:7], s[2:3]
	s_cbranch_execnz .LBB118_69
.LBB118_33:
	s_or_b64 exec, exec, s[6:7]
	s_and_saveexec_b64 s[6:7], s[4:5]
	s_cbranch_execz .LBB118_35
.LBB118_34:
	v_add_u32_e32 v6, v5, v4
	v_mov_b32_e32 v7, 0
	s_waitcnt lgkmcnt(0)
	v_lshl_add_u64 v[6:7], v[6:7], 2, s[12:13]
	global_store_dword v[6:7], v68, off
.LBB118_35:
	s_or_b64 exec, exec, s[6:7]
	v_add3_u32 v5, v1, s15, 24
	v_cmp_gt_u32_e64 s[6:7], s10, v5
	s_and_b64 exec, exec, s[6:7]
	s_cbranch_execz .LBB118_3
; %bb.36:
	v_mul_lo_u32 v5, v5, s14
	s_and_saveexec_b64 s[6:7], vcc
	s_cbranch_execnz .LBB118_70
; %bb.37:
	s_or_b64 exec, exec, s[6:7]
	s_and_saveexec_b64 s[6:7], s[0:1]
	s_cbranch_execnz .LBB118_71
.LBB118_38:
	s_or_b64 exec, exec, s[6:7]
	s_and_saveexec_b64 s[6:7], s[2:3]
	s_cbranch_execnz .LBB118_72
.LBB118_39:
	s_or_b64 exec, exec, s[6:7]
	s_and_saveexec_b64 s[6:7], s[4:5]
	s_cbranch_execz .LBB118_41
.LBB118_40:
	v_add_u32_e32 v6, v5, v4
	v_mov_b32_e32 v7, 0
	s_waitcnt lgkmcnt(0)
	v_lshl_add_u64 v[6:7], v[6:7], 2, s[12:13]
	global_store_dword v[6:7], v69, off
.LBB118_41:
	s_or_b64 exec, exec, s[6:7]
	v_add3_u32 v5, v1, s15, 32
	v_cmp_gt_u32_e64 s[6:7], s10, v5
	s_and_b64 exec, exec, s[6:7]
	s_cbranch_execz .LBB118_3
; %bb.42:
	v_mul_lo_u32 v5, v5, s14
	s_and_saveexec_b64 s[6:7], vcc
	s_cbranch_execnz .LBB118_73
; %bb.43:
	s_or_b64 exec, exec, s[6:7]
	s_and_saveexec_b64 s[6:7], s[0:1]
	s_cbranch_execnz .LBB118_74
.LBB118_44:
	s_or_b64 exec, exec, s[6:7]
	s_and_saveexec_b64 s[6:7], s[2:3]
	s_cbranch_execnz .LBB118_75
.LBB118_45:
	s_or_b64 exec, exec, s[6:7]
	s_and_saveexec_b64 s[6:7], s[4:5]
	s_cbranch_execz .LBB118_47
.LBB118_46:
	v_add_u32_e32 v6, v5, v4
	v_mov_b32_e32 v7, 0
	s_waitcnt lgkmcnt(0)
	v_lshl_add_u64 v[6:7], v[6:7], 2, s[12:13]
	global_store_dword v[6:7], v60, off
.LBB118_47:
	s_or_b64 exec, exec, s[6:7]
	v_add3_u32 v5, v1, s15, 40
	v_cmp_gt_u32_e64 s[6:7], s10, v5
	s_and_b64 exec, exec, s[6:7]
	s_cbranch_execz .LBB118_3
; %bb.48:
	v_mul_lo_u32 v5, v5, s14
	s_and_saveexec_b64 s[6:7], vcc
	s_cbranch_execnz .LBB118_76
; %bb.49:
	s_or_b64 exec, exec, s[6:7]
	s_and_saveexec_b64 s[6:7], s[0:1]
	s_cbranch_execnz .LBB118_77
.LBB118_50:
	s_or_b64 exec, exec, s[6:7]
	s_and_saveexec_b64 s[6:7], s[2:3]
	s_cbranch_execnz .LBB118_78
.LBB118_51:
	s_or_b64 exec, exec, s[6:7]
	s_and_saveexec_b64 s[6:7], s[4:5]
	s_cbranch_execz .LBB118_53
.LBB118_52:
	v_add_u32_e32 v6, v5, v4
	v_mov_b32_e32 v7, 0
	s_waitcnt lgkmcnt(0)
	v_lshl_add_u64 v[6:7], v[6:7], 2, s[12:13]
	global_store_dword v[6:7], v61, off
.LBB118_53:
	s_or_b64 exec, exec, s[6:7]
	v_add3_u32 v5, v1, s15, 48
	v_cmp_gt_u32_e64 s[6:7], s10, v5
	s_and_b64 exec, exec, s[6:7]
	s_cbranch_execz .LBB118_3
; %bb.54:
	v_mul_lo_u32 v5, v5, s14
	s_and_saveexec_b64 s[6:7], vcc
	s_cbranch_execnz .LBB118_79
; %bb.55:
	s_or_b64 exec, exec, s[6:7]
	s_and_saveexec_b64 s[6:7], s[0:1]
	s_cbranch_execnz .LBB118_80
.LBB118_56:
	s_or_b64 exec, exec, s[6:7]
	s_and_saveexec_b64 s[6:7], s[2:3]
	s_cbranch_execnz .LBB118_81
.LBB118_57:
	s_or_b64 exec, exec, s[6:7]
	s_and_saveexec_b64 s[6:7], s[4:5]
	s_cbranch_execz .LBB118_59
.LBB118_58:
	v_add_u32_e32 v6, v5, v4
	v_mov_b32_e32 v7, 0
	s_waitcnt lgkmcnt(0)
	v_lshl_add_u64 v[6:7], v[6:7], 2, s[12:13]
	global_store_dword v[6:7], v52, off
.LBB118_59:
	s_or_b64 exec, exec, s[6:7]
	v_add3_u32 v1, v1, s15, 56
	v_cmp_gt_u32_e64 s[6:7], s10, v1
	s_and_b64 exec, exec, s[6:7]
	s_cbranch_execz .LBB118_3
; %bb.60:
	v_mul_lo_u32 v1, v1, s14
	s_and_saveexec_b64 s[6:7], vcc
	s_cbranch_execnz .LBB118_82
; %bb.61:
	s_or_b64 exec, exec, s[6:7]
	s_and_saveexec_b64 s[6:7], s[0:1]
	s_cbranch_execnz .LBB118_83
.LBB118_62:
	s_or_b64 exec, exec, s[6:7]
	s_and_saveexec_b64 s[0:1], s[2:3]
	s_cbranch_execnz .LBB118_84
.LBB118_63:
	s_or_b64 exec, exec, s[0:1]
	s_and_b64 exec, exec, s[4:5]
	s_cbranch_execz .LBB118_3
	s_branch .LBB118_85
.LBB118_64:
	v_add_u32_e32 v6, v5, v0
	v_mov_b32_e32 v7, 0
	s_waitcnt lgkmcnt(0)
	v_lshl_add_u64 v[6:7], v[6:7], 2, s[12:13]
	global_store_dword v[6:7], v115, off
	s_or_b64 exec, exec, s[6:7]
	s_and_saveexec_b64 s[6:7], s[0:1]
	s_cbranch_execz .LBB118_26
.LBB118_65:
	v_add_u32_e32 v6, v5, v2
	v_mov_b32_e32 v7, 0
	s_waitcnt lgkmcnt(0)
	v_lshl_add_u64 v[6:7], v[6:7], 2, s[12:13]
	global_store_dword v[6:7], v121, off
	s_or_b64 exec, exec, s[6:7]
	s_and_saveexec_b64 s[6:7], s[2:3]
	s_cbranch_execz .LBB118_27
.LBB118_66:
	v_add_u32_e32 v6, v5, v3
	v_mov_b32_e32 v7, 0
	s_waitcnt lgkmcnt(0)
	v_lshl_add_u64 v[6:7], v[6:7], 2, s[12:13]
	global_store_dword v[6:7], v117, off
	s_or_b64 exec, exec, s[6:7]
	s_and_saveexec_b64 s[6:7], s[4:5]
	s_cbranch_execnz .LBB118_28
	s_branch .LBB118_29
.LBB118_67:
	v_add_u32_e32 v6, v5, v0
	v_mov_b32_e32 v7, 0
	s_waitcnt lgkmcnt(0)
	v_lshl_add_u64 v[6:7], v[6:7], 2, s[12:13]
	global_store_dword v[6:7], v90, off
	s_or_b64 exec, exec, s[6:7]
	s_and_saveexec_b64 s[6:7], s[0:1]
	s_cbranch_execz .LBB118_32
.LBB118_68:
	v_add_u32_e32 v6, v5, v2
	v_mov_b32_e32 v7, 0
	s_waitcnt lgkmcnt(0)
	v_lshl_add_u64 v[6:7], v[6:7], 2, s[12:13]
	global_store_dword v[6:7], v82, off
	s_or_b64 exec, exec, s[6:7]
	s_and_saveexec_b64 s[6:7], s[2:3]
	s_cbranch_execz .LBB118_33
.LBB118_69:
	v_add_u32_e32 v6, v5, v3
	v_mov_b32_e32 v7, 0
	s_waitcnt lgkmcnt(0)
	v_lshl_add_u64 v[6:7], v[6:7], 2, s[12:13]
	global_store_dword v[6:7], v74, off
	s_or_b64 exec, exec, s[6:7]
	s_and_saveexec_b64 s[6:7], s[4:5]
	s_cbranch_execnz .LBB118_34
	s_branch .LBB118_35
.LBB118_70:
	v_add_u32_e32 v6, v5, v0
	v_mov_b32_e32 v7, 0
	s_waitcnt lgkmcnt(0)
	v_lshl_add_u64 v[6:7], v[6:7], 2, s[12:13]
	global_store_dword v[6:7], v91, off
	s_or_b64 exec, exec, s[6:7]
	s_and_saveexec_b64 s[6:7], s[0:1]
	s_cbranch_execz .LBB118_38
.LBB118_71:
	v_add_u32_e32 v6, v5, v2
	v_mov_b32_e32 v7, 0
	s_waitcnt lgkmcnt(0)
	v_lshl_add_u64 v[6:7], v[6:7], 2, s[12:13]
	global_store_dword v[6:7], v83, off
	s_or_b64 exec, exec, s[6:7]
	s_and_saveexec_b64 s[6:7], s[2:3]
	s_cbranch_execz .LBB118_39
.LBB118_72:
	v_add_u32_e32 v6, v5, v3
	v_mov_b32_e32 v7, 0
	s_waitcnt lgkmcnt(0)
	v_lshl_add_u64 v[6:7], v[6:7], 2, s[12:13]
	global_store_dword v[6:7], v75, off
	s_or_b64 exec, exec, s[6:7]
	s_and_saveexec_b64 s[6:7], s[4:5]
	s_cbranch_execnz .LBB118_40
	s_branch .LBB118_41
.LBB118_73:
	v_add_u32_e32 v6, v5, v0
	v_mov_b32_e32 v7, 0
	s_waitcnt lgkmcnt(0)
	v_lshl_add_u64 v[6:7], v[6:7], 2, s[12:13]
	global_store_dword v[6:7], v66, off
	s_or_b64 exec, exec, s[6:7]
	s_and_saveexec_b64 s[6:7], s[0:1]
	s_cbranch_execz .LBB118_44
.LBB118_74:
	v_add_u32_e32 v6, v5, v2
	v_mov_b32_e32 v7, 0
	s_waitcnt lgkmcnt(0)
	v_lshl_add_u64 v[6:7], v[6:7], 2, s[12:13]
	global_store_dword v[6:7], v64, off
	s_or_b64 exec, exec, s[6:7]
	s_and_saveexec_b64 s[6:7], s[2:3]
	s_cbranch_execz .LBB118_45
.LBB118_75:
	v_add_u32_e32 v6, v5, v3
	v_mov_b32_e32 v7, 0
	s_waitcnt lgkmcnt(0)
	v_lshl_add_u64 v[6:7], v[6:7], 2, s[12:13]
	global_store_dword v[6:7], v62, off
	s_or_b64 exec, exec, s[6:7]
	s_and_saveexec_b64 s[6:7], s[4:5]
	s_cbranch_execnz .LBB118_46
	s_branch .LBB118_47
.LBB118_76:
	v_add_u32_e32 v6, v5, v0
	v_mov_b32_e32 v7, 0
	s_waitcnt lgkmcnt(0)
	v_lshl_add_u64 v[6:7], v[6:7], 2, s[12:13]
	global_store_dword v[6:7], v67, off
	s_or_b64 exec, exec, s[6:7]
	s_and_saveexec_b64 s[6:7], s[0:1]
	s_cbranch_execz .LBB118_50
.LBB118_77:
	v_add_u32_e32 v6, v5, v2
	v_mov_b32_e32 v7, 0
	s_waitcnt lgkmcnt(0)
	v_lshl_add_u64 v[6:7], v[6:7], 2, s[12:13]
	global_store_dword v[6:7], v65, off
	s_or_b64 exec, exec, s[6:7]
	s_and_saveexec_b64 s[6:7], s[2:3]
	s_cbranch_execz .LBB118_51
.LBB118_78:
	v_add_u32_e32 v6, v5, v3
	v_mov_b32_e32 v7, 0
	s_waitcnt lgkmcnt(0)
	v_lshl_add_u64 v[6:7], v[6:7], 2, s[12:13]
	global_store_dword v[6:7], v63, off
	s_or_b64 exec, exec, s[6:7]
	s_and_saveexec_b64 s[6:7], s[4:5]
	s_cbranch_execnz .LBB118_52
	s_branch .LBB118_53
.LBB118_79:
	v_add_u32_e32 v6, v5, v0
	v_mov_b32_e32 v7, 0
	s_waitcnt lgkmcnt(0)
	v_lshl_add_u64 v[6:7], v[6:7], 2, s[12:13]
	global_store_dword v[6:7], v58, off
	s_or_b64 exec, exec, s[6:7]
	s_and_saveexec_b64 s[6:7], s[0:1]
	s_cbranch_execz .LBB118_56
.LBB118_80:
	v_add_u32_e32 v6, v5, v2
	v_mov_b32_e32 v7, 0
	s_waitcnt lgkmcnt(0)
	v_lshl_add_u64 v[6:7], v[6:7], 2, s[12:13]
	global_store_dword v[6:7], v56, off
	s_or_b64 exec, exec, s[6:7]
	s_and_saveexec_b64 s[6:7], s[2:3]
	s_cbranch_execz .LBB118_57
.LBB118_81:
	v_add_u32_e32 v6, v5, v3
	v_mov_b32_e32 v7, 0
	s_waitcnt lgkmcnt(0)
	v_lshl_add_u64 v[6:7], v[6:7], 2, s[12:13]
	global_store_dword v[6:7], v54, off
	s_or_b64 exec, exec, s[6:7]
	s_and_saveexec_b64 s[6:7], s[4:5]
	s_cbranch_execnz .LBB118_58
	s_branch .LBB118_59
.LBB118_82:
	v_add_u32_e32 v6, v1, v0
	v_mov_b32_e32 v7, 0
	s_waitcnt lgkmcnt(0)
	v_lshl_add_u64 v[6:7], v[6:7], 2, s[12:13]
	global_store_dword v[6:7], v59, off
	s_or_b64 exec, exec, s[6:7]
	s_and_saveexec_b64 s[6:7], s[0:1]
	s_cbranch_execz .LBB118_62
.LBB118_83:
	v_add_u32_e32 v6, v1, v2
	v_mov_b32_e32 v7, 0
	s_waitcnt lgkmcnt(0)
	v_lshl_add_u64 v[6:7], v[6:7], 2, s[12:13]
	global_store_dword v[6:7], v57, off
	s_or_b64 exec, exec, s[6:7]
	s_and_saveexec_b64 s[0:1], s[2:3]
	s_cbranch_execz .LBB118_63
.LBB118_84:
	v_add_u32_e32 v2, v1, v3
	v_mov_b32_e32 v3, 0
	s_waitcnt lgkmcnt(0)
	v_lshl_add_u64 v[2:3], v[2:3], 2, s[12:13]
	global_store_dword v[2:3], v55, off
	s_or_b64 exec, exec, s[0:1]
	s_and_b64 exec, exec, s[4:5]
	s_cbranch_execz .LBB118_3
.LBB118_85:
	v_add_u32_e32 v0, v1, v4
	v_mov_b32_e32 v1, 0
	s_waitcnt lgkmcnt(0)
	v_lshl_add_u64 v[0:1], v[0:1], 2, s[12:13]
	global_store_dword v[0:1], v53, off
	s_endpgm
	.section	.rodata,"a",@progbits
	.p2align	6, 0x0
	.amdhsa_kernel _ZL12mul_mat_q4_0IfLb1EEvPKvS1_PT_iiiii
		.amdhsa_group_segment_fixed_size 30336
		.amdhsa_private_segment_fixed_size 0
		.amdhsa_kernarg_size 44
		.amdhsa_user_sgpr_count 2
		.amdhsa_user_sgpr_dispatch_ptr 0
		.amdhsa_user_sgpr_queue_ptr 0
		.amdhsa_user_sgpr_kernarg_segment_ptr 1
		.amdhsa_user_sgpr_dispatch_id 0
		.amdhsa_user_sgpr_kernarg_preload_length 0
		.amdhsa_user_sgpr_kernarg_preload_offset 0
		.amdhsa_user_sgpr_private_segment_size 0
		.amdhsa_uses_dynamic_stack 0
		.amdhsa_enable_private_segment 0
		.amdhsa_system_sgpr_workgroup_id_x 1
		.amdhsa_system_sgpr_workgroup_id_y 1
		.amdhsa_system_sgpr_workgroup_id_z 0
		.amdhsa_system_sgpr_workgroup_info 0
		.amdhsa_system_vgpr_workitem_id 1
		.amdhsa_next_free_vgpr 243
		.amdhsa_next_free_sgpr 96
		.amdhsa_accum_offset 244
		.amdhsa_reserve_vcc 1
		.amdhsa_float_round_mode_32 0
		.amdhsa_float_round_mode_16_64 0
		.amdhsa_float_denorm_mode_32 3
		.amdhsa_float_denorm_mode_16_64 3
		.amdhsa_dx10_clamp 1
		.amdhsa_ieee_mode 1
		.amdhsa_fp16_overflow 0
		.amdhsa_tg_split 0
		.amdhsa_exception_fp_ieee_invalid_op 0
		.amdhsa_exception_fp_denorm_src 0
		.amdhsa_exception_fp_ieee_div_zero 0
		.amdhsa_exception_fp_ieee_overflow 0
		.amdhsa_exception_fp_ieee_underflow 0
		.amdhsa_exception_fp_ieee_inexact 0
		.amdhsa_exception_int_div_zero 0
	.end_amdhsa_kernel
	.section	.text._ZL12mul_mat_q4_0IfLb1EEvPKvS1_PT_iiiii,"axG",@progbits,_ZL12mul_mat_q4_0IfLb1EEvPKvS1_PT_iiiii,comdat
.Lfunc_end118:
	.size	_ZL12mul_mat_q4_0IfLb1EEvPKvS1_PT_iiiii, .Lfunc_end118-_ZL12mul_mat_q4_0IfLb1EEvPKvS1_PT_iiiii
                                        ; -- End function
	.set _ZL12mul_mat_q4_0IfLb1EEvPKvS1_PT_iiiii.num_vgpr, 243
	.set _ZL12mul_mat_q4_0IfLb1EEvPKvS1_PT_iiiii.num_agpr, 0
	.set _ZL12mul_mat_q4_0IfLb1EEvPKvS1_PT_iiiii.numbered_sgpr, 18
	.set _ZL12mul_mat_q4_0IfLb1EEvPKvS1_PT_iiiii.num_named_barrier, 0
	.set _ZL12mul_mat_q4_0IfLb1EEvPKvS1_PT_iiiii.private_seg_size, 0
	.set _ZL12mul_mat_q4_0IfLb1EEvPKvS1_PT_iiiii.uses_vcc, 1
	.set _ZL12mul_mat_q4_0IfLb1EEvPKvS1_PT_iiiii.uses_flat_scratch, 0
	.set _ZL12mul_mat_q4_0IfLb1EEvPKvS1_PT_iiiii.has_dyn_sized_stack, 0
	.set _ZL12mul_mat_q4_0IfLb1EEvPKvS1_PT_iiiii.has_recursion, 0
	.set _ZL12mul_mat_q4_0IfLb1EEvPKvS1_PT_iiiii.has_indirect_call, 0
	.section	.AMDGPU.csdata,"",@progbits
; Kernel info:
; codeLenInByte = 9688
; TotalNumSgprs: 24
; NumVgprs: 243
; NumAgprs: 0
; TotalNumVgprs: 243
; ScratchSize: 0
; MemoryBound: 0
; FloatMode: 240
; IeeeMode: 1
; LDSByteSize: 30336 bytes/workgroup (compile time only)
; SGPRBlocks: 12
; VGPRBlocks: 30
; NumSGPRsForWavesPerEU: 102
; NumVGPRsForWavesPerEU: 243
; AccumOffset: 244
; Occupancy: 2
; WaveLimiterHint : 0
; COMPUTE_PGM_RSRC2:SCRATCH_EN: 0
; COMPUTE_PGM_RSRC2:USER_SGPR: 2
; COMPUTE_PGM_RSRC2:TRAP_HANDLER: 0
; COMPUTE_PGM_RSRC2:TGID_X_EN: 1
; COMPUTE_PGM_RSRC2:TGID_Y_EN: 1
; COMPUTE_PGM_RSRC2:TGID_Z_EN: 0
; COMPUTE_PGM_RSRC2:TIDIG_COMP_CNT: 1
; COMPUTE_PGM_RSRC3_GFX90A:ACCUM_OFFSET: 60
; COMPUTE_PGM_RSRC3_GFX90A:TG_SPLIT: 0
	.section	.text._ZL12mul_mat_q4_1IfLb0EEvPKvS1_PT_iiiii,"axG",@progbits,_ZL12mul_mat_q4_1IfLb0EEvPKvS1_PT_iiiii,comdat
	.globl	_ZL12mul_mat_q4_1IfLb0EEvPKvS1_PT_iiiii ; -- Begin function _ZL12mul_mat_q4_1IfLb0EEvPKvS1_PT_iiiii
	.p2align	8
	.type	_ZL12mul_mat_q4_1IfLb0EEvPKvS1_PT_iiiii,@function
_ZL12mul_mat_q4_1IfLb0EEvPKvS1_PT_iiiii: ; @_ZL12mul_mat_q4_1IfLb0EEvPKvS1_PT_iiiii
; %bb.0:
	s_load_dword s6, s[0:1], 0x18
	s_load_dwordx4 s[8:11], s[0:1], 0x20
	s_waitcnt lgkmcnt(0)
	s_lshl_b32 s11, s3, 6
	v_bfe_u32 v85, v0, 10, 10
	s_cmp_gt_i32 s6, 31
	s_cbranch_scc1 .LBB119_4
; %bb.1:
	v_bfe_u32 v1, v0, 10, 10
	v_and_b32_e32 v81, 0x3ff, v0
	v_add_u32_e32 v87, s11, v1
	s_load_dwordx2 s[12:13], s[0:1], 0x10
	s_lshl_b32 s4, s2, 7
	s_cbranch_execz .LBB119_5
; %bb.2:
	v_mov_b32_e32 v56, 0
	v_mov_b32_e32 v57, v56
	v_mov_b64_e32 v[64:65], v[56:57]
	v_mov_b64_e32 v[72:73], v[56:57]
	;; [unrolled: 1-line block ×15, first 2 shown]
	v_cmp_gt_u32_e32 vcc, s8, v87
	s_and_saveexec_b64 s[0:1], vcc
	s_cbranch_execnz .LBB119_15
.LBB119_3:
	s_endpgm
.LBB119_4:
                                        ; implicit-def: $vgpr1
                                        ; implicit-def: $vgpr81
                                        ; implicit-def: $vgpr87
	s_load_dwordx2 s[12:13], s[0:1], 0x10
	s_lshl_b32 s4, s2, 7
.LBB119_5:
	s_ashr_i32 s5, s6, 31
	s_lshr_b32 s5, s5, 27
	s_load_dwordx4 s[0:3], s[0:1], 0x0
	s_add_i32 s14, s6, s5
	s_ashr_i32 s6, s9, 31
	s_lshr_b32 s6, s6, 27
	s_ashr_i32 s5, s14, 5
	s_add_i32 s6, s9, s6
	s_ashr_i32 s15, s6, 5
	s_mul_i32 s6, s5, s4
	v_bfe_u32 v133, v0, 3, 7
	s_mul_hi_i32 s7, s6, 20
	s_mul_i32 s6, s6, 20
	v_and_b32_e32 v112, 7, v0
	v_lshl_add_u32 v2, v85, 2, v133
	s_waitcnt lgkmcnt(0)
	s_add_u32 s6, s0, s6
	v_and_b32_e32 v3, 0x7fc, v2
	v_lshlrev_b32_e32 v4, 2, v112
	s_movk_i32 s0, 0x6200
	v_add3_u32 v8, v3, v4, s0
	v_add_u32_e32 v3, 32, v2
	v_and_b32_e32 v81, 0x3ff, v0
	v_mul_lo_u32 v116, s5, v2
	v_lshlrev_b32_e32 v9, 5, v2
	v_and_b32_e32 v5, 0xffc, v3
	v_lshlrev_b32_e32 v11, 5, v3
	v_add_u32_e32 v3, 64, v2
	v_add_u32_e32 v2, 0x60, v2
	v_lshlrev_b32_e32 v1, 2, v81
	s_movk_i32 s16, 0x84
	v_add3_u32 v10, v5, v4, s0
	v_and_b32_e32 v5, 0xffc, v3
	v_lshlrev_b32_e32 v13, 5, v3
	v_and_b32_e32 v3, 0xffc, v2
	v_bfe_u32 v80, v0, 2, 8
	v_and_b32_e32 v82, 12, v1
	v_mad_u32_u24 v89, v85, s16, v1
	v_add3_u32 v12, v5, v4, s0
	v_add3_u32 v14, v3, v4, s0
	v_and_b32_e32 v6, 31, v0
	v_and_b32_e32 v4, 28, v1
	v_mov_b32_e32 v1, 0x4200
	v_lshl_or_b32 v1, v6, 2, v1
	v_lshl_add_u32 v6, v85, 3, v80
	v_and_b32_e32 v7, 63, v6
	s_addc_u32 s7, s1, s7
	s_add_i32 s0, s8, -1
	v_or_b32_e32 v16, s11, v7
	v_and_b32_e32 v6, 3, v0
	v_min_i32_e32 v16, s0, v16
	v_lshlrev_b32_e32 v15, 5, v2
	v_cvt_f64_i32_e32 v[2:3], s0
	v_mad_u64_u32 v[120:121], s[0:1], v16, s15, v[6:7]
	v_lshlrev_b32_e32 v6, 2, v6
	v_add_u32_e32 v87, s11, v85
	v_lshl_or_b32 v6, v7, 4, v6
	v_add_u32_e32 v121, 0x7280, v6
	v_cvt_f64_u32_e32 v[6:7], v87
	v_min_f64 v[6:7], v[6:7], v[2:3]
	v_cvt_i32_f64_e32 v6, v[6:7]
	v_mul_lo_u32 v135, s15, v6
	v_add_u32_e32 v6, 8, v87
	v_cvt_f64_u32_e32 v[6:7], v6
	v_min_f64 v[6:7], v[6:7], v[2:3]
	v_cvt_i32_f64_e32 v6, v[6:7]
	v_mul_lo_u32 v137, s15, v6
	;; [unrolled: 5-line block ×4, first 2 shown]
	v_add_u32_e32 v6, 32, v87
	v_cvt_f64_u32_e32 v[6:7], v6
	v_min_f64 v[6:7], v[6:7], v[2:3]
	v_mul_lo_u32 v84, s5, v85
	s_lshl_b32 s17, s5, 3
	v_cvt_i32_f64_e32 v6, v[6:7]
	v_add_u32_e32 v86, s17, v84
	v_mul_lo_u32 v156, s15, v6
	v_add_u32_e32 v6, 40, v87
	v_add_u32_e32 v88, s17, v86
	v_cvt_f64_u32_e32 v[6:7], v6
	v_add_u32_e32 v90, s17, v88
	v_min_f64 v[6:7], v[6:7], v[2:3]
	v_add_u32_e32 v92, s17, v90
	v_cvt_i32_f64_e32 v6, v[6:7]
	v_add_u32_e32 v94, s17, v92
	v_mul_lo_u32 v157, s15, v6
	v_add_u32_e32 v6, 48, v87
	v_add_u32_e32 v96, s17, v94
	v_cvt_f64_u32_e32 v[6:7], v6
	v_add_u32_e32 v98, s17, v96
	v_min_f64 v[6:7], v[6:7], v[2:3]
	v_add_u32_e32 v102, s17, v98
	v_cvt_i32_f64_e32 v6, v[6:7]
	v_add_u32_e32 v104, s17, v102
	v_mul_lo_u32 v158, s15, v6
	v_add_u32_e32 v6, 56, v87
	v_add_u32_e32 v106, s17, v104
	v_cvt_f64_u32_e32 v[6:7], v6
	v_mov_b32_e32 v83, 0
	v_add_u32_e32 v108, s17, v106
	v_min_f64 v[2:3], v[6:7], v[2:3]
	s_and_b32 s18, s14, 0xffffffe0
	v_mov_b32_e32 v5, v83
	v_cvt_i32_f64_e32 v2, v[2:3]
	v_add_u32_e32 v3, 32, v81
	v_add_u32_e32 v6, 64, v81
	;; [unrolled: 1-line block ×4, first 2 shown]
	v_lshlrev_b32_e32 v16, 7, v85
	v_lshrrev_b32_e32 v161, 3, v3
	v_lshl_add_u64 v[122:123], s[2:3], 0, v[4:5]
	v_lshlrev_b32_e32 v4, 5, v81
	v_and_b32_e32 v5, 0x1fc, v7
	v_and_b32_e32 v6, 0x1fc, v6
	;; [unrolled: 1-line block ×4, first 2 shown]
	v_add_u32_e32 v126, s17, v124
	v_add_u32_e32 v132, s18, v116
	;; [unrolled: 1-line block ×8, first 2 shown]
	v_mul_lo_u32 v159, s15, v2
	v_add_u32_e32 v2, 0x1c00, v16
	v_add_u32_e32 v5, v4, v5
	v_add_u32_e32 v6, v4, v6
	v_add_u32_e32 v3, v4, v3
	v_add_u32_e32 v0, v4, v0
	v_mov_b32_e32 v4, 0x7280
	v_mov_b32_e32 v118, v83
	;; [unrolled: 1-line block ×3, first 2 shown]
	v_add_u32_e32 v128, s17, v126
	v_add_u32_e32 v134, s18, v132
	;; [unrolled: 1-line block ×17, first 2 shown]
	s_add_i32 s9, s5, 3
	v_mul_u32_u24_e32 v160, 0x84, v81
	v_add_u32_e32 v162, 0x6e00, v5
	v_add_u32_e32 v163, 0x6a00, v6
	;; [unrolled: 1-line block ×5, first 2 shown]
	v_lshl_add_u32 v167, v85, 4, v4
	v_add_u32_e32 v168, v10, v11
	v_add_u32_e32 v169, 0x4200, v16
	v_add_u32_e32 v170, v12, v13
	v_mad_u32_u24 v171, v81, s16, 64
	v_add_u32_e32 v172, 0x6e10, v5
	v_add_u32_e32 v173, 0x6a10, v6
	;; [unrolled: 1-line block ×4, first 2 shown]
	s_mov_b32 s14, 0
	v_add_u32_e32 v176, v14, v15
	v_add_u32_e32 v177, v1, v16
	;; [unrolled: 1-line block ×11, first 2 shown]
	v_mov_b64_e32 v[78:79], v[118:119]
	v_mov_b64_e32 v[70:71], v[118:119]
	;; [unrolled: 1-line block ×15, first 2 shown]
	s_branch .LBB119_7
.LBB119_6:                              ;   in Loop: Header=BB119_7 Depth=1
	s_add_i32 s14, s14, 8
	s_add_i32 s9, s9, -8
	s_cmp_ge_i32 s14, s5
	s_cbranch_scc1 .LBB119_14
.LBB119_7:                              ; =>This Loop Header: Depth=1
                                        ;     Child Loop BB119_9 Depth 2
                                        ;     Child Loop BB119_12 Depth 2
	s_mul_i32 s0, s14, 20
	s_mul_hi_u32 s1, s14, 20
	s_add_u32 s0, s6, s0
	s_addc_u32 s1, s7, s1
	v_mad_u64_u32 v[0:1], s[16:17], v80, 20, s[0:1]
	v_mad_u64_u32 v[2:3], s[16:17], v84, 20, v[0:1]
	v_lshl_add_u64 v[2:3], v[2:3], 0, v[82:83]
	global_load_dword v2, v[2:3], off offset:4
	s_cmp_gt_u32 s9, 3
	s_waitcnt vmcnt(0)
	ds_write_b32 v89, v2
	v_mad_u64_u32 v[2:3], s[16:17], v86, 20, v[0:1]
	v_lshl_add_u64 v[2:3], v[2:3], 0, v[82:83]
	global_load_dword v2, v[2:3], off offset:4
	s_waitcnt vmcnt(0)
	ds_write_b32 v91, v2
	v_mad_u64_u32 v[2:3], s[16:17], v88, 20, v[0:1]
	v_lshl_add_u64 v[2:3], v[2:3], 0, v[82:83]
	global_load_dword v2, v[2:3], off offset:4
	;; [unrolled: 5-line block ×13, first 2 shown]
	s_waitcnt vmcnt(0)
	ds_write_b32 v127, v2
	v_mad_u64_u32 v[2:3], s[16:17], v128, 20, v[0:1]
	v_mad_u64_u32 v[0:1], s[16:17], v130, 20, v[0:1]
	v_lshl_add_u64 v[2:3], v[2:3], 0, v[82:83]
	v_lshl_add_u64 v[0:1], v[0:1], 0, v[82:83]
	global_load_dword v2, v[2:3], off offset:4
	s_nop 0
	global_load_dword v0, v[0:1], off offset:4
	s_waitcnt vmcnt(1)
	ds_write_b32 v129, v2
	s_waitcnt vmcnt(0)
	ds_write_b32 v131, v0
	v_mad_u64_u32 v[0:1], s[0:1], v112, 20, s[0:1]
	v_mad_u64_u32 v[2:3], s[0:1], v116, 20, v[0:1]
	global_load_dword v2, v[2:3], off
	s_waitcnt vmcnt(0)
	ds_write_b32 v166, v2
	v_mad_u64_u32 v[2:3], s[0:1], v132, 20, v[0:1]
	global_load_dword v2, v[2:3], off
	s_waitcnt vmcnt(0)
	ds_write_b32 v168, v2
	v_mad_u64_u32 v[2:3], s[0:1], v134, 20, v[0:1]
	v_mad_u64_u32 v[0:1], s[0:1], v136, 20, v[0:1]
	global_load_dword v2, v[2:3], off
	s_nop 0
	global_load_dword v0, v[0:1], off
	s_waitcnt vmcnt(1)
	ds_write_b32 v170, v2
	s_waitcnt vmcnt(0)
	ds_write_b32 v176, v0
	s_cbranch_scc0 .LBB119_6
; %bb.8:                                ;   in Loop: Header=BB119_7 Depth=1
	v_add_u32_e32 v2, s14, v133
	v_add_u32_e32 v0, v2, v135
	v_mad_i64_i32 v[0:1], s[0:1], v0, 36, v[122:123]
	global_load_dword v0, v[0:1], off offset:4
	v_add_u32_e32 v185, s14, v120
	v_mov_b32_e32 v186, v169
	v_mov_b32_e32 v187, v167
	;; [unrolled: 1-line block ×7, first 2 shown]
	s_waitcnt vmcnt(0)
	ds_write_b32 v177, v0
	v_add_u32_e32 v0, v2, v137
	v_mad_i64_i32 v[0:1], s[0:1], v0, 36, v[122:123]
	global_load_dword v0, v[0:1], off offset:4
	s_waitcnt vmcnt(0)
	ds_write_b32 v178, v0
	v_add_u32_e32 v0, v2, v154
	v_mad_i64_i32 v[0:1], s[0:1], v0, 36, v[122:123]
	global_load_dword v0, v[0:1], off offset:4
	;; [unrolled: 5-line block ×7, first 2 shown]
	s_waitcnt vmcnt(0)
	ds_write_b32 v184, v0
	v_mad_u64_u32 v[0:1], s[0:1], v185, 36, s[2:3]
	global_load_dword v0, v[0:1], off
	s_mov_b32 s0, -4
	s_waitcnt vmcnt(0)
	ds_write_b32 v121, v0
	s_waitcnt lgkmcnt(0)
	s_barrier
.LBB119_9:                              ;   Parent Loop BB119_7 Depth=1
                                        ; =>  This Inner Loop Header: Depth=2
	ds_read_b128 v[40:43], v186
	ds_read_b128 v[0:3], v186 offset:16
	ds_read2_b32 v[138:139], v192 offset0:2 offset1:3
	v_add_u32_e32 v140, 0x1080, v192
	v_add_u32_e32 v141, 0x1088, v192
	;; [unrolled: 1-line block ×5, first 2 shown]
	ds_read2_b32 v[146:147], v192 offset1:1
	ds_read_b32 v148, v191
	v_add_u32_e32 v145, 0x3188, v192
	ds_read_b128 v[28:31], v186 offset:1024
	ds_read_b128 v[8:11], v186 offset:1040
	;; [unrolled: 1-line block ×12, first 2 shown]
	ds_read2_b32 v[152:153], v140 offset1:1
	ds_read2_b32 v[140:141], v141 offset1:1
	;; [unrolled: 1-line block ×6, first 2 shown]
	s_waitcnt lgkmcnt(14)
	v_and_b32_e32 v149, 0xf0f0f0f, v147
	v_lshrrev_b32_e32 v147, 4, v147
	v_lshrrev_b32_e32 v220, 4, v138
	v_mov_b32_e32 v193, 0
	v_mov_b32_e32 v194, 0
	;; [unrolled: 1-line block ×4, first 2 shown]
	v_and_b32_e32 v237, 0xf0f0f0f, v146
	v_lshrrev_b32_e32 v150, 4, v146
	v_and_b32_e32 v151, 0xf0f0f0f, v147
	v_and_b32_e32 v147, 0xf0f0f0f, v220
	s_waitcnt lgkmcnt(5)
	v_and_b32_e32 v224, 0xf0f0f0f, v152
	v_lshrrev_b32_e32 v220, 4, v152
	s_waitcnt lgkmcnt(3)
	v_and_b32_e32 v227, 0xf0f0f0f, v218
	v_lshrrev_b32_e32 v218, 4, v218
	;; [unrolled: 3-line block ×3, first 2 shown]
	v_and_b32_e32 v223, 0xf0f0f0f, v150
	v_dot4c_i32_i8_e32 v193, v237, v40
	v_and_b32_e32 v233, 0xf0f0f0f, v220
	v_dot4c_i32_i8_e32 v194, v224, v40
	;; [unrolled: 2-line block ×4, first 2 shown]
	v_mov_b32_e32 v197, 0
	v_mov_b32_e32 v198, 0
	;; [unrolled: 1-line block ×4, first 2 shown]
	v_and_b32_e32 v152, 0xf0f0f0f, v153
	v_lshrrev_b32_e32 v225, 4, v153
	v_lshrrev_b32_e32 v232, 4, v140
	v_and_b32_e32 v221, 0xf0f0f0f, v219
	v_lshrrev_b32_e32 v219, 4, v219
	v_lshrrev_b32_e32 v234, 4, v142
	v_and_b32_e32 v226, 0xf0f0f0f, v229
	v_lshrrev_b32_e32 v229, 4, v229
	v_dot4c_i32_i8_e32 v193, v223, v0
	v_dot4c_i32_i8_e32 v194, v233, v0
	;; [unrolled: 1-line block ×4, first 2 shown]
	v_and_b32_e32 v230, 0xf0f0f0f, v225
	v_and_b32_e32 v225, 0xf0f0f0f, v232
	;; [unrolled: 1-line block ×5, first 2 shown]
	v_dot4c_i32_i8_e32 v193, v149, v41
	v_dot4c_i32_i8_e32 v194, v152, v41
	;; [unrolled: 1-line block ×8, first 2 shown]
	v_and_b32_e32 v146, 0xf0f0f0f, v138
	v_and_b32_e32 v150, 0xf0f0f0f, v140
	;; [unrolled: 1-line block ×3, first 2 shown]
	s_waitcnt lgkmcnt(0)
	v_and_b32_e32 v222, 0xf0f0f0f, v144
	v_lshrrev_b32_e32 v238, 4, v144
	v_dot4c_i32_i8_e32 v193, v151, v1
	v_dot4c_i32_i8_e32 v194, v230, v1
	;; [unrolled: 1-line block ×8, first 2 shown]
	v_mov_b32_e32 v201, 0
	v_mov_b32_e32 v202, 0
	;; [unrolled: 1-line block ×8, first 2 shown]
	v_and_b32_e32 v229, 0xf0f0f0f, v238
	v_dot4c_i32_i8_e32 v193, v146, v42
	v_dot4c_i32_i8_e32 v194, v150, v42
	;; [unrolled: 1-line block ×12, first 2 shown]
	ds_read_b32 v2, v188
	v_dot4c_i32_i8_e32 v197, v151, v9
	v_dot4c_i32_i8_e32 v198, v230, v9
	;; [unrolled: 1-line block ×4, first 2 shown]
	ds_read_b32 v8, v189
	ds_read_b32 v9, v190
	ds_read2_b32 v[0:1], v187 offset1:32
	v_dot4c_i32_i8_e32 v201, v237, v32
	v_dot4c_i32_i8_e32 v202, v224, v32
	;; [unrolled: 1-line block ×32, first 2 shown]
	v_mov_b32_e32 v209, 0
	v_mov_b32_e32 v210, 0
	;; [unrolled: 1-line block ×4, first 2 shown]
	v_dot4c_i32_i8_e32 v197, v146, v30
	v_dot4c_i32_i8_e32 v198, v150, v30
	;; [unrolled: 1-line block ×12, first 2 shown]
	v_mov_b32_e32 v213, 0
	v_mov_b32_e32 v214, 0
	;; [unrolled: 1-line block ×4, first 2 shown]
	v_dot4c_i32_i8_e32 v197, v147, v10
	v_dot4c_i32_i8_e32 v198, v225, v10
	;; [unrolled: 1-line block ×8, first 2 shown]
	s_waitcnt lgkmcnt(0)
	v_pk_mul_f16 v10, v0, v2
	v_pk_mul_f16 v20, v0, v8
	;; [unrolled: 1-line block ×4, first 2 shown]
	v_dot4c_i32_i8_e32 v205, v147, v18
	v_dot4c_i32_i8_e32 v206, v225, v18
	;; [unrolled: 1-line block ×4, first 2 shown]
	v_pk_mul_f16 v16, v2, v1
	v_pk_mul_f16 v18, v8, v1
	v_pk_mul_f16 v21, v9, v1
	v_pk_mul_f16 v29, v148, v1
	ds_read2_b32 v[0:1], v187 offset0:64 offset1:96
	v_dot4c_i32_i8_e32 v209, v237, v44
	v_dot4c_i32_i8_e32 v210, v224, v44
	;; [unrolled: 1-line block ×12, first 2 shown]
	v_mov_b32_e32 v217, 0
	v_mov_b32_e32 v218, 0
	v_mov_b32_e32 v219, 0
	v_mov_b32_e32 v220, 0
	v_dot4c_i32_i8_e32 v209, v149, v45
	v_dot4c_i32_i8_e32 v210, v152, v45
	;; [unrolled: 1-line block ×20, first 2 shown]
	v_and_b32_e32 v138, 0xf0f0f0f, v139
	v_and_b32_e32 v140, 0xf0f0f0f, v141
	;; [unrolled: 1-line block ×4, first 2 shown]
	v_dot4c_i32_i8_e32 v209, v146, v46
	v_dot4c_i32_i8_e32 v210, v150, v46
	;; [unrolled: 1-line block ×24, first 2 shown]
	s_waitcnt lgkmcnt(0)
	v_pk_mul_f16 v30, v2, v0
	v_pk_mul_f16 v31, v8, v0
	v_dot4c_i32_i8_e32 v213, v146, v50
	v_dot4c_i32_i8_e32 v214, v150, v50
	;; [unrolled: 1-line block ×4, first 2 shown]
	v_pk_mul_f16 v36, v8, v1
	v_dot4c_i32_i8_e32 v217, v149, v53
	v_dot4c_i32_i8_e32 v218, v152, v53
	;; [unrolled: 1-line block ×4, first 2 shown]
	ds_read_b128 v[42:45], v186 offset:7168
	v_dot4c_i32_i8_e32 v201, v138, v35
	v_dot4c_i32_i8_e32 v202, v140, v35
	;; [unrolled: 1-line block ×8, first 2 shown]
	v_pk_mul_f16 v46, v9, v0
	v_pk_mul_f16 v238, v148, v0
	v_dot4c_i32_i8_e32 v213, v147, v14
	v_dot4c_i32_i8_e32 v214, v225, v14
	;; [unrolled: 1-line block ×4, first 2 shown]
	v_pk_mul_f16 v14, v2, v1
	v_pk_mul_f16 v47, v9, v1
	v_pk_mul_f16 v48, v148, v1
	ds_read2_b32 v[0:1], v187 offset0:128 offset1:160
	v_dot4c_i32_i8_e32 v217, v151, v25
	v_dot4c_i32_i8_e32 v218, v230, v25
	;; [unrolled: 1-line block ×4, first 2 shown]
	v_cvt_f32_f16_e32 v25, v29
	v_cvt_f32_f16_e32 v24, v28
	v_cvt_f32_f16_sdwa v33, v29 dst_sel:DWORD dst_unused:UNUSED_PAD src0_sel:WORD_1
	v_cvt_f32_f16_sdwa v32, v28 dst_sel:DWORD dst_unused:UNUSED_PAD src0_sel:WORD_1
	v_cvt_f32_f16_e32 v38, v30
	v_cvt_f32_f16_sdwa v40, v30 dst_sel:DWORD dst_unused:UNUSED_PAD src0_sel:WORD_1
	v_cvt_f32_f16_e32 v35, v36
	v_cvt_f32_f16_e32 v34, v31
	v_cvt_f32_f16_sdwa v37, v36 dst_sel:DWORD dst_unused:UNUSED_PAD src0_sel:WORD_1
	v_cvt_f32_f16_sdwa v36, v31 dst_sel:DWORD dst_unused:UNUSED_PAD src0_sel:WORD_1
	ds_read_b128 v[28:31], v186 offset:7184
	v_mov_b32_e32 v6, 0
	v_dot4c_i32_i8_e32 v217, v146, v54
	v_dot4c_i32_i8_e32 v218, v150, v54
	;; [unrolled: 1-line block ×4, first 2 shown]
	s_waitcnt lgkmcnt(2)
	v_dot4c_i32_i8_e32 v6, v237, v42
	v_dot4c_i32_i8_e32 v205, v138, v39
	;; [unrolled: 1-line block ×13, first 2 shown]
	s_waitcnt lgkmcnt(1)
	v_pk_mul_f16 v50, v2, v0
	v_pk_mul_f16 v52, v8, v0
	;; [unrolled: 1-line block ×8, first 2 shown]
	ds_read2_b32 v[0:1], v187 offset0:192 offset1:224
	v_cvt_f32_f16_e32 v39, v14
	v_cvt_f32_f16_sdwa v41, v14 dst_sel:DWORD dst_unused:UNUSED_PAD src0_sel:WORD_1
	s_waitcnt lgkmcnt(1)
	v_dot4c_i32_i8_e32 v6, v223, v28
	v_mov_b32_e32 v14, 0
	v_mov_b32_e32 v26, 0
	v_mov_b32_e32 v223, 0
	v_dot4c_i32_i8_e32 v14, v224, v42
	v_dot4c_i32_i8_e32 v26, v227, v42
	;; [unrolled: 1-line block ×15, first 2 shown]
	s_waitcnt lgkmcnt(0)
	v_pk_mul_f16 v243, v2, v0
	v_pk_mul_f16 v244, v2, v1
	v_lshrrev_b32_e32 v2, 4, v139
	v_dot4c_i32_i8_e32 v6, v147, v30
	v_dot4c_i32_i8_e32 v14, v150, v44
	;; [unrolled: 1-line block ×8, first 2 shown]
	v_lshrrev_b32_e32 v54, 4, v141
	v_lshrrev_b32_e32 v55, 4, v143
	;; [unrolled: 1-line block ×3, first 2 shown]
	v_dot4c_i32_i8_e32 v6, v138, v45
	v_dot4c_i32_i8_e32 v14, v225, v30
	;; [unrolled: 1-line block ×4, first 2 shown]
	v_and_b32_e32 v224, 0xf0f0f0f, v2
	v_dot4c_i32_i8_e32 v14, v140, v45
	v_dot4c_i32_i8_e32 v26, v142, v45
	;; [unrolled: 1-line block ×3, first 2 shown]
	v_and_b32_e32 v30, 0xf0f0f0f, v54
	v_and_b32_e32 v221, 0xf0f0f0f, v55
	;; [unrolled: 1-line block ×3, first 2 shown]
	v_dot4c_i32_i8_e32 v193, v224, v3
	v_dot4c_i32_i8_e32 v197, v224, v11
	v_dot4c_i32_i8_e32 v201, v224, v23
	v_dot4c_i32_i8_e32 v205, v224, v19
	v_dot4c_i32_i8_e32 v217, v224, v27
	v_dot4c_i32_i8_e32 v6, v224, v31
	v_pk_mul_f16 v245, v8, v0
	v_pk_mul_f16 v246, v8, v1
	;; [unrolled: 1-line block ×6, first 2 shown]
	v_cvt_f32_f16_e32 v5, v16
	v_cvt_f32_f16_e32 v4, v10
	v_cvt_f32_f16_sdwa v17, v16 dst_sel:DWORD dst_unused:UNUSED_PAD src0_sel:WORD_1
	v_cvt_f32_f16_sdwa v16, v10 dst_sel:DWORD dst_unused:UNUSED_PAD src0_sel:WORD_1
	v_dot4c_i32_i8_e32 v194, v30, v3
	v_dot4c_i32_i8_e32 v195, v221, v3
	;; [unrolled: 1-line block ×6, first 2 shown]
	v_cvt_f32_f16_e32 v149, v244
	v_cvt_f32_f16_e32 v148, v243
	v_cvt_f32_f16_sdwa v151, v244 dst_sel:DWORD dst_unused:UNUSED_PAD src0_sel:WORD_1
	v_cvt_f32_f16_sdwa v150, v243 dst_sel:DWORD dst_unused:UNUSED_PAD src0_sel:WORD_1
	v_dot4c_i32_i8_e32 v202, v30, v23
	v_dot4c_i32_i8_e32 v203, v221, v23
	;; [unrolled: 1-line block ×20, first 2 shown]
	v_cvt_f32_i32_e32 v31, v197
	v_cvt_f32_i32_e32 v30, v193
	;; [unrolled: 1-line block ×6, first 2 shown]
	v_cvt_f32_f16_e32 v1, v18
	v_cvt_f32_f16_e32 v0, v20
	v_cvt_f32_f16_sdwa v9, v18 dst_sel:DWORD dst_unused:UNUSED_PAD src0_sel:WORD_1
	v_cvt_f32_f16_sdwa v8, v20 dst_sel:DWORD dst_unused:UNUSED_PAD src0_sel:WORD_1
	v_cvt_f32_f16_e32 v13, v21
	v_cvt_f32_f16_e32 v12, v22
	v_cvt_f32_f16_sdwa v21, v21 dst_sel:DWORD dst_unused:UNUSED_PAD src0_sel:WORD_1
	v_cvt_f32_f16_sdwa v20, v22 dst_sel:DWORD dst_unused:UNUSED_PAD src0_sel:WORD_1
	;; [unrolled: 4-line block ×11, first 2 shown]
	v_cvt_f32_i32_e32 v227, v213
	v_cvt_f32_i32_e32 v226, v209
	;; [unrolled: 1-line block ×26, first 2 shown]
	v_pk_fma_f32 v[4:5], v[4:5], v[30:31], v[16:17]
	v_pk_fma_f32 v[16:17], v[224:225], v[38:39], v[40:41]
	;; [unrolled: 1-line block ×3, first 2 shown]
	s_add_i32 s0, s0, 4
	v_pk_fma_f32 v[30:31], v[226:227], v[48:49], v[50:51]
	v_pk_add_f32 v[118:119], v[118:119], v[4:5]
	v_pk_fma_f32 v[0:1], v[0:1], v[228:229], v[8:9]
	v_pk_fma_f32 v[4:5], v[12:13], v[198:199], v[20:21]
	;; [unrolled: 1-line block ×3, first 2 shown]
	v_pk_add_f32 v[78:79], v[78:79], v[16:17]
	v_pk_fma_f32 v[12:13], v[196:197], v[34:35], v[36:37]
	v_pk_fma_f32 v[16:17], v[200:201], v[28:29], v[42:43]
	v_pk_fma_f32 v[20:21], v[202:203], v[44:45], v[46:47]
	v_pk_fma_f32 v[2:3], v[204:205], v[2:3], v[52:53]
	v_pk_fma_f32 v[24:25], v[206:207], v[54:55], v[138:139]
	v_pk_fma_f32 v[10:11], v[208:209], v[10:11], v[140:141]
	v_pk_add_f32 v[62:63], v[62:63], v[6:7]
	v_pk_fma_f32 v[6:7], v[14:15], v[22:23], v[142:143]
	v_pk_fma_f32 v[14:15], v[26:27], v[144:145], v[146:147]
	;; [unrolled: 1-line block ×3, first 2 shown]
	v_add_u32_e32 v192, 16, v192
	v_add_u32_e32 v191, 4, v191
	;; [unrolled: 1-line block ×7, first 2 shown]
	s_cmp_lt_u32 s0, 12
	v_pk_add_f32 v[70:71], v[70:71], v[30:31]
	v_pk_add_f32 v[114:115], v[114:115], v[0:1]
	;; [unrolled: 1-line block ×13, first 2 shown]
	s_cbranch_scc1 .LBB119_9
; %bb.10:                               ;   in Loop: Header=BB119_7 Depth=1
	s_and_b32 s0, s9, -4
	s_cmp_eq_u32 s0, 4
	s_barrier
	s_cbranch_scc1 .LBB119_6
; %bb.11:                               ;   in Loop: Header=BB119_7 Depth=1
	v_add_u32_e32 v14, s14, v161
	v_add_u32_e32 v0, v14, v135
	;; [unrolled: 1-line block ×6, first 2 shown]
	v_mad_i64_i32 v[0:1], s[0:1], v0, 36, v[122:123]
	v_mad_i64_i32 v[2:3], s[0:1], v2, 36, v[122:123]
	;; [unrolled: 1-line block ×4, first 2 shown]
	v_add_u32_e32 v8, v14, v156
	v_add_u32_e32 v10, v14, v157
	;; [unrolled: 1-line block ×4, first 2 shown]
	v_mad_u64_u32 v[16:17], s[0:1], v16, 36, s[2:3]
	v_mad_i64_i32 v[8:9], s[0:1], v8, 36, v[122:123]
	v_mad_i64_i32 v[10:11], s[0:1], v10, 36, v[122:123]
	;; [unrolled: 1-line block ×4, first 2 shown]
	global_load_dword v16, v[16:17], off
	s_nop 0
	global_load_dword v0, v[0:1], off offset:4
	s_nop 0
	global_load_dword v1, v[2:3], off offset:4
	;; [unrolled: 2-line block ×3, first 2 shown]
	global_load_dword v3, v[6:7], off offset:4
	s_nop 0
	global_load_dword v4, v[8:9], off offset:4
	global_load_dword v5, v[10:11], off offset:4
                                        ; kill: killed $vgpr8_vgpr9
                                        ; kill: killed $vgpr10_vgpr11
	global_load_dword v6, v[12:13], off offset:4
	global_load_dword v7, v[14:15], off offset:4
	s_mov_b32 s0, 12
	v_mov_b32_e32 v10, v167
	v_mov_b32_e32 v11, v169
	;; [unrolled: 1-line block ×6, first 2 shown]
	s_waitcnt vmcnt(8)
	ds_write_b32 v121, v16
	s_waitcnt vmcnt(7)
	ds_write_b32 v177, v0
	;; [unrolled: 2-line block ×9, first 2 shown]
	v_mov_b32_e32 v16, v171
	s_waitcnt lgkmcnt(0)
	s_barrier
.LBB119_12:                             ;   Parent Loop BB119_7 Depth=1
                                        ; =>  This Inner Loop Header: Depth=2
	ds_read_b128 v[0:3], v11
	ds_read_b128 v[4:7], v11 offset:16
	ds_read2_b32 v[8:9], v10 offset1:32
	ds_read_b32 v17, v12
	ds_read2_b32 v[22:23], v16 offset1:1
	ds_read2_b32 v[24:25], v16 offset0:2 offset1:3
	v_add_u32_e32 v36, 0x2108, v16
	v_add_u32_e32 v41, 0x3180, v16
	v_mov_b32_e32 v53, 0
	s_waitcnt lgkmcnt(1)
	v_lshrrev_b32_e32 v20, 4, v23
	v_and_b32_e32 v18, 0xf0f0f0f, v22
	v_lshrrev_b32_e32 v19, 4, v22
	v_and_b32_e32 v22, 0xf0f0f0f, v20
	s_waitcnt lgkmcnt(0)
	v_lshrrev_b32_e32 v20, 4, v24
	v_and_b32_e32 v31, 0xf0f0f0f, v20
	v_lshrrev_b32_e32 v20, 4, v25
	v_and_b32_e32 v21, 0xf0f0f0f, v23
	v_and_b32_e32 v30, 0xf0f0f0f, v24
	v_and_b32_e32 v32, 0xf0f0f0f, v25
	v_and_b32_e32 v33, 0xf0f0f0f, v20
	v_add_u32_e32 v23, 0x1080, v16
	ds_read_b32 v20, v13
	ds_read2_b32 v[24:25], v23 offset1:1
	v_mov_b32_e32 v142, 0
	v_mov_b32_e32 v144, 0
	v_mov_b32_e32 v146, 0
	v_and_b32_e32 v19, 0xf0f0f0f, v19
	s_waitcnt lgkmcnt(0)
	v_and_b32_e32 v26, 0xf0f0f0f, v25
	v_lshrrev_b32_e32 v25, 4, v25
	v_and_b32_e32 v27, 0xf0f0f0f, v25
	v_add_u32_e32 v25, 0x1088, v16
	ds_read2_b32 v[28:29], v25 offset1:1
	v_and_b32_e32 v23, 0xf0f0f0f, v24
	v_lshrrev_b32_e32 v24, 4, v24
	v_dot4c_i32_i8_e32 v53, v18, v0
	v_and_b32_e32 v24, 0xf0f0f0f, v24
	s_waitcnt lgkmcnt(0)
	v_lshrrev_b32_e32 v25, 4, v28
	v_and_b32_e32 v38, 0xf0f0f0f, v25
	v_lshrrev_b32_e32 v25, 4, v29
	v_and_b32_e32 v37, 0xf0f0f0f, v28
	v_and_b32_e32 v40, 0xf0f0f0f, v25
	v_add_u32_e32 v28, 0x2100, v16
	ds_read_b32 v25, v14
	ds_read2_b32 v[34:35], v28 offset1:1
	ds_read2_b32 v[48:49], v36 offset1:1
	v_and_b32_e32 v39, 0xf0f0f0f, v29
	v_dot4c_i32_i8_e32 v142, v23, v0
	v_dot4c_i32_i8_e32 v53, v19, v4
	s_waitcnt lgkmcnt(1)
	v_and_b32_e32 v28, 0xf0f0f0f, v34
	s_waitcnt lgkmcnt(0)
	v_lshrrev_b32_e32 v36, 4, v48
	v_and_b32_e32 v45, 0xf0f0f0f, v36
	v_lshrrev_b32_e32 v36, 4, v49
	v_and_b32_e32 v43, 0xf0f0f0f, v48
	v_and_b32_e32 v48, 0xf0f0f0f, v36
	ds_read_b32 v36, v15
	ds_read2_b32 v[50:51], v41 offset1:1
	v_lshrrev_b32_e32 v29, 4, v34
	v_and_b32_e32 v29, 0xf0f0f0f, v29
	v_dot4c_i32_i8_e32 v144, v28, v0
	v_dot4c_i32_i8_e32 v142, v24, v4
	s_waitcnt lgkmcnt(0)
	v_and_b32_e32 v41, 0xf0f0f0f, v50
	v_lshrrev_b32_e32 v42, 4, v50
	v_and_b32_e32 v42, 0xf0f0f0f, v42
	v_dot4c_i32_i8_e32 v146, v41, v0
	v_lshrrev_b32_e32 v0, 4, v51
	v_dot4c_i32_i8_e32 v144, v29, v4
	v_and_b32_e32 v34, 0xf0f0f0f, v35
	v_dot4c_i32_i8_e32 v146, v42, v4
	v_and_b32_e32 v44, 0xf0f0f0f, v51
	v_and_b32_e32 v46, 0xf0f0f0f, v0
	v_add_u32_e32 v0, 0x3188, v16
	v_dot4c_i32_i8_e32 v53, v21, v1
	v_dot4c_i32_i8_e32 v142, v26, v1
	;; [unrolled: 1-line block ×4, first 2 shown]
	ds_read2_b32 v[0:1], v0 offset1:1
	v_lshrrev_b32_e32 v35, 4, v35
	v_and_b32_e32 v35, 0xf0f0f0f, v35
	v_dot4c_i32_i8_e32 v53, v22, v5
	v_dot4c_i32_i8_e32 v142, v27, v5
	;; [unrolled: 1-line block ×3, first 2 shown]
	v_and_b32_e32 v47, 0xf0f0f0f, v49
	v_dot4c_i32_i8_e32 v146, v46, v5
	s_waitcnt lgkmcnt(0)
	v_and_b32_e32 v49, 0xf0f0f0f, v0
	v_lshrrev_b32_e32 v0, 4, v0
	v_dot4c_i32_i8_e32 v53, v30, v2
	v_dot4c_i32_i8_e32 v142, v37, v2
	;; [unrolled: 1-line block ×3, first 2 shown]
	v_and_b32_e32 v50, 0xf0f0f0f, v0
	v_dot4c_i32_i8_e32 v146, v49, v2
	v_dot4c_i32_i8_e32 v53, v31, v6
	;; [unrolled: 1-line block ×5, first 2 shown]
	v_and_b32_e32 v51, 0xf0f0f0f, v1
	v_lshrrev_b32_e32 v0, 4, v1
	v_dot4c_i32_i8_e32 v53, v32, v3
	v_dot4c_i32_i8_e32 v142, v39, v3
	;; [unrolled: 1-line block ×3, first 2 shown]
	v_and_b32_e32 v52, 0xf0f0f0f, v0
	v_dot4c_i32_i8_e32 v146, v51, v3
	v_dot4c_i32_i8_e32 v53, v33, v7
	;; [unrolled: 1-line block ×5, first 2 shown]
	ds_read_b128 v[0:3], v11 offset:1024
	ds_read_b128 v[4:7], v11 offset:1040
	v_mov_b32_e32 v140, 0
	v_pk_mul_f16 v138, v8, v17
	v_pk_mul_f16 v139, v17, v9
	s_waitcnt lgkmcnt(1)
	v_dot4c_i32_i8_e32 v140, v18, v0
	s_waitcnt lgkmcnt(0)
	v_dot4c_i32_i8_e32 v140, v19, v4
	v_dot4c_i32_i8_e32 v140, v21, v1
	;; [unrolled: 1-line block ×7, first 2 shown]
	v_cvt_f32_f16_e32 v55, v139
	v_cvt_f32_f16_e32 v54, v138
	v_cvt_f32_f16_sdwa v139, v139 dst_sel:DWORD dst_unused:UNUSED_PAD src0_sel:WORD_1
	v_cvt_f32_i32_e32 v141, v140
	v_cvt_f32_i32_e32 v140, v53
	v_mov_b32_e32 v53, 0
	v_dot4c_i32_i8_e32 v53, v23, v0
	v_dot4c_i32_i8_e32 v53, v24, v4
	v_dot4c_i32_i8_e32 v53, v26, v1
	v_dot4c_i32_i8_e32 v53, v27, v5
	v_cvt_f32_f16_sdwa v138, v138 dst_sel:DWORD dst_unused:UNUSED_PAD src0_sel:WORD_1
	v_dot4c_i32_i8_e32 v53, v37, v2
	v_dot4c_i32_i8_e32 v53, v38, v6
	;; [unrolled: 1-line block ×4, first 2 shown]
	v_pk_fma_f32 v[54:55], v[54:55], v[140:141], v[138:139]
	v_pk_mul_f16 v143, v8, v20
	v_pk_mul_f16 v138, v20, v9
	v_cvt_f32_i32_e32 v141, v53
	v_mov_b32_e32 v53, 0
	v_dot4c_i32_i8_e32 v53, v28, v0
	v_dot4c_i32_i8_e32 v53, v29, v4
	;; [unrolled: 1-line block ×4, first 2 shown]
	v_pk_add_f32 v[118:119], v[118:119], v[54:55]
	v_cvt_f32_f16_e32 v55, v138
	v_cvt_f32_f16_e32 v54, v143
	v_cvt_f32_f16_sdwa v139, v138 dst_sel:DWORD dst_unused:UNUSED_PAD src0_sel:WORD_1
	v_cvt_f32_f16_sdwa v138, v143 dst_sel:DWORD dst_unused:UNUSED_PAD src0_sel:WORD_1
	v_cvt_f32_i32_e32 v140, v142
	v_dot4c_i32_i8_e32 v53, v43, v2
	v_dot4c_i32_i8_e32 v53, v45, v6
	;; [unrolled: 1-line block ×4, first 2 shown]
	v_pk_fma_f32 v[54:55], v[54:55], v[140:141], v[138:139]
	v_pk_mul_f16 v145, v8, v25
	v_pk_mul_f16 v8, v8, v36
	v_cvt_f32_i32_e32 v141, v53
	v_mov_b32_e32 v53, 0
	v_dot4c_i32_i8_e32 v53, v41, v0
	v_dot4c_i32_i8_e32 v53, v42, v4
	;; [unrolled: 1-line block ×8, first 2 shown]
	v_pk_mul_f16 v2, v36, v9
	v_cvt_f32_f16_e32 v0, v8
	v_cvt_f32_f16_e32 v1, v2
	v_cvt_f32_f16_sdwa v3, v2 dst_sel:DWORD dst_unused:UNUSED_PAD src0_sel:WORD_1
	v_cvt_f32_f16_sdwa v2, v8 dst_sel:DWORD dst_unused:UNUSED_PAD src0_sel:WORD_1
	v_cvt_f32_i32_e32 v5, v53
	v_cvt_f32_i32_e32 v4, v146
	v_pk_mul_f16 v138, v25, v9
	v_cvt_f32_i32_e32 v140, v144
	v_mov_b32_e32 v53, 0
	v_pk_fma_f32 v[0:1], v[0:1], v[4:5], v[2:3]
	v_mov_b32_e32 v142, 0
	v_pk_add_f32 v[100:101], v[100:101], v[0:1]
	ds_read_b128 v[0:3], v11 offset:2048
	ds_read_b128 v[4:7], v11 offset:2064
	ds_read2_b32 v[8:9], v10 offset0:64 offset1:96
	v_mov_b32_e32 v144, 0
	v_mov_b32_e32 v146, 0
	s_waitcnt lgkmcnt(2)
	v_dot4c_i32_i8_e32 v53, v18, v0
	v_dot4c_i32_i8_e32 v142, v23, v0
	;; [unrolled: 1-line block ×4, first 2 shown]
	s_waitcnt lgkmcnt(1)
	v_dot4c_i32_i8_e32 v53, v19, v4
	v_dot4c_i32_i8_e32 v142, v24, v4
	;; [unrolled: 1-line block ×20, first 2 shown]
	v_pk_add_f32 v[114:115], v[114:115], v[54:55]
	v_cvt_f32_f16_e32 v55, v138
	v_cvt_f32_f16_e32 v54, v145
	v_cvt_f32_f16_sdwa v139, v138 dst_sel:DWORD dst_unused:UNUSED_PAD src0_sel:WORD_1
	v_cvt_f32_f16_sdwa v138, v145 dst_sel:DWORD dst_unused:UNUSED_PAD src0_sel:WORD_1
	v_dot4c_i32_i8_e32 v53, v32, v3
	v_dot4c_i32_i8_e32 v142, v39, v3
	;; [unrolled: 1-line block ×8, first 2 shown]
	ds_read_b128 v[0:3], v11 offset:3072
	ds_read_b128 v[4:7], v11 offset:3088
	v_pk_fma_f32 v[54:55], v[54:55], v[140:141], v[138:139]
	v_mov_b32_e32 v140, 0
	s_waitcnt lgkmcnt(2)
	v_pk_mul_f16 v138, v17, v8
	s_waitcnt lgkmcnt(1)
	v_dot4c_i32_i8_e32 v140, v18, v0
	s_waitcnt lgkmcnt(0)
	v_dot4c_i32_i8_e32 v140, v19, v4
	v_dot4c_i32_i8_e32 v140, v21, v1
	;; [unrolled: 1-line block ×7, first 2 shown]
	v_pk_mul_f16 v139, v17, v9
	v_pk_add_f32 v[110:111], v[110:111], v[54:55]
	v_cvt_f32_f16_e32 v55, v139
	v_cvt_f32_i32_e32 v141, v140
	v_cvt_f32_i32_e32 v140, v53
	v_mov_b32_e32 v53, 0
	v_dot4c_i32_i8_e32 v53, v23, v0
	v_dot4c_i32_i8_e32 v53, v24, v4
	;; [unrolled: 1-line block ×4, first 2 shown]
	v_cvt_f32_f16_e32 v54, v138
	v_cvt_f32_f16_sdwa v139, v139 dst_sel:DWORD dst_unused:UNUSED_PAD src0_sel:WORD_1
	v_cvt_f32_f16_sdwa v138, v138 dst_sel:DWORD dst_unused:UNUSED_PAD src0_sel:WORD_1
	v_dot4c_i32_i8_e32 v53, v37, v2
	v_dot4c_i32_i8_e32 v53, v38, v6
	v_dot4c_i32_i8_e32 v53, v39, v3
	v_dot4c_i32_i8_e32 v53, v40, v7
	v_pk_fma_f32 v[54:55], v[140:141], v[54:55], v[138:139]
	v_pk_mul_f16 v143, v20, v8
	v_pk_mul_f16 v138, v20, v9
	v_cvt_f32_i32_e32 v141, v53
	v_mov_b32_e32 v53, 0
	v_dot4c_i32_i8_e32 v53, v28, v0
	v_dot4c_i32_i8_e32 v53, v29, v4
	;; [unrolled: 1-line block ×4, first 2 shown]
	v_pk_add_f32 v[78:79], v[78:79], v[54:55]
	v_cvt_f32_f16_e32 v55, v138
	v_cvt_f32_f16_e32 v54, v143
	v_cvt_f32_f16_sdwa v139, v138 dst_sel:DWORD dst_unused:UNUSED_PAD src0_sel:WORD_1
	v_cvt_f32_f16_sdwa v138, v143 dst_sel:DWORD dst_unused:UNUSED_PAD src0_sel:WORD_1
	v_cvt_f32_i32_e32 v140, v142
	v_dot4c_i32_i8_e32 v53, v43, v2
	v_dot4c_i32_i8_e32 v53, v45, v6
	;; [unrolled: 1-line block ×4, first 2 shown]
	v_pk_fma_f32 v[54:55], v[140:141], v[54:55], v[138:139]
	v_pk_mul_f16 v145, v25, v8
	v_pk_mul_f16 v8, v36, v8
	v_cvt_f32_i32_e32 v141, v53
	v_mov_b32_e32 v53, 0
	v_dot4c_i32_i8_e32 v53, v41, v0
	v_dot4c_i32_i8_e32 v53, v42, v4
	;; [unrolled: 1-line block ×8, first 2 shown]
	v_pk_mul_f16 v2, v36, v9
	v_cvt_f32_f16_e32 v0, v8
	v_cvt_f32_f16_e32 v1, v2
	v_cvt_f32_f16_sdwa v3, v2 dst_sel:DWORD dst_unused:UNUSED_PAD src0_sel:WORD_1
	v_cvt_f32_f16_sdwa v2, v8 dst_sel:DWORD dst_unused:UNUSED_PAD src0_sel:WORD_1
	v_cvt_f32_i32_e32 v5, v53
	v_cvt_f32_i32_e32 v4, v146
	v_pk_mul_f16 v138, v25, v9
	v_cvt_f32_i32_e32 v140, v144
	v_mov_b32_e32 v53, 0
	v_pk_fma_f32 v[0:1], v[4:5], v[0:1], v[2:3]
	v_mov_b32_e32 v142, 0
	v_pk_add_f32 v[72:73], v[72:73], v[0:1]
	ds_read_b128 v[0:3], v11 offset:4096
	ds_read_b128 v[4:7], v11 offset:4112
	ds_read2_b32 v[8:9], v10 offset0:128 offset1:160
	v_mov_b32_e32 v144, 0
	v_mov_b32_e32 v146, 0
	s_waitcnt lgkmcnt(2)
	v_dot4c_i32_i8_e32 v53, v18, v0
	v_dot4c_i32_i8_e32 v142, v23, v0
	;; [unrolled: 1-line block ×4, first 2 shown]
	s_waitcnt lgkmcnt(1)
	v_dot4c_i32_i8_e32 v53, v19, v4
	v_dot4c_i32_i8_e32 v142, v24, v4
	v_dot4c_i32_i8_e32 v144, v29, v4
	v_dot4c_i32_i8_e32 v146, v42, v4
	v_dot4c_i32_i8_e32 v53, v21, v1
	v_dot4c_i32_i8_e32 v142, v26, v1
	v_dot4c_i32_i8_e32 v144, v34, v1
	v_dot4c_i32_i8_e32 v146, v44, v1
	v_dot4c_i32_i8_e32 v53, v22, v5
	v_dot4c_i32_i8_e32 v142, v27, v5
	v_dot4c_i32_i8_e32 v144, v35, v5
	v_dot4c_i32_i8_e32 v146, v46, v5
	v_dot4c_i32_i8_e32 v53, v30, v2
	v_dot4c_i32_i8_e32 v142, v37, v2
	v_dot4c_i32_i8_e32 v144, v43, v2
	v_dot4c_i32_i8_e32 v146, v49, v2
	v_dot4c_i32_i8_e32 v53, v31, v6
	v_dot4c_i32_i8_e32 v142, v38, v6
	v_dot4c_i32_i8_e32 v144, v45, v6
	v_dot4c_i32_i8_e32 v146, v50, v6
	v_pk_add_f32 v[76:77], v[76:77], v[54:55]
	v_cvt_f32_f16_e32 v55, v138
	v_cvt_f32_f16_e32 v54, v145
	v_cvt_f32_f16_sdwa v139, v138 dst_sel:DWORD dst_unused:UNUSED_PAD src0_sel:WORD_1
	v_cvt_f32_f16_sdwa v138, v145 dst_sel:DWORD dst_unused:UNUSED_PAD src0_sel:WORD_1
	v_dot4c_i32_i8_e32 v53, v32, v3
	v_dot4c_i32_i8_e32 v142, v39, v3
	;; [unrolled: 1-line block ×8, first 2 shown]
	ds_read_b128 v[0:3], v11 offset:5120
	ds_read_b128 v[4:7], v11 offset:5136
	v_pk_fma_f32 v[54:55], v[140:141], v[54:55], v[138:139]
	v_mov_b32_e32 v140, 0
	s_waitcnt lgkmcnt(2)
	v_pk_mul_f16 v138, v17, v8
	s_waitcnt lgkmcnt(1)
	v_dot4c_i32_i8_e32 v140, v18, v0
	s_waitcnt lgkmcnt(0)
	v_dot4c_i32_i8_e32 v140, v19, v4
	v_dot4c_i32_i8_e32 v140, v21, v1
	;; [unrolled: 1-line block ×7, first 2 shown]
	v_pk_mul_f16 v139, v17, v9
	v_pk_add_f32 v[74:75], v[74:75], v[54:55]
	v_cvt_f32_f16_e32 v55, v139
	v_cvt_f32_i32_e32 v141, v140
	v_cvt_f32_i32_e32 v140, v53
	v_mov_b32_e32 v53, 0
	v_dot4c_i32_i8_e32 v53, v23, v0
	v_dot4c_i32_i8_e32 v53, v24, v4
	;; [unrolled: 1-line block ×4, first 2 shown]
	v_cvt_f32_f16_e32 v54, v138
	v_cvt_f32_f16_sdwa v139, v139 dst_sel:DWORD dst_unused:UNUSED_PAD src0_sel:WORD_1
	v_cvt_f32_f16_sdwa v138, v138 dst_sel:DWORD dst_unused:UNUSED_PAD src0_sel:WORD_1
	v_dot4c_i32_i8_e32 v53, v37, v2
	v_dot4c_i32_i8_e32 v53, v38, v6
	;; [unrolled: 1-line block ×4, first 2 shown]
	v_pk_fma_f32 v[54:55], v[140:141], v[54:55], v[138:139]
	v_pk_mul_f16 v143, v20, v8
	v_pk_mul_f16 v138, v20, v9
	v_cvt_f32_i32_e32 v141, v53
	v_mov_b32_e32 v53, 0
	v_dot4c_i32_i8_e32 v53, v28, v0
	v_dot4c_i32_i8_e32 v53, v29, v4
	;; [unrolled: 1-line block ×4, first 2 shown]
	v_pk_add_f32 v[70:71], v[70:71], v[54:55]
	v_cvt_f32_f16_e32 v55, v138
	v_cvt_f32_f16_e32 v54, v143
	v_cvt_f32_f16_sdwa v139, v138 dst_sel:DWORD dst_unused:UNUSED_PAD src0_sel:WORD_1
	v_cvt_f32_f16_sdwa v138, v143 dst_sel:DWORD dst_unused:UNUSED_PAD src0_sel:WORD_1
	v_cvt_f32_i32_e32 v140, v142
	v_dot4c_i32_i8_e32 v53, v43, v2
	v_dot4c_i32_i8_e32 v53, v45, v6
	;; [unrolled: 1-line block ×4, first 2 shown]
	v_pk_fma_f32 v[54:55], v[140:141], v[54:55], v[138:139]
	v_pk_mul_f16 v145, v25, v8
	v_pk_mul_f16 v8, v36, v8
	v_cvt_f32_i32_e32 v141, v53
	v_mov_b32_e32 v53, 0
	v_dot4c_i32_i8_e32 v53, v41, v0
	v_dot4c_i32_i8_e32 v53, v42, v4
	;; [unrolled: 1-line block ×8, first 2 shown]
	v_pk_mul_f16 v2, v36, v9
	v_cvt_f32_f16_e32 v0, v8
	v_cvt_f32_f16_e32 v1, v2
	v_cvt_f32_f16_sdwa v3, v2 dst_sel:DWORD dst_unused:UNUSED_PAD src0_sel:WORD_1
	v_cvt_f32_f16_sdwa v2, v8 dst_sel:DWORD dst_unused:UNUSED_PAD src0_sel:WORD_1
	v_cvt_f32_i32_e32 v5, v53
	v_cvt_f32_i32_e32 v4, v146
	v_pk_mul_f16 v138, v25, v9
	v_pk_add_f32 v[68:69], v[68:69], v[54:55]
	v_cvt_f32_f16_e32 v55, v138
	v_cvt_f32_f16_e32 v54, v145
	v_cvt_f32_f16_sdwa v139, v138 dst_sel:DWORD dst_unused:UNUSED_PAD src0_sel:WORD_1
	v_cvt_f32_f16_sdwa v138, v145 dst_sel:DWORD dst_unused:UNUSED_PAD src0_sel:WORD_1
	v_cvt_f32_i32_e32 v140, v144
	v_pk_fma_f32 v[0:1], v[4:5], v[0:1], v[2:3]
	v_mov_b32_e32 v53, 0
	v_pk_add_f32 v[64:65], v[64:65], v[0:1]
	ds_read_b128 v[0:3], v11 offset:6144
	ds_read_b128 v[4:7], v11 offset:6160
	ds_read2_b32 v[8:9], v10 offset0:192 offset1:224
	v_pk_fma_f32 v[54:55], v[140:141], v[54:55], v[138:139]
	v_mov_b32_e32 v139, 0
	v_pk_add_f32 v[66:67], v[66:67], v[54:55]
	v_mov_b32_e32 v55, 0
	v_mov_b32_e32 v141, 0
	s_waitcnt lgkmcnt(2)
	v_dot4c_i32_i8_e32 v53, v18, v0
	v_dot4c_i32_i8_e32 v55, v23, v0
	;; [unrolled: 1-line block ×4, first 2 shown]
	s_waitcnt lgkmcnt(1)
	v_dot4c_i32_i8_e32 v53, v19, v4
	v_dot4c_i32_i8_e32 v55, v24, v4
	;; [unrolled: 1-line block ×28, first 2 shown]
	ds_read_b128 v[0:3], v11 offset:7168
	ds_read_b128 v[4:7], v11 offset:7184
	v_mov_b32_e32 v142, 0
	s_waitcnt lgkmcnt(2)
	v_pk_mul_f16 v54, v17, v8
	v_pk_mul_f16 v17, v17, v9
	s_waitcnt lgkmcnt(1)
	v_dot4c_i32_i8_e32 v142, v18, v0
	s_waitcnt lgkmcnt(0)
	v_dot4c_i32_i8_e32 v142, v19, v4
	v_dot4c_i32_i8_e32 v142, v21, v1
	;; [unrolled: 1-line block ×5, first 2 shown]
	v_cvt_f32_f16_e32 v19, v17
	v_cvt_f32_f16_sdwa v31, v17 dst_sel:DWORD dst_unused:UNUSED_PAD src0_sel:WORD_1
	v_mov_b32_e32 v17, 0
	v_dot4c_i32_i8_e32 v17, v23, v0
	v_dot4c_i32_i8_e32 v17, v24, v4
	;; [unrolled: 1-line block ×10, first 2 shown]
	v_cvt_f32_f16_e32 v18, v54
	v_cvt_f32_f16_sdwa v30, v54 dst_sel:DWORD dst_unused:UNUSED_PAD src0_sel:WORD_1
	v_cvt_f32_i32_e32 v33, v142
	v_cvt_f32_i32_e32 v32, v53
	;; [unrolled: 1-line block ×3, first 2 shown]
	v_mov_b32_e32 v17, 0
	v_dot4c_i32_i8_e32 v17, v28, v0
	v_dot4c_i32_i8_e32 v17, v29, v4
	;; [unrolled: 1-line block ×3, first 2 shown]
	v_pk_mul_f16 v138, v20, v8
	v_pk_fma_f32 v[18:19], v[32:33], v[18:19], v[30:31]
	v_pk_mul_f16 v20, v20, v9
	v_dot4c_i32_i8_e32 v17, v35, v5
	v_pk_add_f32 v[62:63], v[62:63], v[18:19]
	v_cvt_f32_f16_e32 v19, v20
	v_cvt_f32_f16_e32 v18, v138
	v_cvt_f32_f16_sdwa v21, v20 dst_sel:DWORD dst_unused:UNUSED_PAD src0_sel:WORD_1
	v_cvt_f32_f16_sdwa v20, v138 dst_sel:DWORD dst_unused:UNUSED_PAD src0_sel:WORD_1
	v_cvt_f32_i32_e32 v22, v55
	v_dot4c_i32_i8_e32 v17, v43, v2
	v_dot4c_i32_i8_e32 v17, v45, v6
	;; [unrolled: 1-line block ×4, first 2 shown]
	v_pk_fma_f32 v[18:19], v[22:23], v[18:19], v[20:21]
	v_pk_mul_f16 v140, v25, v8
	v_pk_mul_f16 v8, v36, v8
	v_cvt_f32_i32_e32 v23, v17
	v_mov_b32_e32 v17, 0
	v_dot4c_i32_i8_e32 v17, v41, v0
	v_dot4c_i32_i8_e32 v17, v42, v4
	;; [unrolled: 1-line block ×7, first 2 shown]
	v_pk_mul_f16 v20, v25, v9
	v_dot4c_i32_i8_e32 v17, v52, v7
	v_pk_mul_f16 v2, v36, v9
	v_pk_add_f32 v[60:61], v[60:61], v[18:19]
	v_cvt_f32_f16_e32 v19, v20
	v_cvt_f32_f16_e32 v18, v140
	v_cvt_f32_f16_sdwa v21, v20 dst_sel:DWORD dst_unused:UNUSED_PAD src0_sel:WORD_1
	v_cvt_f32_f16_sdwa v20, v140 dst_sel:DWORD dst_unused:UNUSED_PAD src0_sel:WORD_1
	v_cvt_f32_i32_e32 v22, v139
	v_cvt_f32_f16_e32 v1, v2
	v_cvt_f32_f16_e32 v0, v8
	v_cvt_f32_f16_sdwa v3, v2 dst_sel:DWORD dst_unused:UNUSED_PAD src0_sel:WORD_1
	v_cvt_f32_f16_sdwa v2, v8 dst_sel:DWORD dst_unused:UNUSED_PAD src0_sel:WORD_1
	v_cvt_f32_i32_e32 v5, v17
	v_cvt_f32_i32_e32 v4, v141
	v_pk_fma_f32 v[18:19], v[22:23], v[18:19], v[20:21]
	s_add_i32 s0, s0, 4
	v_pk_add_f32 v[58:59], v[58:59], v[18:19]
	v_pk_fma_f32 v[0:1], v[4:5], v[0:1], v[2:3]
	v_add_u32_e32 v16, 16, v16
	v_pk_add_f32 v[56:57], v[56:57], v[0:1]
	v_add_u32_e32 v15, 4, v15
	v_add_u32_e32 v14, 4, v14
	;; [unrolled: 1-line block ×6, first 2 shown]
	s_cmp_lt_u32 s0, 28
	s_cbranch_scc1 .LBB119_12
; %bb.13:                               ;   in Loop: Header=BB119_7 Depth=1
	s_barrier
	s_branch .LBB119_6
.LBB119_14:
	v_mov_b32_e32 v1, v85
	v_cmp_gt_u32_e32 vcc, s8, v87
	s_and_saveexec_b64 s[0:1], vcc
	s_cbranch_execz .LBB119_3
.LBB119_15:
	v_add_u32_e32 v0, s4, v81
	v_mul_lo_u32 v5, v87, s10
	v_cmp_gt_u32_e32 vcc, s10, v0
	s_and_saveexec_b64 s[0:1], vcc
	s_cbranch_execz .LBB119_17
; %bb.16:
	v_add_u32_e32 v2, v0, v5
	v_mov_b32_e32 v3, 0
	s_waitcnt lgkmcnt(0)
	v_lshl_add_u64 v[2:3], v[2:3], 2, s[12:13]
	global_store_dword v[2:3], v118, off
.LBB119_17:
	s_or_b64 exec, exec, s[0:1]
	v_add_u32_e32 v2, 32, v0
	v_cmp_gt_u32_e64 s[0:1], s10, v2
	s_and_saveexec_b64 s[2:3], s[0:1]
	s_cbranch_execz .LBB119_19
; %bb.18:
	v_add_u32_e32 v6, v2, v5
	v_mov_b32_e32 v7, 0
	s_waitcnt lgkmcnt(0)
	v_lshl_add_u64 v[6:7], v[6:7], 2, s[12:13]
	global_store_dword v[6:7], v114, off
.LBB119_19:
	s_or_b64 exec, exec, s[2:3]
	v_add_u32_e32 v3, 64, v0
	v_cmp_gt_u32_e64 s[2:3], s10, v3
	s_and_saveexec_b64 s[4:5], s[2:3]
	;; [unrolled: 12-line block ×3, first 2 shown]
	s_cbranch_execz .LBB119_23
; %bb.22:
	v_add_u32_e32 v6, v4, v5
	v_mov_b32_e32 v7, 0
	s_waitcnt lgkmcnt(0)
	v_lshl_add_u64 v[6:7], v[6:7], 2, s[12:13]
	global_store_dword v[6:7], v100, off
.LBB119_23:
	s_or_b64 exec, exec, s[6:7]
	v_add3_u32 v5, v1, s11, 8
	v_cmp_gt_u32_e64 s[6:7], s8, v5
	s_and_b64 exec, exec, s[6:7]
	s_cbranch_execz .LBB119_3
; %bb.24:
	v_mul_lo_u32 v5, v5, s10
	s_and_saveexec_b64 s[6:7], vcc
	s_cbranch_execnz .LBB119_64
; %bb.25:
	s_or_b64 exec, exec, s[6:7]
	s_and_saveexec_b64 s[6:7], s[0:1]
	s_cbranch_execnz .LBB119_65
.LBB119_26:
	s_or_b64 exec, exec, s[6:7]
	s_and_saveexec_b64 s[6:7], s[2:3]
	s_cbranch_execnz .LBB119_66
.LBB119_27:
	s_or_b64 exec, exec, s[6:7]
	s_and_saveexec_b64 s[6:7], s[4:5]
	s_cbranch_execz .LBB119_29
.LBB119_28:
	v_add_u32_e32 v6, v5, v4
	v_mov_b32_e32 v7, 0
	s_waitcnt lgkmcnt(0)
	v_lshl_add_u64 v[6:7], v[6:7], 2, s[12:13]
	global_store_dword v[6:7], v101, off
.LBB119_29:
	s_or_b64 exec, exec, s[6:7]
	v_add3_u32 v5, v1, s11, 16
	v_cmp_gt_u32_e64 s[6:7], s8, v5
	s_and_b64 exec, exec, s[6:7]
	s_cbranch_execz .LBB119_3
; %bb.30:
	v_mul_lo_u32 v5, v5, s10
	s_and_saveexec_b64 s[6:7], vcc
	s_cbranch_execnz .LBB119_67
; %bb.31:
	s_or_b64 exec, exec, s[6:7]
	s_and_saveexec_b64 s[6:7], s[0:1]
	s_cbranch_execnz .LBB119_68
.LBB119_32:
	s_or_b64 exec, exec, s[6:7]
	s_and_saveexec_b64 s[6:7], s[2:3]
	s_cbranch_execnz .LBB119_69
.LBB119_33:
	s_or_b64 exec, exec, s[6:7]
	s_and_saveexec_b64 s[6:7], s[4:5]
	s_cbranch_execz .LBB119_35
.LBB119_34:
	v_add_u32_e32 v6, v5, v4
	v_mov_b32_e32 v7, 0
	s_waitcnt lgkmcnt(0)
	v_lshl_add_u64 v[6:7], v[6:7], 2, s[12:13]
	global_store_dword v[6:7], v72, off
.LBB119_35:
	s_or_b64 exec, exec, s[6:7]
	v_add3_u32 v5, v1, s11, 24
	v_cmp_gt_u32_e64 s[6:7], s8, v5
	s_and_b64 exec, exec, s[6:7]
	s_cbranch_execz .LBB119_3
; %bb.36:
	v_mul_lo_u32 v5, v5, s10
	s_and_saveexec_b64 s[6:7], vcc
	s_cbranch_execnz .LBB119_70
; %bb.37:
	s_or_b64 exec, exec, s[6:7]
	s_and_saveexec_b64 s[6:7], s[0:1]
	s_cbranch_execnz .LBB119_71
.LBB119_38:
	s_or_b64 exec, exec, s[6:7]
	s_and_saveexec_b64 s[6:7], s[2:3]
	s_cbranch_execnz .LBB119_72
.LBB119_39:
	s_or_b64 exec, exec, s[6:7]
	s_and_saveexec_b64 s[6:7], s[4:5]
	s_cbranch_execz .LBB119_41
.LBB119_40:
	v_add_u32_e32 v6, v5, v4
	v_mov_b32_e32 v7, 0
	s_waitcnt lgkmcnt(0)
	v_lshl_add_u64 v[6:7], v[6:7], 2, s[12:13]
	global_store_dword v[6:7], v73, off
.LBB119_41:
	s_or_b64 exec, exec, s[6:7]
	v_add3_u32 v5, v1, s11, 32
	v_cmp_gt_u32_e64 s[6:7], s8, v5
	s_and_b64 exec, exec, s[6:7]
	s_cbranch_execz .LBB119_3
; %bb.42:
	v_mul_lo_u32 v5, v5, s10
	s_and_saveexec_b64 s[6:7], vcc
	s_cbranch_execnz .LBB119_73
; %bb.43:
	s_or_b64 exec, exec, s[6:7]
	s_and_saveexec_b64 s[6:7], s[0:1]
	s_cbranch_execnz .LBB119_74
.LBB119_44:
	s_or_b64 exec, exec, s[6:7]
	s_and_saveexec_b64 s[6:7], s[2:3]
	s_cbranch_execnz .LBB119_75
.LBB119_45:
	s_or_b64 exec, exec, s[6:7]
	s_and_saveexec_b64 s[6:7], s[4:5]
	s_cbranch_execz .LBB119_47
.LBB119_46:
	v_add_u32_e32 v6, v5, v4
	v_mov_b32_e32 v7, 0
	s_waitcnt lgkmcnt(0)
	v_lshl_add_u64 v[6:7], v[6:7], 2, s[12:13]
	global_store_dword v[6:7], v64, off
.LBB119_47:
	s_or_b64 exec, exec, s[6:7]
	v_add3_u32 v5, v1, s11, 40
	v_cmp_gt_u32_e64 s[6:7], s8, v5
	s_and_b64 exec, exec, s[6:7]
	s_cbranch_execz .LBB119_3
; %bb.48:
	v_mul_lo_u32 v5, v5, s10
	s_and_saveexec_b64 s[6:7], vcc
	s_cbranch_execnz .LBB119_76
; %bb.49:
	s_or_b64 exec, exec, s[6:7]
	s_and_saveexec_b64 s[6:7], s[0:1]
	s_cbranch_execnz .LBB119_77
.LBB119_50:
	s_or_b64 exec, exec, s[6:7]
	s_and_saveexec_b64 s[6:7], s[2:3]
	s_cbranch_execnz .LBB119_78
.LBB119_51:
	s_or_b64 exec, exec, s[6:7]
	s_and_saveexec_b64 s[6:7], s[4:5]
	s_cbranch_execz .LBB119_53
.LBB119_52:
	v_add_u32_e32 v6, v5, v4
	v_mov_b32_e32 v7, 0
	s_waitcnt lgkmcnt(0)
	v_lshl_add_u64 v[6:7], v[6:7], 2, s[12:13]
	global_store_dword v[6:7], v65, off
.LBB119_53:
	s_or_b64 exec, exec, s[6:7]
	v_add3_u32 v5, v1, s11, 48
	v_cmp_gt_u32_e64 s[6:7], s8, v5
	s_and_b64 exec, exec, s[6:7]
	s_cbranch_execz .LBB119_3
; %bb.54:
	v_mul_lo_u32 v5, v5, s10
	s_and_saveexec_b64 s[6:7], vcc
	s_cbranch_execnz .LBB119_79
; %bb.55:
	s_or_b64 exec, exec, s[6:7]
	s_and_saveexec_b64 s[6:7], s[0:1]
	s_cbranch_execnz .LBB119_80
.LBB119_56:
	s_or_b64 exec, exec, s[6:7]
	s_and_saveexec_b64 s[6:7], s[2:3]
	s_cbranch_execnz .LBB119_81
.LBB119_57:
	s_or_b64 exec, exec, s[6:7]
	s_and_saveexec_b64 s[6:7], s[4:5]
	s_cbranch_execz .LBB119_59
.LBB119_58:
	v_add_u32_e32 v6, v5, v4
	v_mov_b32_e32 v7, 0
	s_waitcnt lgkmcnt(0)
	v_lshl_add_u64 v[6:7], v[6:7], 2, s[12:13]
	global_store_dword v[6:7], v56, off
.LBB119_59:
	s_or_b64 exec, exec, s[6:7]
	v_add3_u32 v1, v1, s11, 56
	v_cmp_gt_u32_e64 s[6:7], s8, v1
	s_and_b64 exec, exec, s[6:7]
	s_cbranch_execz .LBB119_3
; %bb.60:
	v_mul_lo_u32 v1, v1, s10
	s_and_saveexec_b64 s[6:7], vcc
	s_cbranch_execnz .LBB119_82
; %bb.61:
	s_or_b64 exec, exec, s[6:7]
	s_and_saveexec_b64 s[6:7], s[0:1]
	s_cbranch_execnz .LBB119_83
.LBB119_62:
	s_or_b64 exec, exec, s[6:7]
	s_and_saveexec_b64 s[0:1], s[2:3]
	s_cbranch_execnz .LBB119_84
.LBB119_63:
	s_or_b64 exec, exec, s[0:1]
	s_and_b64 exec, exec, s[4:5]
	s_cbranch_execz .LBB119_3
	s_branch .LBB119_85
.LBB119_64:
	v_add_u32_e32 v6, v5, v0
	v_mov_b32_e32 v7, 0
	s_waitcnt lgkmcnt(0)
	v_lshl_add_u64 v[6:7], v[6:7], 2, s[12:13]
	global_store_dword v[6:7], v119, off
	s_or_b64 exec, exec, s[6:7]
	s_and_saveexec_b64 s[6:7], s[0:1]
	s_cbranch_execz .LBB119_26
.LBB119_65:
	v_add_u32_e32 v6, v5, v2
	v_mov_b32_e32 v7, 0
	s_waitcnt lgkmcnt(0)
	v_lshl_add_u64 v[6:7], v[6:7], 2, s[12:13]
	global_store_dword v[6:7], v115, off
	s_or_b64 exec, exec, s[6:7]
	s_and_saveexec_b64 s[6:7], s[2:3]
	s_cbranch_execz .LBB119_27
.LBB119_66:
	v_add_u32_e32 v6, v5, v3
	v_mov_b32_e32 v7, 0
	s_waitcnt lgkmcnt(0)
	v_lshl_add_u64 v[6:7], v[6:7], 2, s[12:13]
	global_store_dword v[6:7], v111, off
	s_or_b64 exec, exec, s[6:7]
	s_and_saveexec_b64 s[6:7], s[4:5]
	s_cbranch_execnz .LBB119_28
	s_branch .LBB119_29
.LBB119_67:
	v_add_u32_e32 v6, v5, v0
	v_mov_b32_e32 v7, 0
	s_waitcnt lgkmcnt(0)
	v_lshl_add_u64 v[6:7], v[6:7], 2, s[12:13]
	global_store_dword v[6:7], v78, off
	s_or_b64 exec, exec, s[6:7]
	s_and_saveexec_b64 s[6:7], s[0:1]
	s_cbranch_execz .LBB119_32
.LBB119_68:
	v_add_u32_e32 v6, v5, v2
	v_mov_b32_e32 v7, 0
	s_waitcnt lgkmcnt(0)
	v_lshl_add_u64 v[6:7], v[6:7], 2, s[12:13]
	global_store_dword v[6:7], v76, off
	s_or_b64 exec, exec, s[6:7]
	s_and_saveexec_b64 s[6:7], s[2:3]
	s_cbranch_execz .LBB119_33
.LBB119_69:
	v_add_u32_e32 v6, v5, v3
	v_mov_b32_e32 v7, 0
	s_waitcnt lgkmcnt(0)
	v_lshl_add_u64 v[6:7], v[6:7], 2, s[12:13]
	global_store_dword v[6:7], v74, off
	s_or_b64 exec, exec, s[6:7]
	s_and_saveexec_b64 s[6:7], s[4:5]
	s_cbranch_execnz .LBB119_34
	s_branch .LBB119_35
.LBB119_70:
	v_add_u32_e32 v6, v5, v0
	v_mov_b32_e32 v7, 0
	s_waitcnt lgkmcnt(0)
	v_lshl_add_u64 v[6:7], v[6:7], 2, s[12:13]
	global_store_dword v[6:7], v79, off
	s_or_b64 exec, exec, s[6:7]
	s_and_saveexec_b64 s[6:7], s[0:1]
	s_cbranch_execz .LBB119_38
.LBB119_71:
	v_add_u32_e32 v6, v5, v2
	v_mov_b32_e32 v7, 0
	s_waitcnt lgkmcnt(0)
	v_lshl_add_u64 v[6:7], v[6:7], 2, s[12:13]
	global_store_dword v[6:7], v77, off
	s_or_b64 exec, exec, s[6:7]
	s_and_saveexec_b64 s[6:7], s[2:3]
	s_cbranch_execz .LBB119_39
.LBB119_72:
	v_add_u32_e32 v6, v5, v3
	v_mov_b32_e32 v7, 0
	s_waitcnt lgkmcnt(0)
	v_lshl_add_u64 v[6:7], v[6:7], 2, s[12:13]
	global_store_dword v[6:7], v75, off
	s_or_b64 exec, exec, s[6:7]
	s_and_saveexec_b64 s[6:7], s[4:5]
	s_cbranch_execnz .LBB119_40
	s_branch .LBB119_41
.LBB119_73:
	v_add_u32_e32 v6, v5, v0
	v_mov_b32_e32 v7, 0
	s_waitcnt lgkmcnt(0)
	v_lshl_add_u64 v[6:7], v[6:7], 2, s[12:13]
	global_store_dword v[6:7], v70, off
	s_or_b64 exec, exec, s[6:7]
	s_and_saveexec_b64 s[6:7], s[0:1]
	s_cbranch_execz .LBB119_44
.LBB119_74:
	v_add_u32_e32 v6, v5, v2
	v_mov_b32_e32 v7, 0
	s_waitcnt lgkmcnt(0)
	v_lshl_add_u64 v[6:7], v[6:7], 2, s[12:13]
	global_store_dword v[6:7], v68, off
	s_or_b64 exec, exec, s[6:7]
	s_and_saveexec_b64 s[6:7], s[2:3]
	s_cbranch_execz .LBB119_45
.LBB119_75:
	v_add_u32_e32 v6, v5, v3
	v_mov_b32_e32 v7, 0
	s_waitcnt lgkmcnt(0)
	v_lshl_add_u64 v[6:7], v[6:7], 2, s[12:13]
	global_store_dword v[6:7], v66, off
	s_or_b64 exec, exec, s[6:7]
	s_and_saveexec_b64 s[6:7], s[4:5]
	s_cbranch_execnz .LBB119_46
	s_branch .LBB119_47
.LBB119_76:
	v_add_u32_e32 v6, v5, v0
	v_mov_b32_e32 v7, 0
	s_waitcnt lgkmcnt(0)
	v_lshl_add_u64 v[6:7], v[6:7], 2, s[12:13]
	global_store_dword v[6:7], v71, off
	s_or_b64 exec, exec, s[6:7]
	s_and_saveexec_b64 s[6:7], s[0:1]
	s_cbranch_execz .LBB119_50
.LBB119_77:
	v_add_u32_e32 v6, v5, v2
	v_mov_b32_e32 v7, 0
	s_waitcnt lgkmcnt(0)
	v_lshl_add_u64 v[6:7], v[6:7], 2, s[12:13]
	global_store_dword v[6:7], v69, off
	s_or_b64 exec, exec, s[6:7]
	s_and_saveexec_b64 s[6:7], s[2:3]
	s_cbranch_execz .LBB119_51
.LBB119_78:
	v_add_u32_e32 v6, v5, v3
	v_mov_b32_e32 v7, 0
	s_waitcnt lgkmcnt(0)
	v_lshl_add_u64 v[6:7], v[6:7], 2, s[12:13]
	global_store_dword v[6:7], v67, off
	s_or_b64 exec, exec, s[6:7]
	s_and_saveexec_b64 s[6:7], s[4:5]
	s_cbranch_execnz .LBB119_52
	s_branch .LBB119_53
.LBB119_79:
	v_add_u32_e32 v6, v5, v0
	v_mov_b32_e32 v7, 0
	s_waitcnt lgkmcnt(0)
	v_lshl_add_u64 v[6:7], v[6:7], 2, s[12:13]
	global_store_dword v[6:7], v62, off
	s_or_b64 exec, exec, s[6:7]
	s_and_saveexec_b64 s[6:7], s[0:1]
	s_cbranch_execz .LBB119_56
.LBB119_80:
	v_add_u32_e32 v6, v5, v2
	v_mov_b32_e32 v7, 0
	s_waitcnt lgkmcnt(0)
	v_lshl_add_u64 v[6:7], v[6:7], 2, s[12:13]
	global_store_dword v[6:7], v60, off
	s_or_b64 exec, exec, s[6:7]
	s_and_saveexec_b64 s[6:7], s[2:3]
	s_cbranch_execz .LBB119_57
.LBB119_81:
	v_add_u32_e32 v6, v5, v3
	v_mov_b32_e32 v7, 0
	s_waitcnt lgkmcnt(0)
	v_lshl_add_u64 v[6:7], v[6:7], 2, s[12:13]
	global_store_dword v[6:7], v58, off
	s_or_b64 exec, exec, s[6:7]
	s_and_saveexec_b64 s[6:7], s[4:5]
	s_cbranch_execnz .LBB119_58
	s_branch .LBB119_59
.LBB119_82:
	v_add_u32_e32 v6, v1, v0
	v_mov_b32_e32 v7, 0
	s_waitcnt lgkmcnt(0)
	v_lshl_add_u64 v[6:7], v[6:7], 2, s[12:13]
	global_store_dword v[6:7], v63, off
	s_or_b64 exec, exec, s[6:7]
	s_and_saveexec_b64 s[6:7], s[0:1]
	s_cbranch_execz .LBB119_62
.LBB119_83:
	v_add_u32_e32 v6, v1, v2
	v_mov_b32_e32 v7, 0
	s_waitcnt lgkmcnt(0)
	v_lshl_add_u64 v[6:7], v[6:7], 2, s[12:13]
	global_store_dword v[6:7], v61, off
	s_or_b64 exec, exec, s[6:7]
	s_and_saveexec_b64 s[0:1], s[2:3]
	s_cbranch_execz .LBB119_63
.LBB119_84:
	v_add_u32_e32 v2, v1, v3
	v_mov_b32_e32 v3, 0
	s_waitcnt lgkmcnt(0)
	v_lshl_add_u64 v[2:3], v[2:3], 2, s[12:13]
	global_store_dword v[2:3], v59, off
	s_or_b64 exec, exec, s[0:1]
	s_and_b64 exec, exec, s[4:5]
	s_cbranch_execz .LBB119_3
.LBB119_85:
	v_add_u32_e32 v0, v1, v4
	v_mov_b32_e32 v1, 0
	s_waitcnt lgkmcnt(0)
	v_lshl_add_u64 v[0:1], v[0:1], 2, s[12:13]
	global_store_dword v[0:1], v57, off
	s_endpgm
	.section	.rodata,"a",@progbits
	.p2align	6, 0x0
	.amdhsa_kernel _ZL12mul_mat_q4_1IfLb0EEvPKvS1_PT_iiiii
		.amdhsa_group_segment_fixed_size 30336
		.amdhsa_private_segment_fixed_size 0
		.amdhsa_kernarg_size 44
		.amdhsa_user_sgpr_count 2
		.amdhsa_user_sgpr_dispatch_ptr 0
		.amdhsa_user_sgpr_queue_ptr 0
		.amdhsa_user_sgpr_kernarg_segment_ptr 1
		.amdhsa_user_sgpr_dispatch_id 0
		.amdhsa_user_sgpr_kernarg_preload_length 0
		.amdhsa_user_sgpr_kernarg_preload_offset 0
		.amdhsa_user_sgpr_private_segment_size 0
		.amdhsa_uses_dynamic_stack 0
		.amdhsa_enable_private_segment 0
		.amdhsa_system_sgpr_workgroup_id_x 1
		.amdhsa_system_sgpr_workgroup_id_y 1
		.amdhsa_system_sgpr_workgroup_id_z 0
		.amdhsa_system_sgpr_workgroup_info 0
		.amdhsa_system_vgpr_workitem_id 1
		.amdhsa_next_free_vgpr 251
		.amdhsa_next_free_sgpr 96
		.amdhsa_accum_offset 252
		.amdhsa_reserve_vcc 1
		.amdhsa_float_round_mode_32 0
		.amdhsa_float_round_mode_16_64 0
		.amdhsa_float_denorm_mode_32 3
		.amdhsa_float_denorm_mode_16_64 3
		.amdhsa_dx10_clamp 1
		.amdhsa_ieee_mode 1
		.amdhsa_fp16_overflow 0
		.amdhsa_tg_split 0
		.amdhsa_exception_fp_ieee_invalid_op 0
		.amdhsa_exception_fp_denorm_src 0
		.amdhsa_exception_fp_ieee_div_zero 0
		.amdhsa_exception_fp_ieee_overflow 0
		.amdhsa_exception_fp_ieee_underflow 0
		.amdhsa_exception_fp_ieee_inexact 0
		.amdhsa_exception_int_div_zero 0
	.end_amdhsa_kernel
	.section	.text._ZL12mul_mat_q4_1IfLb0EEvPKvS1_PT_iiiii,"axG",@progbits,_ZL12mul_mat_q4_1IfLb0EEvPKvS1_PT_iiiii,comdat
.Lfunc_end119:
	.size	_ZL12mul_mat_q4_1IfLb0EEvPKvS1_PT_iiiii, .Lfunc_end119-_ZL12mul_mat_q4_1IfLb0EEvPKvS1_PT_iiiii
                                        ; -- End function
	.set _ZL12mul_mat_q4_1IfLb0EEvPKvS1_PT_iiiii.num_vgpr, 251
	.set _ZL12mul_mat_q4_1IfLb0EEvPKvS1_PT_iiiii.num_agpr, 0
	.set _ZL12mul_mat_q4_1IfLb0EEvPKvS1_PT_iiiii.numbered_sgpr, 19
	.set _ZL12mul_mat_q4_1IfLb0EEvPKvS1_PT_iiiii.num_named_barrier, 0
	.set _ZL12mul_mat_q4_1IfLb0EEvPKvS1_PT_iiiii.private_seg_size, 0
	.set _ZL12mul_mat_q4_1IfLb0EEvPKvS1_PT_iiiii.uses_vcc, 1
	.set _ZL12mul_mat_q4_1IfLb0EEvPKvS1_PT_iiiii.uses_flat_scratch, 0
	.set _ZL12mul_mat_q4_1IfLb0EEvPKvS1_PT_iiiii.has_dyn_sized_stack, 0
	.set _ZL12mul_mat_q4_1IfLb0EEvPKvS1_PT_iiiii.has_recursion, 0
	.set _ZL12mul_mat_q4_1IfLb0EEvPKvS1_PT_iiiii.has_indirect_call, 0
	.section	.AMDGPU.csdata,"",@progbits
; Kernel info:
; codeLenInByte = 10440
; TotalNumSgprs: 25
; NumVgprs: 251
; NumAgprs: 0
; TotalNumVgprs: 251
; ScratchSize: 0
; MemoryBound: 0
; FloatMode: 240
; IeeeMode: 1
; LDSByteSize: 30336 bytes/workgroup (compile time only)
; SGPRBlocks: 12
; VGPRBlocks: 31
; NumSGPRsForWavesPerEU: 102
; NumVGPRsForWavesPerEU: 251
; AccumOffset: 252
; Occupancy: 2
; WaveLimiterHint : 0
; COMPUTE_PGM_RSRC2:SCRATCH_EN: 0
; COMPUTE_PGM_RSRC2:USER_SGPR: 2
; COMPUTE_PGM_RSRC2:TRAP_HANDLER: 0
; COMPUTE_PGM_RSRC2:TGID_X_EN: 1
; COMPUTE_PGM_RSRC2:TGID_Y_EN: 1
; COMPUTE_PGM_RSRC2:TGID_Z_EN: 0
; COMPUTE_PGM_RSRC2:TIDIG_COMP_CNT: 1
; COMPUTE_PGM_RSRC3_GFX90A:ACCUM_OFFSET: 62
; COMPUTE_PGM_RSRC3_GFX90A:TG_SPLIT: 0
	.section	.text._ZL12mul_mat_q4_1IfLb1EEvPKvS1_PT_iiiii,"axG",@progbits,_ZL12mul_mat_q4_1IfLb1EEvPKvS1_PT_iiiii,comdat
	.globl	_ZL12mul_mat_q4_1IfLb1EEvPKvS1_PT_iiiii ; -- Begin function _ZL12mul_mat_q4_1IfLb1EEvPKvS1_PT_iiiii
	.p2align	8
	.type	_ZL12mul_mat_q4_1IfLb1EEvPKvS1_PT_iiiii,@function
_ZL12mul_mat_q4_1IfLb1EEvPKvS1_PT_iiiii: ; @_ZL12mul_mat_q4_1IfLb1EEvPKvS1_PT_iiiii
; %bb.0:
	s_load_dwordx4 s[8:11], s[0:1], 0x18
	s_load_dword s14, s[0:1], 0x28
	s_lshl_b32 s15, s3, 6
	v_bfe_u32 v115, v0, 10, 10
	s_waitcnt lgkmcnt(0)
	s_cmp_gt_i32 s8, 31
	s_cbranch_scc1 .LBB120_4
; %bb.1:
	v_bfe_u32 v1, v0, 10, 10
	v_and_b32_e32 v75, 0x3ff, v0
	v_add_u32_e32 v81, s15, v1
	s_load_dwordx2 s[12:13], s[0:1], 0x10
	s_lshl_b32 s4, s2, 7
	s_cbranch_execz .LBB120_5
; %bb.2:
	v_mov_b32_e32 v56, 0
	v_mov_b32_e32 v57, v56
	v_mov_b64_e32 v[64:65], v[56:57]
	v_mov_b64_e32 v[72:73], v[56:57]
	;; [unrolled: 1-line block ×15, first 2 shown]
	v_cmp_gt_u32_e32 vcc, s10, v81
	s_and_saveexec_b64 s[0:1], vcc
	s_cbranch_execnz .LBB120_15
.LBB120_3:
	s_endpgm
.LBB120_4:
                                        ; implicit-def: $vgpr1
                                        ; implicit-def: $vgpr75
                                        ; implicit-def: $vgpr81
	s_load_dwordx2 s[12:13], s[0:1], 0x10
	s_lshl_b32 s4, s2, 7
.LBB120_5:
	s_ashr_i32 s5, s8, 31
	s_load_dwordx4 s[0:3], s[0:1], 0x0
	s_lshr_b32 s5, s5, 27
	s_ashr_i32 s6, s11, 31
	s_add_i32 s5, s8, s5
	s_lshr_b32 s6, s6, 27
	s_ashr_i32 s5, s5, 5
	s_add_i32 s6, s11, s6
	s_ashr_i32 s11, s6, 5
	s_mul_i32 s6, s5, s4
	s_mul_hi_i32 s7, s6, 20
	s_mul_i32 s6, s6, 20
	s_waitcnt lgkmcnt(0)
	s_add_u32 s6, s0, s6
	s_addc_u32 s7, s1, s7
	s_not_b32 s0, s4
	s_add_i32 s1, s9, s0
	v_add_u32_e32 v1, 64, v115
	v_min_i32_e32 v22, s1, v1
	v_add_u32_e32 v1, 0x48, v115
	v_min_i32_e32 v23, s1, v1
	;; [unrolled: 2-line block ×3, first 2 shown]
	v_add_u32_e32 v1, 0x58, v115
	v_and_b32_e32 v75, 0x3ff, v0
	v_add_u32_e32 v8, 8, v115
	v_min_i32_e32 v25, s1, v1
	v_add_u32_e32 v1, 0x60, v115
	v_lshlrev_b32_e32 v2, 2, v75
	v_min_i32_e32 v3, s1, v115
	s_movk_i32 s0, 0x84
	v_min_i32_e32 v9, s1, v8
	v_min_i32_e32 v26, s1, v1
	v_add_u32_e32 v1, 0x68, v115
	v_mad_u64_u32 v[82:83], s[8:9], v9, s0, v[2:3]
	v_min_i32_e32 v27, s1, v1
	v_add_u32_e32 v1, 0x70, v115
	v_min_i32_e32 v28, s1, v1
	v_add_u32_e32 v1, 0x78, v115
	v_bfe_u32 v83, v0, 3, 7
	v_min_i32_e32 v29, s1, v1
	v_lshl_add_u32 v1, v115, 2, v83
	v_min_i32_e32 v30, s1, v1
	v_add_u32_e32 v10, 16, v115
	v_add_u32_e32 v12, 24, v115
	;; [unrolled: 1-line block ×6, first 2 shown]
	v_ashrrev_i32_e32 v4, 31, v30
	v_min_i32_e32 v11, s1, v10
	v_min_i32_e32 v13, s1, v12
	;; [unrolled: 1-line block ×6, first 2 shown]
	v_lshrrev_b32_e32 v4, 30, v4
	v_mad_u64_u32 v[80:81], s[8:9], v3, s0, v[2:3]
	v_mad_u64_u32 v[86:87], s[8:9], v11, s0, v[2:3]
	;; [unrolled: 1-line block ×14, first 2 shown]
	v_and_b32_e32 v114, 7, v0
	v_add_u32_e32 v4, v30, v4
	v_and_b32_e32 v4, -4, v4
	v_lshlrev_b32_e32 v5, 2, v114
	s_movk_i32 s8, 0x6200
	v_add3_u32 v31, v4, v5, s8
	v_add_u32_e32 v4, 32, v1
	v_min_i32_e32 v33, s1, v4
	v_ashrrev_i32_e32 v4, 31, v33
	v_lshrrev_b32_e32 v4, 30, v4
	v_add_u32_e32 v4, v33, v4
	v_and_b32_e32 v4, -4, v4
	v_add3_u32 v34, v4, v5, s8
	v_add_u32_e32 v4, 64, v1
	v_add_u32_e32 v1, 0x60, v1
	v_bfe_u32 v74, v0, 2, 8
	v_min_i32_e32 v35, s1, v4
	v_min_i32_e32 v37, s1, v1
	v_and_b32_e32 v6, 31, v0
	v_mov_b32_e32 v7, 0x4200
	v_ashrrev_i32_e32 v4, 31, v35
	v_ashrrev_i32_e32 v1, 31, v37
	v_lshl_or_b32 v38, v6, 2, v7
	v_lshl_add_u32 v6, v115, 3, v74
	v_lshrrev_b32_e32 v4, 30, v4
	v_lshrrev_b32_e32 v1, 30, v1
	v_and_b32_e32 v7, 63, v6
	v_add_u32_e32 v4, v35, v4
	v_add_u32_e32 v1, v37, v1
	s_add_i32 s1, s10, -1
	v_or_b32_e32 v39, s15, v7
	v_and_b32_e32 v4, -4, v4
	v_and_b32_e32 v1, -4, v1
	v_and_b32_e32 v6, 3, v0
	v_min_i32_e32 v39, s1, v39
	v_add3_u32 v36, v4, v5, s8
	v_add3_u32 v1, v1, v5, s8
	v_add_u32_e32 v81, s15, v115
	v_mad_u64_u32 v[122:123], s[8:9], v39, s11, v[6:7]
	v_lshlrev_b32_e32 v6, 2, v6
	v_cvt_f64_i32_e32 v[4:5], s1
	v_lshl_or_b32 v39, v7, 4, v6
	v_cvt_f64_u32_e32 v[6:7], v81
	v_min_f64 v[6:7], v[6:7], v[4:5]
	v_cvt_i32_f64_e32 v40, v[6:7]
	v_add_u32_e32 v6, 8, v81
	v_cvt_f64_u32_e32 v[6:7], v6
	v_min_f64 v[6:7], v[6:7], v[4:5]
	v_cvt_i32_f64_e32 v41, v[6:7]
	v_add_u32_e32 v6, 16, v81
	;; [unrolled: 4-line block ×8, first 2 shown]
	v_add_u32_e32 v6, 64, v75
	v_add_u32_e32 v7, 0x60, v75
	v_lshlrev_b32_e32 v47, 5, v75
	v_and_b32_e32 v7, 0x1fc, v7
	v_and_b32_e32 v6, 0x1fc, v6
	;; [unrolled: 1-line block ×4, first 2 shown]
	v_add_u32_e32 v7, v47, v7
	v_add_u32_e32 v6, v47, v6
	;; [unrolled: 1-line block ×4, first 2 shown]
	v_lshlrev_b32_e32 v0, 5, v33
	v_mov_b32_e32 v77, 0
	v_add_u32_e32 v89, v34, v0
	v_lshlrev_b32_e32 v0, 5, v37
	v_add_u32_e32 v95, v1, v0
	v_and_b32_e32 v0, 28, v2
	v_mov_b32_e32 v1, v77
	v_lshlrev_b32_e32 v32, 5, v30
	v_mad_u64_u32 v[126:127], s[8:9], v29, s0, v[2:3]
	v_lshl_add_u64 v[128:129], s[2:3], 0, v[0:1]
	v_mov_b32_e32 v0, 0x7280
	v_and_b32_e32 v76, 12, v2
	v_add_u32_e32 v87, v31, v32
	v_lshlrev_b32_e32 v31, 5, v35
	v_lshlrev_b32_e32 v2, 7, v8
	;; [unrolled: 1-line block ×7, first 2 shown]
	v_mul_lo_u32 v113, s11, v4
	v_lshlrev_b32_e32 v4, 7, v20
	v_lshl_add_u32 v127, v115, 4, v0
	v_lshlrev_b32_e32 v0, 7, v115
	v_mov_b32_e32 v120, v77
	v_mov_b32_e32 v121, v77
	v_add_u32_e32 v91, v36, v31
	v_add_u32_e32 v97, 0x7280, v39
	s_add_i32 s8, s5, 3
	v_mul_lo_u32 v99, s11, v40
	v_mul_lo_u32 v101, s11, v41
	v_mul_lo_u32 v103, s11, v42
	v_mul_lo_u32 v105, s11, v43
	v_mul_lo_u32 v107, s11, v44
	v_mul_lo_u32 v109, s11, v45
	v_mul_lo_u32 v111, s11, v46
	v_lshrrev_b32_e32 v123, 3, v5
	v_add_u32_e32 v131, v38, v2
	v_add_u32_e32 v133, v38, v8
	;; [unrolled: 1-line block ×17, first 2 shown]
	s_mov_b32 s9, 0
	v_mul_lo_u32 v130, v3, s5
	v_mul_lo_u32 v132, v9, s5
	;; [unrolled: 1-line block ×20, first 2 shown]
	v_mul_u32_u24_e32 v165, 0x84, v75
	v_mad_u32_u24 v167, v75, s0, 64
	v_mov_b64_e32 v[92:93], v[120:121]
	v_mov_b64_e32 v[70:71], v[120:121]
	;; [unrolled: 1-line block ×15, first 2 shown]
	s_branch .LBB120_7
.LBB120_6:                              ;   in Loop: Header=BB120_7 Depth=1
	s_add_i32 s9, s9, 8
	s_add_i32 s8, s8, -8
	s_cmp_ge_i32 s9, s5
	s_cbranch_scc1 .LBB120_14
.LBB120_7:                              ; =>This Loop Header: Depth=1
                                        ;     Child Loop BB120_9 Depth 2
                                        ;     Child Loop BB120_12 Depth 2
	s_mul_i32 s0, s9, 20
	s_mul_hi_u32 s1, s9, 20
	s_add_u32 s0, s6, s0
	s_addc_u32 s1, s7, s1
	v_mad_u64_u32 v[0:1], s[16:17], v74, 20, s[0:1]
	v_mad_i64_i32 v[2:3], s[16:17], v130, 20, v[0:1]
	v_lshl_add_u64 v[2:3], v[2:3], 0, v[76:77]
	global_load_dword v2, v[2:3], off offset:4
	s_cmp_gt_u32 s8, 3
	s_waitcnt vmcnt(0)
	ds_write_b32 v80, v2
	v_mad_i64_i32 v[2:3], s[16:17], v132, 20, v[0:1]
	v_lshl_add_u64 v[2:3], v[2:3], 0, v[76:77]
	global_load_dword v2, v[2:3], off offset:4
	s_waitcnt vmcnt(0)
	ds_write_b32 v82, v2
	v_mad_i64_i32 v[2:3], s[16:17], v134, 20, v[0:1]
	v_lshl_add_u64 v[2:3], v[2:3], 0, v[76:77]
	global_load_dword v2, v[2:3], off offset:4
	;; [unrolled: 5-line block ×13, first 2 shown]
	s_waitcnt vmcnt(0)
	ds_write_b32 v110, v2
	v_mad_i64_i32 v[2:3], s[16:17], v158, 20, v[0:1]
	v_mad_i64_i32 v[0:1], s[16:17], v160, 20, v[0:1]
	v_lshl_add_u64 v[2:3], v[2:3], 0, v[76:77]
	v_lshl_add_u64 v[0:1], v[0:1], 0, v[76:77]
	global_load_dword v2, v[2:3], off offset:4
	s_nop 0
	global_load_dword v0, v[0:1], off offset:4
	s_waitcnt vmcnt(1)
	ds_write_b32 v112, v2
	s_waitcnt vmcnt(0)
	ds_write_b32 v126, v0
	v_mad_u64_u32 v[0:1], s[0:1], v114, 20, s[0:1]
	v_mad_i64_i32 v[2:3], s[0:1], v162, 20, v[0:1]
	global_load_dword v2, v[2:3], off
	s_waitcnt vmcnt(0)
	ds_write_b32 v87, v2
	v_mad_i64_i32 v[2:3], s[0:1], v164, 20, v[0:1]
	global_load_dword v2, v[2:3], off
	s_waitcnt vmcnt(0)
	ds_write_b32 v89, v2
	v_mad_i64_i32 v[2:3], s[0:1], v166, 20, v[0:1]
	v_mad_i64_i32 v[0:1], s[0:1], v168, 20, v[0:1]
	global_load_dword v2, v[2:3], off
	s_nop 0
	global_load_dword v0, v[0:1], off
	s_waitcnt vmcnt(1)
	ds_write_b32 v91, v2
	s_waitcnt vmcnt(0)
	ds_write_b32 v95, v0
	s_cbranch_scc0 .LBB120_6
; %bb.8:                                ;   in Loop: Header=BB120_7 Depth=1
	v_add_u32_e32 v2, s9, v83
	v_add_u32_e32 v0, v2, v99
	v_mad_i64_i32 v[0:1], s[0:1], v0, 36, v[128:129]
	global_load_dword v0, v[0:1], off offset:4
	v_add_u32_e32 v169, s9, v122
	v_mov_b32_e32 v186, v147
	v_mov_b32_e32 v187, v127
	;; [unrolled: 1-line block ×7, first 2 shown]
	s_waitcnt vmcnt(0)
	ds_write_b32 v145, v0
	v_add_u32_e32 v0, v2, v101
	v_mad_i64_i32 v[0:1], s[0:1], v0, 36, v[128:129]
	global_load_dword v0, v[0:1], off offset:4
	s_waitcnt vmcnt(0)
	ds_write_b32 v131, v0
	v_add_u32_e32 v0, v2, v103
	v_mad_i64_i32 v[0:1], s[0:1], v0, 36, v[128:129]
	global_load_dword v0, v[0:1], off offset:4
	;; [unrolled: 5-line block ×7, first 2 shown]
	s_waitcnt vmcnt(0)
	ds_write_b32 v143, v0
	v_mad_u64_u32 v[0:1], s[0:1], v169, 36, s[2:3]
	global_load_dword v0, v[0:1], off
	s_mov_b32 s0, -4
	s_waitcnt vmcnt(0)
	ds_write_b32 v97, v0
	s_waitcnt lgkmcnt(0)
	s_barrier
.LBB120_9:                              ;   Parent Loop BB120_7 Depth=1
                                        ; =>  This Inner Loop Header: Depth=2
	ds_read_b128 v[40:43], v186
	ds_read_b128 v[0:3], v186 offset:16
	ds_read2_b32 v[170:171], v192 offset0:2 offset1:3
	v_add_u32_e32 v172, 0x1080, v192
	v_add_u32_e32 v173, 0x1088, v192
	;; [unrolled: 1-line block ×5, first 2 shown]
	ds_read2_b32 v[178:179], v192 offset1:1
	ds_read_b32 v180, v191
	v_add_u32_e32 v177, 0x3188, v192
	ds_read_b128 v[28:31], v186 offset:1024
	ds_read_b128 v[8:11], v186 offset:1040
	;; [unrolled: 1-line block ×12, first 2 shown]
	ds_read2_b32 v[184:185], v172 offset1:1
	ds_read2_b32 v[172:173], v173 offset1:1
	;; [unrolled: 1-line block ×6, first 2 shown]
	s_waitcnt lgkmcnt(14)
	v_and_b32_e32 v181, 0xf0f0f0f, v179
	v_lshrrev_b32_e32 v179, 4, v179
	v_lshrrev_b32_e32 v220, 4, v170
	v_mov_b32_e32 v193, 0
	v_mov_b32_e32 v194, 0
	;; [unrolled: 1-line block ×4, first 2 shown]
	v_and_b32_e32 v237, 0xf0f0f0f, v178
	v_lshrrev_b32_e32 v182, 4, v178
	v_and_b32_e32 v183, 0xf0f0f0f, v179
	v_and_b32_e32 v179, 0xf0f0f0f, v220
	s_waitcnt lgkmcnt(5)
	v_and_b32_e32 v224, 0xf0f0f0f, v184
	v_lshrrev_b32_e32 v220, 4, v184
	s_waitcnt lgkmcnt(3)
	v_and_b32_e32 v227, 0xf0f0f0f, v218
	v_lshrrev_b32_e32 v218, 4, v218
	;; [unrolled: 3-line block ×3, first 2 shown]
	v_and_b32_e32 v223, 0xf0f0f0f, v182
	v_dot4c_i32_i8_e32 v193, v237, v40
	v_and_b32_e32 v233, 0xf0f0f0f, v220
	v_dot4c_i32_i8_e32 v194, v224, v40
	;; [unrolled: 2-line block ×4, first 2 shown]
	v_mov_b32_e32 v197, 0
	v_mov_b32_e32 v198, 0
	;; [unrolled: 1-line block ×4, first 2 shown]
	v_and_b32_e32 v184, 0xf0f0f0f, v185
	v_lshrrev_b32_e32 v225, 4, v185
	v_lshrrev_b32_e32 v232, 4, v172
	v_and_b32_e32 v221, 0xf0f0f0f, v219
	v_lshrrev_b32_e32 v219, 4, v219
	v_lshrrev_b32_e32 v234, 4, v174
	v_and_b32_e32 v226, 0xf0f0f0f, v229
	v_lshrrev_b32_e32 v229, 4, v229
	v_dot4c_i32_i8_e32 v193, v223, v0
	v_dot4c_i32_i8_e32 v194, v233, v0
	v_dot4c_i32_i8_e32 v195, v235, v0
	v_dot4c_i32_i8_e32 v196, v236, v0
	v_and_b32_e32 v230, 0xf0f0f0f, v225
	v_and_b32_e32 v225, 0xf0f0f0f, v232
	;; [unrolled: 1-line block ×5, first 2 shown]
	v_dot4c_i32_i8_e32 v193, v181, v41
	v_dot4c_i32_i8_e32 v194, v184, v41
	;; [unrolled: 1-line block ×8, first 2 shown]
	v_and_b32_e32 v178, 0xf0f0f0f, v170
	v_and_b32_e32 v182, 0xf0f0f0f, v172
	;; [unrolled: 1-line block ×3, first 2 shown]
	s_waitcnt lgkmcnt(0)
	v_and_b32_e32 v222, 0xf0f0f0f, v176
	v_lshrrev_b32_e32 v238, 4, v176
	v_dot4c_i32_i8_e32 v193, v183, v1
	v_dot4c_i32_i8_e32 v194, v230, v1
	;; [unrolled: 1-line block ×8, first 2 shown]
	v_mov_b32_e32 v201, 0
	v_mov_b32_e32 v202, 0
	v_mov_b32_e32 v203, 0
	v_mov_b32_e32 v204, 0
	v_mov_b32_e32 v205, 0
	v_mov_b32_e32 v206, 0
	v_mov_b32_e32 v207, 0
	v_mov_b32_e32 v208, 0
	v_and_b32_e32 v229, 0xf0f0f0f, v238
	v_dot4c_i32_i8_e32 v193, v178, v42
	v_dot4c_i32_i8_e32 v194, v182, v42
	;; [unrolled: 1-line block ×12, first 2 shown]
	ds_read_b32 v2, v188
	v_dot4c_i32_i8_e32 v197, v183, v9
	v_dot4c_i32_i8_e32 v198, v230, v9
	;; [unrolled: 1-line block ×4, first 2 shown]
	ds_read_b32 v8, v189
	ds_read_b32 v9, v190
	ds_read2_b32 v[0:1], v187 offset1:32
	v_dot4c_i32_i8_e32 v201, v237, v32
	v_dot4c_i32_i8_e32 v202, v224, v32
	;; [unrolled: 1-line block ×32, first 2 shown]
	v_mov_b32_e32 v209, 0
	v_mov_b32_e32 v210, 0
	;; [unrolled: 1-line block ×4, first 2 shown]
	v_dot4c_i32_i8_e32 v197, v178, v30
	v_dot4c_i32_i8_e32 v198, v182, v30
	;; [unrolled: 1-line block ×12, first 2 shown]
	v_mov_b32_e32 v213, 0
	v_mov_b32_e32 v214, 0
	;; [unrolled: 1-line block ×4, first 2 shown]
	v_dot4c_i32_i8_e32 v197, v179, v10
	v_dot4c_i32_i8_e32 v198, v225, v10
	;; [unrolled: 1-line block ×8, first 2 shown]
	s_waitcnt lgkmcnt(0)
	v_pk_mul_f16 v10, v0, v2
	v_pk_mul_f16 v20, v0, v8
	;; [unrolled: 1-line block ×4, first 2 shown]
	v_dot4c_i32_i8_e32 v205, v179, v18
	v_dot4c_i32_i8_e32 v206, v225, v18
	;; [unrolled: 1-line block ×4, first 2 shown]
	v_pk_mul_f16 v16, v2, v1
	v_pk_mul_f16 v18, v8, v1
	;; [unrolled: 1-line block ×4, first 2 shown]
	ds_read2_b32 v[0:1], v187 offset0:64 offset1:96
	v_dot4c_i32_i8_e32 v209, v237, v44
	v_dot4c_i32_i8_e32 v210, v224, v44
	;; [unrolled: 1-line block ×12, first 2 shown]
	v_mov_b32_e32 v217, 0
	v_mov_b32_e32 v218, 0
	;; [unrolled: 1-line block ×4, first 2 shown]
	v_dot4c_i32_i8_e32 v209, v181, v45
	v_dot4c_i32_i8_e32 v210, v184, v45
	;; [unrolled: 1-line block ×20, first 2 shown]
	v_and_b32_e32 v170, 0xf0f0f0f, v171
	v_and_b32_e32 v172, 0xf0f0f0f, v173
	;; [unrolled: 1-line block ×4, first 2 shown]
	v_dot4c_i32_i8_e32 v209, v178, v46
	v_dot4c_i32_i8_e32 v210, v182, v46
	;; [unrolled: 1-line block ×24, first 2 shown]
	s_waitcnt lgkmcnt(0)
	v_pk_mul_f16 v30, v2, v0
	v_pk_mul_f16 v31, v8, v0
	v_dot4c_i32_i8_e32 v213, v178, v50
	v_dot4c_i32_i8_e32 v214, v182, v50
	;; [unrolled: 1-line block ×4, first 2 shown]
	v_pk_mul_f16 v36, v8, v1
	v_dot4c_i32_i8_e32 v217, v181, v53
	v_dot4c_i32_i8_e32 v218, v184, v53
	;; [unrolled: 1-line block ×4, first 2 shown]
	ds_read_b128 v[42:45], v186 offset:7168
	v_dot4c_i32_i8_e32 v201, v170, v35
	v_dot4c_i32_i8_e32 v202, v172, v35
	;; [unrolled: 1-line block ×8, first 2 shown]
	v_pk_mul_f16 v46, v9, v0
	v_pk_mul_f16 v238, v180, v0
	v_dot4c_i32_i8_e32 v213, v179, v14
	v_dot4c_i32_i8_e32 v214, v225, v14
	;; [unrolled: 1-line block ×4, first 2 shown]
	v_pk_mul_f16 v14, v2, v1
	v_pk_mul_f16 v47, v9, v1
	;; [unrolled: 1-line block ×3, first 2 shown]
	ds_read2_b32 v[0:1], v187 offset0:128 offset1:160
	v_dot4c_i32_i8_e32 v217, v183, v25
	v_dot4c_i32_i8_e32 v218, v230, v25
	;; [unrolled: 1-line block ×4, first 2 shown]
	v_cvt_f32_f16_e32 v25, v29
	v_cvt_f32_f16_e32 v24, v28
	v_cvt_f32_f16_sdwa v33, v29 dst_sel:DWORD dst_unused:UNUSED_PAD src0_sel:WORD_1
	v_cvt_f32_f16_sdwa v32, v28 dst_sel:DWORD dst_unused:UNUSED_PAD src0_sel:WORD_1
	v_cvt_f32_f16_e32 v38, v30
	v_cvt_f32_f16_sdwa v40, v30 dst_sel:DWORD dst_unused:UNUSED_PAD src0_sel:WORD_1
	v_cvt_f32_f16_e32 v35, v36
	v_cvt_f32_f16_e32 v34, v31
	v_cvt_f32_f16_sdwa v37, v36 dst_sel:DWORD dst_unused:UNUSED_PAD src0_sel:WORD_1
	v_cvt_f32_f16_sdwa v36, v31 dst_sel:DWORD dst_unused:UNUSED_PAD src0_sel:WORD_1
	ds_read_b128 v[28:31], v186 offset:7184
	v_mov_b32_e32 v6, 0
	v_dot4c_i32_i8_e32 v217, v178, v54
	v_dot4c_i32_i8_e32 v218, v182, v54
	;; [unrolled: 1-line block ×4, first 2 shown]
	s_waitcnt lgkmcnt(2)
	v_dot4c_i32_i8_e32 v6, v237, v42
	v_dot4c_i32_i8_e32 v205, v170, v39
	v_dot4c_i32_i8_e32 v206, v172, v39
	v_dot4c_i32_i8_e32 v207, v174, v39
	v_dot4c_i32_i8_e32 v208, v176, v39
	v_dot4c_i32_i8_e32 v213, v170, v51
	v_dot4c_i32_i8_e32 v214, v172, v51
	v_dot4c_i32_i8_e32 v215, v174, v51
	v_dot4c_i32_i8_e32 v216, v176, v51
	v_dot4c_i32_i8_e32 v217, v179, v26
	v_dot4c_i32_i8_e32 v218, v225, v26
	v_dot4c_i32_i8_e32 v219, v228, v26
	v_dot4c_i32_i8_e32 v220, v229, v26
	s_waitcnt lgkmcnt(1)
	v_pk_mul_f16 v50, v2, v0
	v_pk_mul_f16 v52, v8, v0
	;; [unrolled: 1-line block ×8, first 2 shown]
	ds_read2_b32 v[0:1], v187 offset0:192 offset1:224
	v_cvt_f32_f16_e32 v39, v14
	v_cvt_f32_f16_sdwa v41, v14 dst_sel:DWORD dst_unused:UNUSED_PAD src0_sel:WORD_1
	s_waitcnt lgkmcnt(1)
	v_dot4c_i32_i8_e32 v6, v223, v28
	v_mov_b32_e32 v14, 0
	v_mov_b32_e32 v26, 0
	;; [unrolled: 1-line block ×3, first 2 shown]
	v_dot4c_i32_i8_e32 v14, v224, v42
	v_dot4c_i32_i8_e32 v26, v227, v42
	v_dot4c_i32_i8_e32 v223, v231, v42
	v_dot4c_i32_i8_e32 v6, v181, v43
	v_dot4c_i32_i8_e32 v14, v233, v28
	v_dot4c_i32_i8_e32 v26, v235, v28
	v_dot4c_i32_i8_e32 v223, v236, v28
	v_dot4c_i32_i8_e32 v6, v183, v29
	v_dot4c_i32_i8_e32 v14, v184, v43
	v_dot4c_i32_i8_e32 v26, v221, v43
	v_dot4c_i32_i8_e32 v223, v226, v43
	v_dot4c_i32_i8_e32 v6, v178, v44
	v_dot4c_i32_i8_e32 v14, v230, v29
	v_dot4c_i32_i8_e32 v26, v232, v29
	v_dot4c_i32_i8_e32 v223, v234, v29
	s_waitcnt lgkmcnt(0)
	v_pk_mul_f16 v243, v2, v0
	v_pk_mul_f16 v244, v2, v1
	v_lshrrev_b32_e32 v2, 4, v171
	v_dot4c_i32_i8_e32 v6, v179, v30
	v_dot4c_i32_i8_e32 v14, v182, v44
	;; [unrolled: 1-line block ×8, first 2 shown]
	v_lshrrev_b32_e32 v54, 4, v173
	v_lshrrev_b32_e32 v55, 4, v175
	;; [unrolled: 1-line block ×3, first 2 shown]
	v_dot4c_i32_i8_e32 v6, v170, v45
	v_dot4c_i32_i8_e32 v14, v225, v30
	;; [unrolled: 1-line block ×4, first 2 shown]
	v_and_b32_e32 v224, 0xf0f0f0f, v2
	v_dot4c_i32_i8_e32 v14, v172, v45
	v_dot4c_i32_i8_e32 v26, v174, v45
	v_dot4c_i32_i8_e32 v223, v176, v45
	v_and_b32_e32 v30, 0xf0f0f0f, v54
	v_and_b32_e32 v221, 0xf0f0f0f, v55
	;; [unrolled: 1-line block ×3, first 2 shown]
	v_dot4c_i32_i8_e32 v193, v224, v3
	v_dot4c_i32_i8_e32 v197, v224, v11
	;; [unrolled: 1-line block ×6, first 2 shown]
	v_pk_mul_f16 v245, v8, v0
	v_pk_mul_f16 v246, v8, v1
	;; [unrolled: 1-line block ×6, first 2 shown]
	v_cvt_f32_f16_e32 v5, v16
	v_cvt_f32_f16_e32 v4, v10
	v_cvt_f32_f16_sdwa v17, v16 dst_sel:DWORD dst_unused:UNUSED_PAD src0_sel:WORD_1
	v_cvt_f32_f16_sdwa v16, v10 dst_sel:DWORD dst_unused:UNUSED_PAD src0_sel:WORD_1
	v_dot4c_i32_i8_e32 v194, v30, v3
	v_dot4c_i32_i8_e32 v195, v221, v3
	;; [unrolled: 1-line block ×6, first 2 shown]
	v_cvt_f32_f16_e32 v181, v244
	v_cvt_f32_f16_e32 v180, v243
	v_cvt_f32_f16_sdwa v183, v244 dst_sel:DWORD dst_unused:UNUSED_PAD src0_sel:WORD_1
	v_cvt_f32_f16_sdwa v182, v243 dst_sel:DWORD dst_unused:UNUSED_PAD src0_sel:WORD_1
	v_dot4c_i32_i8_e32 v202, v30, v23
	v_dot4c_i32_i8_e32 v203, v221, v23
	;; [unrolled: 1-line block ×20, first 2 shown]
	v_cvt_f32_i32_e32 v31, v197
	v_cvt_f32_i32_e32 v30, v193
	;; [unrolled: 1-line block ×6, first 2 shown]
	v_cvt_f32_f16_e32 v1, v18
	v_cvt_f32_f16_e32 v0, v20
	v_cvt_f32_f16_sdwa v9, v18 dst_sel:DWORD dst_unused:UNUSED_PAD src0_sel:WORD_1
	v_cvt_f32_f16_sdwa v8, v20 dst_sel:DWORD dst_unused:UNUSED_PAD src0_sel:WORD_1
	v_cvt_f32_f16_e32 v13, v21
	v_cvt_f32_f16_e32 v12, v22
	v_cvt_f32_f16_sdwa v21, v21 dst_sel:DWORD dst_unused:UNUSED_PAD src0_sel:WORD_1
	v_cvt_f32_f16_sdwa v20, v22 dst_sel:DWORD dst_unused:UNUSED_PAD src0_sel:WORD_1
	;; [unrolled: 4-line block ×11, first 2 shown]
	v_cvt_f32_i32_e32 v227, v213
	v_cvt_f32_i32_e32 v226, v209
	;; [unrolled: 1-line block ×26, first 2 shown]
	v_pk_fma_f32 v[4:5], v[4:5], v[30:31], v[16:17]
	v_pk_fma_f32 v[16:17], v[224:225], v[38:39], v[40:41]
	;; [unrolled: 1-line block ×3, first 2 shown]
	s_add_i32 s0, s0, 4
	v_pk_fma_f32 v[30:31], v[226:227], v[48:49], v[50:51]
	v_pk_add_f32 v[120:121], v[120:121], v[4:5]
	v_pk_fma_f32 v[0:1], v[0:1], v[228:229], v[8:9]
	v_pk_fma_f32 v[4:5], v[12:13], v[198:199], v[20:21]
	;; [unrolled: 1-line block ×3, first 2 shown]
	v_pk_add_f32 v[92:93], v[92:93], v[16:17]
	v_pk_fma_f32 v[12:13], v[196:197], v[34:35], v[36:37]
	v_pk_fma_f32 v[16:17], v[200:201], v[28:29], v[42:43]
	;; [unrolled: 1-line block ×6, first 2 shown]
	v_pk_add_f32 v[62:63], v[62:63], v[6:7]
	v_pk_fma_f32 v[6:7], v[14:15], v[22:23], v[174:175]
	v_pk_fma_f32 v[14:15], v[26:27], v[176:177], v[178:179]
	;; [unrolled: 1-line block ×3, first 2 shown]
	v_add_u32_e32 v192, 16, v192
	v_add_u32_e32 v191, 4, v191
	;; [unrolled: 1-line block ×7, first 2 shown]
	s_cmp_lt_u32 s0, 12
	v_pk_add_f32 v[70:71], v[70:71], v[30:31]
	v_pk_add_f32 v[124:125], v[124:125], v[0:1]
	;; [unrolled: 1-line block ×13, first 2 shown]
	s_cbranch_scc1 .LBB120_9
; %bb.10:                               ;   in Loop: Header=BB120_7 Depth=1
	s_and_b32 s0, s8, -4
	s_cmp_eq_u32 s0, 4
	s_barrier
	s_cbranch_scc1 .LBB120_6
; %bb.11:                               ;   in Loop: Header=BB120_7 Depth=1
	v_add_u32_e32 v14, s9, v123
	v_add_u32_e32 v0, v14, v99
	;; [unrolled: 1-line block ×6, first 2 shown]
	v_mad_i64_i32 v[0:1], s[0:1], v0, 36, v[128:129]
	v_mad_i64_i32 v[2:3], s[0:1], v2, 36, v[128:129]
	;; [unrolled: 1-line block ×4, first 2 shown]
	v_add_u32_e32 v8, v14, v107
	v_add_u32_e32 v10, v14, v109
	;; [unrolled: 1-line block ×4, first 2 shown]
	v_mad_u64_u32 v[16:17], s[0:1], v16, 36, s[2:3]
	v_mad_i64_i32 v[8:9], s[0:1], v8, 36, v[128:129]
	v_mad_i64_i32 v[10:11], s[0:1], v10, 36, v[128:129]
	v_mad_i64_i32 v[12:13], s[0:1], v12, 36, v[128:129]
	v_mad_i64_i32 v[14:15], s[0:1], v14, 36, v[128:129]
	global_load_dword v16, v[16:17], off
	s_nop 0
	global_load_dword v0, v[0:1], off offset:4
	s_nop 0
	global_load_dword v1, v[2:3], off offset:4
	;; [unrolled: 2-line block ×3, first 2 shown]
	global_load_dword v3, v[6:7], off offset:4
	s_nop 0
	global_load_dword v4, v[8:9], off offset:4
	global_load_dword v5, v[10:11], off offset:4
                                        ; kill: killed $vgpr8_vgpr9
                                        ; kill: killed $vgpr10_vgpr11
	global_load_dword v6, v[12:13], off offset:4
	global_load_dword v7, v[14:15], off offset:4
	s_mov_b32 s0, 12
	v_mov_b32_e32 v10, v127
	v_mov_b32_e32 v11, v147
	;; [unrolled: 1-line block ×6, first 2 shown]
	s_waitcnt vmcnt(8)
	ds_write_b32 v97, v16
	s_waitcnt vmcnt(7)
	ds_write_b32 v145, v0
	;; [unrolled: 2-line block ×9, first 2 shown]
	v_mov_b32_e32 v16, v167
	s_waitcnt lgkmcnt(0)
	s_barrier
.LBB120_12:                             ;   Parent Loop BB120_7 Depth=1
                                        ; =>  This Inner Loop Header: Depth=2
	ds_read_b128 v[0:3], v11
	ds_read_b128 v[4:7], v11 offset:16
	ds_read2_b32 v[8:9], v10 offset1:32
	ds_read_b32 v17, v12
	ds_read2_b32 v[22:23], v16 offset1:1
	ds_read2_b32 v[24:25], v16 offset0:2 offset1:3
	v_add_u32_e32 v36, 0x2108, v16
	v_add_u32_e32 v41, 0x3180, v16
	v_mov_b32_e32 v53, 0
	s_waitcnt lgkmcnt(1)
	v_lshrrev_b32_e32 v20, 4, v23
	v_and_b32_e32 v18, 0xf0f0f0f, v22
	v_lshrrev_b32_e32 v19, 4, v22
	v_and_b32_e32 v22, 0xf0f0f0f, v20
	s_waitcnt lgkmcnt(0)
	v_lshrrev_b32_e32 v20, 4, v24
	v_and_b32_e32 v31, 0xf0f0f0f, v20
	v_lshrrev_b32_e32 v20, 4, v25
	v_and_b32_e32 v21, 0xf0f0f0f, v23
	v_and_b32_e32 v30, 0xf0f0f0f, v24
	;; [unrolled: 1-line block ×4, first 2 shown]
	v_add_u32_e32 v23, 0x1080, v16
	ds_read_b32 v20, v13
	ds_read2_b32 v[24:25], v23 offset1:1
	v_mov_b32_e32 v174, 0
	v_mov_b32_e32 v176, 0
	;; [unrolled: 1-line block ×3, first 2 shown]
	v_and_b32_e32 v19, 0xf0f0f0f, v19
	s_waitcnt lgkmcnt(0)
	v_and_b32_e32 v26, 0xf0f0f0f, v25
	v_lshrrev_b32_e32 v25, 4, v25
	v_and_b32_e32 v27, 0xf0f0f0f, v25
	v_add_u32_e32 v25, 0x1088, v16
	ds_read2_b32 v[28:29], v25 offset1:1
	v_and_b32_e32 v23, 0xf0f0f0f, v24
	v_lshrrev_b32_e32 v24, 4, v24
	v_dot4c_i32_i8_e32 v53, v18, v0
	v_and_b32_e32 v24, 0xf0f0f0f, v24
	s_waitcnt lgkmcnt(0)
	v_lshrrev_b32_e32 v25, 4, v28
	v_and_b32_e32 v38, 0xf0f0f0f, v25
	v_lshrrev_b32_e32 v25, 4, v29
	v_and_b32_e32 v37, 0xf0f0f0f, v28
	v_and_b32_e32 v40, 0xf0f0f0f, v25
	v_add_u32_e32 v28, 0x2100, v16
	ds_read_b32 v25, v14
	ds_read2_b32 v[34:35], v28 offset1:1
	ds_read2_b32 v[48:49], v36 offset1:1
	v_and_b32_e32 v39, 0xf0f0f0f, v29
	v_dot4c_i32_i8_e32 v174, v23, v0
	v_dot4c_i32_i8_e32 v53, v19, v4
	s_waitcnt lgkmcnt(1)
	v_and_b32_e32 v28, 0xf0f0f0f, v34
	s_waitcnt lgkmcnt(0)
	v_lshrrev_b32_e32 v36, 4, v48
	v_and_b32_e32 v45, 0xf0f0f0f, v36
	v_lshrrev_b32_e32 v36, 4, v49
	v_and_b32_e32 v43, 0xf0f0f0f, v48
	v_and_b32_e32 v48, 0xf0f0f0f, v36
	ds_read_b32 v36, v15
	ds_read2_b32 v[50:51], v41 offset1:1
	v_lshrrev_b32_e32 v29, 4, v34
	v_and_b32_e32 v29, 0xf0f0f0f, v29
	v_dot4c_i32_i8_e32 v176, v28, v0
	v_dot4c_i32_i8_e32 v174, v24, v4
	s_waitcnt lgkmcnt(0)
	v_and_b32_e32 v41, 0xf0f0f0f, v50
	v_lshrrev_b32_e32 v42, 4, v50
	v_and_b32_e32 v42, 0xf0f0f0f, v42
	v_dot4c_i32_i8_e32 v178, v41, v0
	v_lshrrev_b32_e32 v0, 4, v51
	v_dot4c_i32_i8_e32 v176, v29, v4
	v_and_b32_e32 v34, 0xf0f0f0f, v35
	v_dot4c_i32_i8_e32 v178, v42, v4
	v_and_b32_e32 v44, 0xf0f0f0f, v51
	v_and_b32_e32 v46, 0xf0f0f0f, v0
	v_add_u32_e32 v0, 0x3188, v16
	v_dot4c_i32_i8_e32 v53, v21, v1
	v_dot4c_i32_i8_e32 v174, v26, v1
	;; [unrolled: 1-line block ×4, first 2 shown]
	ds_read2_b32 v[0:1], v0 offset1:1
	v_lshrrev_b32_e32 v35, 4, v35
	v_and_b32_e32 v35, 0xf0f0f0f, v35
	v_dot4c_i32_i8_e32 v53, v22, v5
	v_dot4c_i32_i8_e32 v174, v27, v5
	;; [unrolled: 1-line block ×3, first 2 shown]
	v_and_b32_e32 v47, 0xf0f0f0f, v49
	v_dot4c_i32_i8_e32 v178, v46, v5
	s_waitcnt lgkmcnt(0)
	v_and_b32_e32 v49, 0xf0f0f0f, v0
	v_lshrrev_b32_e32 v0, 4, v0
	v_dot4c_i32_i8_e32 v53, v30, v2
	v_dot4c_i32_i8_e32 v174, v37, v2
	;; [unrolled: 1-line block ×3, first 2 shown]
	v_and_b32_e32 v50, 0xf0f0f0f, v0
	v_dot4c_i32_i8_e32 v178, v49, v2
	v_dot4c_i32_i8_e32 v53, v31, v6
	;; [unrolled: 1-line block ×5, first 2 shown]
	v_and_b32_e32 v51, 0xf0f0f0f, v1
	v_lshrrev_b32_e32 v0, 4, v1
	v_dot4c_i32_i8_e32 v53, v32, v3
	v_dot4c_i32_i8_e32 v174, v39, v3
	;; [unrolled: 1-line block ×3, first 2 shown]
	v_and_b32_e32 v52, 0xf0f0f0f, v0
	v_dot4c_i32_i8_e32 v178, v51, v3
	v_dot4c_i32_i8_e32 v53, v33, v7
	;; [unrolled: 1-line block ×5, first 2 shown]
	ds_read_b128 v[0:3], v11 offset:1024
	ds_read_b128 v[4:7], v11 offset:1040
	v_mov_b32_e32 v172, 0
	v_pk_mul_f16 v169, v8, v17
	v_pk_mul_f16 v170, v17, v9
	s_waitcnt lgkmcnt(1)
	v_dot4c_i32_i8_e32 v172, v18, v0
	s_waitcnt lgkmcnt(0)
	v_dot4c_i32_i8_e32 v172, v19, v4
	v_dot4c_i32_i8_e32 v172, v21, v1
	;; [unrolled: 1-line block ×7, first 2 shown]
	v_cvt_f32_f16_e32 v55, v170
	v_cvt_f32_f16_e32 v54, v169
	v_cvt_f32_f16_sdwa v171, v170 dst_sel:DWORD dst_unused:UNUSED_PAD src0_sel:WORD_1
	v_cvt_f32_i32_e32 v173, v172
	v_cvt_f32_i32_e32 v172, v53
	v_mov_b32_e32 v53, 0
	v_dot4c_i32_i8_e32 v53, v23, v0
	v_dot4c_i32_i8_e32 v53, v24, v4
	;; [unrolled: 1-line block ×4, first 2 shown]
	v_cvt_f32_f16_sdwa v170, v169 dst_sel:DWORD dst_unused:UNUSED_PAD src0_sel:WORD_1
	v_dot4c_i32_i8_e32 v53, v37, v2
	v_dot4c_i32_i8_e32 v53, v38, v6
	;; [unrolled: 1-line block ×4, first 2 shown]
	v_pk_fma_f32 v[54:55], v[54:55], v[172:173], v[170:171]
	v_pk_mul_f16 v175, v8, v20
	v_pk_mul_f16 v169, v20, v9
	v_cvt_f32_i32_e32 v173, v53
	v_mov_b32_e32 v53, 0
	v_dot4c_i32_i8_e32 v53, v28, v0
	v_dot4c_i32_i8_e32 v53, v29, v4
	;; [unrolled: 1-line block ×4, first 2 shown]
	v_pk_add_f32 v[120:121], v[120:121], v[54:55]
	v_cvt_f32_f16_e32 v55, v169
	v_cvt_f32_f16_e32 v54, v175
	v_cvt_f32_f16_sdwa v171, v169 dst_sel:DWORD dst_unused:UNUSED_PAD src0_sel:WORD_1
	v_cvt_f32_f16_sdwa v170, v175 dst_sel:DWORD dst_unused:UNUSED_PAD src0_sel:WORD_1
	v_cvt_f32_i32_e32 v172, v174
	v_dot4c_i32_i8_e32 v53, v43, v2
	v_dot4c_i32_i8_e32 v53, v45, v6
	;; [unrolled: 1-line block ×4, first 2 shown]
	v_pk_fma_f32 v[54:55], v[54:55], v[172:173], v[170:171]
	v_pk_mul_f16 v177, v8, v25
	v_pk_mul_f16 v8, v8, v36
	v_cvt_f32_i32_e32 v173, v53
	v_mov_b32_e32 v53, 0
	v_dot4c_i32_i8_e32 v53, v41, v0
	v_dot4c_i32_i8_e32 v53, v42, v4
	;; [unrolled: 1-line block ×8, first 2 shown]
	v_pk_mul_f16 v2, v36, v9
	v_cvt_f32_f16_e32 v0, v8
	v_cvt_f32_f16_e32 v1, v2
	v_cvt_f32_f16_sdwa v3, v2 dst_sel:DWORD dst_unused:UNUSED_PAD src0_sel:WORD_1
	v_cvt_f32_f16_sdwa v2, v8 dst_sel:DWORD dst_unused:UNUSED_PAD src0_sel:WORD_1
	v_cvt_f32_i32_e32 v5, v53
	v_cvt_f32_i32_e32 v4, v178
	v_pk_mul_f16 v169, v25, v9
	v_cvt_f32_i32_e32 v172, v176
	v_mov_b32_e32 v53, 0
	v_pk_fma_f32 v[0:1], v[0:1], v[4:5], v[2:3]
	v_mov_b32_e32 v174, 0
	v_pk_add_f32 v[116:117], v[116:117], v[0:1]
	ds_read_b128 v[0:3], v11 offset:2048
	ds_read_b128 v[4:7], v11 offset:2064
	ds_read2_b32 v[8:9], v10 offset0:64 offset1:96
	v_mov_b32_e32 v176, 0
	v_mov_b32_e32 v178, 0
	s_waitcnt lgkmcnt(2)
	v_dot4c_i32_i8_e32 v53, v18, v0
	v_dot4c_i32_i8_e32 v174, v23, v0
	;; [unrolled: 1-line block ×4, first 2 shown]
	s_waitcnt lgkmcnt(1)
	v_dot4c_i32_i8_e32 v53, v19, v4
	v_dot4c_i32_i8_e32 v174, v24, v4
	;; [unrolled: 1-line block ×20, first 2 shown]
	v_pk_add_f32 v[124:125], v[124:125], v[54:55]
	v_cvt_f32_f16_e32 v55, v169
	v_cvt_f32_f16_e32 v54, v177
	v_cvt_f32_f16_sdwa v171, v169 dst_sel:DWORD dst_unused:UNUSED_PAD src0_sel:WORD_1
	v_cvt_f32_f16_sdwa v170, v177 dst_sel:DWORD dst_unused:UNUSED_PAD src0_sel:WORD_1
	v_dot4c_i32_i8_e32 v53, v32, v3
	v_dot4c_i32_i8_e32 v174, v39, v3
	;; [unrolled: 1-line block ×8, first 2 shown]
	ds_read_b128 v[0:3], v11 offset:3072
	ds_read_b128 v[4:7], v11 offset:3088
	v_pk_fma_f32 v[54:55], v[54:55], v[172:173], v[170:171]
	v_mov_b32_e32 v172, 0
	s_waitcnt lgkmcnt(2)
	v_pk_mul_f16 v169, v17, v8
	s_waitcnt lgkmcnt(1)
	v_dot4c_i32_i8_e32 v172, v18, v0
	s_waitcnt lgkmcnt(0)
	v_dot4c_i32_i8_e32 v172, v19, v4
	v_dot4c_i32_i8_e32 v172, v21, v1
	;; [unrolled: 1-line block ×7, first 2 shown]
	v_pk_mul_f16 v170, v17, v9
	v_pk_add_f32 v[118:119], v[118:119], v[54:55]
	v_cvt_f32_f16_e32 v55, v170
	v_cvt_f32_i32_e32 v173, v172
	v_cvt_f32_i32_e32 v172, v53
	v_mov_b32_e32 v53, 0
	v_dot4c_i32_i8_e32 v53, v23, v0
	v_dot4c_i32_i8_e32 v53, v24, v4
	;; [unrolled: 1-line block ×4, first 2 shown]
	v_cvt_f32_f16_e32 v54, v169
	v_cvt_f32_f16_sdwa v171, v170 dst_sel:DWORD dst_unused:UNUSED_PAD src0_sel:WORD_1
	v_cvt_f32_f16_sdwa v170, v169 dst_sel:DWORD dst_unused:UNUSED_PAD src0_sel:WORD_1
	v_dot4c_i32_i8_e32 v53, v37, v2
	v_dot4c_i32_i8_e32 v53, v38, v6
	;; [unrolled: 1-line block ×4, first 2 shown]
	v_pk_fma_f32 v[54:55], v[172:173], v[54:55], v[170:171]
	v_pk_mul_f16 v175, v20, v8
	v_pk_mul_f16 v169, v20, v9
	v_cvt_f32_i32_e32 v173, v53
	v_mov_b32_e32 v53, 0
	v_dot4c_i32_i8_e32 v53, v28, v0
	v_dot4c_i32_i8_e32 v53, v29, v4
	;; [unrolled: 1-line block ×4, first 2 shown]
	v_pk_add_f32 v[92:93], v[92:93], v[54:55]
	v_cvt_f32_f16_e32 v55, v169
	v_cvt_f32_f16_e32 v54, v175
	v_cvt_f32_f16_sdwa v171, v169 dst_sel:DWORD dst_unused:UNUSED_PAD src0_sel:WORD_1
	v_cvt_f32_f16_sdwa v170, v175 dst_sel:DWORD dst_unused:UNUSED_PAD src0_sel:WORD_1
	v_cvt_f32_i32_e32 v172, v174
	v_dot4c_i32_i8_e32 v53, v43, v2
	v_dot4c_i32_i8_e32 v53, v45, v6
	;; [unrolled: 1-line block ×4, first 2 shown]
	v_pk_fma_f32 v[54:55], v[172:173], v[54:55], v[170:171]
	v_pk_mul_f16 v177, v25, v8
	v_pk_mul_f16 v8, v36, v8
	v_cvt_f32_i32_e32 v173, v53
	v_mov_b32_e32 v53, 0
	v_dot4c_i32_i8_e32 v53, v41, v0
	v_dot4c_i32_i8_e32 v53, v42, v4
	;; [unrolled: 1-line block ×8, first 2 shown]
	v_pk_mul_f16 v2, v36, v9
	v_cvt_f32_f16_e32 v0, v8
	v_cvt_f32_f16_e32 v1, v2
	v_cvt_f32_f16_sdwa v3, v2 dst_sel:DWORD dst_unused:UNUSED_PAD src0_sel:WORD_1
	v_cvt_f32_f16_sdwa v2, v8 dst_sel:DWORD dst_unused:UNUSED_PAD src0_sel:WORD_1
	v_cvt_f32_i32_e32 v5, v53
	v_cvt_f32_i32_e32 v4, v178
	v_pk_mul_f16 v169, v25, v9
	v_cvt_f32_i32_e32 v172, v176
	v_mov_b32_e32 v53, 0
	v_pk_fma_f32 v[0:1], v[4:5], v[0:1], v[2:3]
	v_mov_b32_e32 v174, 0
	v_pk_add_f32 v[72:73], v[72:73], v[0:1]
	ds_read_b128 v[0:3], v11 offset:4096
	ds_read_b128 v[4:7], v11 offset:4112
	ds_read2_b32 v[8:9], v10 offset0:128 offset1:160
	v_mov_b32_e32 v176, 0
	v_mov_b32_e32 v178, 0
	s_waitcnt lgkmcnt(2)
	v_dot4c_i32_i8_e32 v53, v18, v0
	v_dot4c_i32_i8_e32 v174, v23, v0
	;; [unrolled: 1-line block ×4, first 2 shown]
	s_waitcnt lgkmcnt(1)
	v_dot4c_i32_i8_e32 v53, v19, v4
	v_dot4c_i32_i8_e32 v174, v24, v4
	v_dot4c_i32_i8_e32 v176, v29, v4
	v_dot4c_i32_i8_e32 v178, v42, v4
	v_dot4c_i32_i8_e32 v53, v21, v1
	v_dot4c_i32_i8_e32 v174, v26, v1
	v_dot4c_i32_i8_e32 v176, v34, v1
	v_dot4c_i32_i8_e32 v178, v44, v1
	v_dot4c_i32_i8_e32 v53, v22, v5
	v_dot4c_i32_i8_e32 v174, v27, v5
	v_dot4c_i32_i8_e32 v176, v35, v5
	v_dot4c_i32_i8_e32 v178, v46, v5
	v_dot4c_i32_i8_e32 v53, v30, v2
	v_dot4c_i32_i8_e32 v174, v37, v2
	v_dot4c_i32_i8_e32 v176, v43, v2
	v_dot4c_i32_i8_e32 v178, v49, v2
	v_dot4c_i32_i8_e32 v53, v31, v6
	v_dot4c_i32_i8_e32 v174, v38, v6
	v_dot4c_i32_i8_e32 v176, v45, v6
	v_dot4c_i32_i8_e32 v178, v50, v6
	v_pk_add_f32 v[84:85], v[84:85], v[54:55]
	v_cvt_f32_f16_e32 v55, v169
	v_cvt_f32_f16_e32 v54, v177
	v_cvt_f32_f16_sdwa v171, v169 dst_sel:DWORD dst_unused:UNUSED_PAD src0_sel:WORD_1
	v_cvt_f32_f16_sdwa v170, v177 dst_sel:DWORD dst_unused:UNUSED_PAD src0_sel:WORD_1
	v_dot4c_i32_i8_e32 v53, v32, v3
	v_dot4c_i32_i8_e32 v174, v39, v3
	;; [unrolled: 1-line block ×8, first 2 shown]
	ds_read_b128 v[0:3], v11 offset:5120
	ds_read_b128 v[4:7], v11 offset:5136
	v_pk_fma_f32 v[54:55], v[172:173], v[54:55], v[170:171]
	v_mov_b32_e32 v172, 0
	s_waitcnt lgkmcnt(2)
	v_pk_mul_f16 v169, v17, v8
	s_waitcnt lgkmcnt(1)
	v_dot4c_i32_i8_e32 v172, v18, v0
	s_waitcnt lgkmcnt(0)
	v_dot4c_i32_i8_e32 v172, v19, v4
	v_dot4c_i32_i8_e32 v172, v21, v1
	;; [unrolled: 1-line block ×7, first 2 shown]
	v_pk_mul_f16 v170, v17, v9
	v_pk_add_f32 v[78:79], v[78:79], v[54:55]
	v_cvt_f32_f16_e32 v55, v170
	v_cvt_f32_i32_e32 v173, v172
	v_cvt_f32_i32_e32 v172, v53
	v_mov_b32_e32 v53, 0
	v_dot4c_i32_i8_e32 v53, v23, v0
	v_dot4c_i32_i8_e32 v53, v24, v4
	;; [unrolled: 1-line block ×4, first 2 shown]
	v_cvt_f32_f16_e32 v54, v169
	v_cvt_f32_f16_sdwa v171, v170 dst_sel:DWORD dst_unused:UNUSED_PAD src0_sel:WORD_1
	v_cvt_f32_f16_sdwa v170, v169 dst_sel:DWORD dst_unused:UNUSED_PAD src0_sel:WORD_1
	v_dot4c_i32_i8_e32 v53, v37, v2
	v_dot4c_i32_i8_e32 v53, v38, v6
	;; [unrolled: 1-line block ×4, first 2 shown]
	v_pk_fma_f32 v[54:55], v[172:173], v[54:55], v[170:171]
	v_pk_mul_f16 v175, v20, v8
	v_pk_mul_f16 v169, v20, v9
	v_cvt_f32_i32_e32 v173, v53
	v_mov_b32_e32 v53, 0
	v_dot4c_i32_i8_e32 v53, v28, v0
	v_dot4c_i32_i8_e32 v53, v29, v4
	v_dot4c_i32_i8_e32 v53, v34, v1
	v_dot4c_i32_i8_e32 v53, v35, v5
	v_pk_add_f32 v[70:71], v[70:71], v[54:55]
	v_cvt_f32_f16_e32 v55, v169
	v_cvt_f32_f16_e32 v54, v175
	v_cvt_f32_f16_sdwa v171, v169 dst_sel:DWORD dst_unused:UNUSED_PAD src0_sel:WORD_1
	v_cvt_f32_f16_sdwa v170, v175 dst_sel:DWORD dst_unused:UNUSED_PAD src0_sel:WORD_1
	v_cvt_f32_i32_e32 v172, v174
	v_dot4c_i32_i8_e32 v53, v43, v2
	v_dot4c_i32_i8_e32 v53, v45, v6
	v_dot4c_i32_i8_e32 v53, v47, v3
	v_dot4c_i32_i8_e32 v53, v48, v7
	v_pk_fma_f32 v[54:55], v[172:173], v[54:55], v[170:171]
	v_pk_mul_f16 v177, v25, v8
	v_pk_mul_f16 v8, v36, v8
	v_cvt_f32_i32_e32 v173, v53
	v_mov_b32_e32 v53, 0
	v_dot4c_i32_i8_e32 v53, v41, v0
	v_dot4c_i32_i8_e32 v53, v42, v4
	v_dot4c_i32_i8_e32 v53, v44, v1
	v_dot4c_i32_i8_e32 v53, v46, v5
	v_dot4c_i32_i8_e32 v53, v49, v2
	v_dot4c_i32_i8_e32 v53, v50, v6
	v_dot4c_i32_i8_e32 v53, v51, v3
	v_dot4c_i32_i8_e32 v53, v52, v7
	v_pk_mul_f16 v2, v36, v9
	v_cvt_f32_f16_e32 v0, v8
	v_cvt_f32_f16_e32 v1, v2
	v_cvt_f32_f16_sdwa v3, v2 dst_sel:DWORD dst_unused:UNUSED_PAD src0_sel:WORD_1
	v_cvt_f32_f16_sdwa v2, v8 dst_sel:DWORD dst_unused:UNUSED_PAD src0_sel:WORD_1
	v_cvt_f32_i32_e32 v5, v53
	v_cvt_f32_i32_e32 v4, v178
	v_pk_mul_f16 v169, v25, v9
	v_pk_add_f32 v[68:69], v[68:69], v[54:55]
	v_cvt_f32_f16_e32 v55, v169
	v_cvt_f32_f16_e32 v54, v177
	v_cvt_f32_f16_sdwa v171, v169 dst_sel:DWORD dst_unused:UNUSED_PAD src0_sel:WORD_1
	v_cvt_f32_f16_sdwa v170, v177 dst_sel:DWORD dst_unused:UNUSED_PAD src0_sel:WORD_1
	v_cvt_f32_i32_e32 v172, v176
	v_pk_fma_f32 v[0:1], v[4:5], v[0:1], v[2:3]
	v_mov_b32_e32 v53, 0
	v_pk_add_f32 v[64:65], v[64:65], v[0:1]
	ds_read_b128 v[0:3], v11 offset:6144
	ds_read_b128 v[4:7], v11 offset:6160
	ds_read2_b32 v[8:9], v10 offset0:192 offset1:224
	v_pk_fma_f32 v[54:55], v[172:173], v[54:55], v[170:171]
	v_mov_b32_e32 v170, 0
	v_pk_add_f32 v[66:67], v[66:67], v[54:55]
	v_mov_b32_e32 v55, 0
	v_mov_b32_e32 v172, 0
	s_waitcnt lgkmcnt(2)
	v_dot4c_i32_i8_e32 v53, v18, v0
	v_dot4c_i32_i8_e32 v55, v23, v0
	;; [unrolled: 1-line block ×4, first 2 shown]
	s_waitcnt lgkmcnt(1)
	v_dot4c_i32_i8_e32 v53, v19, v4
	v_dot4c_i32_i8_e32 v55, v24, v4
	;; [unrolled: 1-line block ×28, first 2 shown]
	ds_read_b128 v[0:3], v11 offset:7168
	ds_read_b128 v[4:7], v11 offset:7184
	v_mov_b32_e32 v173, 0
	s_waitcnt lgkmcnt(2)
	v_pk_mul_f16 v54, v17, v8
	v_pk_mul_f16 v17, v17, v9
	s_waitcnt lgkmcnt(1)
	v_dot4c_i32_i8_e32 v173, v18, v0
	s_waitcnt lgkmcnt(0)
	v_dot4c_i32_i8_e32 v173, v19, v4
	v_dot4c_i32_i8_e32 v173, v21, v1
	;; [unrolled: 1-line block ×5, first 2 shown]
	v_cvt_f32_f16_e32 v19, v17
	v_cvt_f32_f16_sdwa v31, v17 dst_sel:DWORD dst_unused:UNUSED_PAD src0_sel:WORD_1
	v_mov_b32_e32 v17, 0
	v_dot4c_i32_i8_e32 v17, v23, v0
	v_dot4c_i32_i8_e32 v17, v24, v4
	;; [unrolled: 1-line block ×10, first 2 shown]
	v_cvt_f32_f16_e32 v18, v54
	v_cvt_f32_f16_sdwa v30, v54 dst_sel:DWORD dst_unused:UNUSED_PAD src0_sel:WORD_1
	v_cvt_f32_i32_e32 v33, v173
	v_cvt_f32_i32_e32 v32, v53
	;; [unrolled: 1-line block ×3, first 2 shown]
	v_mov_b32_e32 v17, 0
	v_dot4c_i32_i8_e32 v17, v28, v0
	v_dot4c_i32_i8_e32 v17, v29, v4
	;; [unrolled: 1-line block ×3, first 2 shown]
	v_pk_mul_f16 v169, v20, v8
	v_pk_fma_f32 v[18:19], v[32:33], v[18:19], v[30:31]
	v_pk_mul_f16 v20, v20, v9
	v_dot4c_i32_i8_e32 v17, v35, v5
	v_pk_add_f32 v[62:63], v[62:63], v[18:19]
	v_cvt_f32_f16_e32 v19, v20
	v_cvt_f32_f16_e32 v18, v169
	v_cvt_f32_f16_sdwa v21, v20 dst_sel:DWORD dst_unused:UNUSED_PAD src0_sel:WORD_1
	v_cvt_f32_f16_sdwa v20, v169 dst_sel:DWORD dst_unused:UNUSED_PAD src0_sel:WORD_1
	v_cvt_f32_i32_e32 v22, v55
	v_dot4c_i32_i8_e32 v17, v43, v2
	v_dot4c_i32_i8_e32 v17, v45, v6
	;; [unrolled: 1-line block ×4, first 2 shown]
	v_pk_fma_f32 v[18:19], v[22:23], v[18:19], v[20:21]
	v_pk_mul_f16 v171, v25, v8
	v_pk_mul_f16 v8, v36, v8
	v_cvt_f32_i32_e32 v23, v17
	v_mov_b32_e32 v17, 0
	v_dot4c_i32_i8_e32 v17, v41, v0
	v_dot4c_i32_i8_e32 v17, v42, v4
	;; [unrolled: 1-line block ×7, first 2 shown]
	v_pk_mul_f16 v20, v25, v9
	v_dot4c_i32_i8_e32 v17, v52, v7
	v_pk_mul_f16 v2, v36, v9
	v_pk_add_f32 v[60:61], v[60:61], v[18:19]
	v_cvt_f32_f16_e32 v19, v20
	v_cvt_f32_f16_e32 v18, v171
	v_cvt_f32_f16_sdwa v21, v20 dst_sel:DWORD dst_unused:UNUSED_PAD src0_sel:WORD_1
	v_cvt_f32_f16_sdwa v20, v171 dst_sel:DWORD dst_unused:UNUSED_PAD src0_sel:WORD_1
	v_cvt_f32_i32_e32 v22, v170
	v_cvt_f32_f16_e32 v1, v2
	v_cvt_f32_f16_e32 v0, v8
	v_cvt_f32_f16_sdwa v3, v2 dst_sel:DWORD dst_unused:UNUSED_PAD src0_sel:WORD_1
	v_cvt_f32_f16_sdwa v2, v8 dst_sel:DWORD dst_unused:UNUSED_PAD src0_sel:WORD_1
	v_cvt_f32_i32_e32 v5, v17
	v_cvt_f32_i32_e32 v4, v172
	v_pk_fma_f32 v[18:19], v[22:23], v[18:19], v[20:21]
	s_add_i32 s0, s0, 4
	v_pk_add_f32 v[58:59], v[58:59], v[18:19]
	v_pk_fma_f32 v[0:1], v[4:5], v[0:1], v[2:3]
	v_add_u32_e32 v16, 16, v16
	v_pk_add_f32 v[56:57], v[56:57], v[0:1]
	v_add_u32_e32 v15, 4, v15
	v_add_u32_e32 v14, 4, v14
	;; [unrolled: 1-line block ×6, first 2 shown]
	s_cmp_lt_u32 s0, 28
	s_cbranch_scc1 .LBB120_12
; %bb.13:                               ;   in Loop: Header=BB120_7 Depth=1
	s_barrier
	s_branch .LBB120_6
.LBB120_14:
	v_mov_b32_e32 v1, v115
	v_cmp_gt_u32_e32 vcc, s10, v81
	s_and_saveexec_b64 s[0:1], vcc
	s_cbranch_execz .LBB120_3
.LBB120_15:
	v_add_u32_e32 v0, s4, v75
	v_mul_lo_u32 v5, v81, s14
	v_cmp_gt_u32_e32 vcc, s14, v0
	s_and_saveexec_b64 s[0:1], vcc
	s_cbranch_execz .LBB120_17
; %bb.16:
	v_add_u32_e32 v2, v0, v5
	v_mov_b32_e32 v3, 0
	s_waitcnt lgkmcnt(0)
	v_lshl_add_u64 v[2:3], v[2:3], 2, s[12:13]
	global_store_dword v[2:3], v120, off
.LBB120_17:
	s_or_b64 exec, exec, s[0:1]
	v_add_u32_e32 v2, 32, v0
	v_cmp_gt_u32_e64 s[0:1], s14, v2
	s_and_saveexec_b64 s[2:3], s[0:1]
	s_cbranch_execz .LBB120_19
; %bb.18:
	v_add_u32_e32 v6, v2, v5
	v_mov_b32_e32 v7, 0
	s_waitcnt lgkmcnt(0)
	v_lshl_add_u64 v[6:7], v[6:7], 2, s[12:13]
	global_store_dword v[6:7], v124, off
.LBB120_19:
	s_or_b64 exec, exec, s[2:3]
	v_add_u32_e32 v3, 64, v0
	v_cmp_gt_u32_e64 s[2:3], s14, v3
	s_and_saveexec_b64 s[4:5], s[2:3]
	;; [unrolled: 12-line block ×3, first 2 shown]
	s_cbranch_execz .LBB120_23
; %bb.22:
	v_add_u32_e32 v6, v4, v5
	v_mov_b32_e32 v7, 0
	s_waitcnt lgkmcnt(0)
	v_lshl_add_u64 v[6:7], v[6:7], 2, s[12:13]
	global_store_dword v[6:7], v116, off
.LBB120_23:
	s_or_b64 exec, exec, s[6:7]
	v_add3_u32 v5, v1, s15, 8
	v_cmp_gt_u32_e64 s[6:7], s10, v5
	s_and_b64 exec, exec, s[6:7]
	s_cbranch_execz .LBB120_3
; %bb.24:
	v_mul_lo_u32 v5, v5, s14
	s_and_saveexec_b64 s[6:7], vcc
	s_cbranch_execnz .LBB120_64
; %bb.25:
	s_or_b64 exec, exec, s[6:7]
	s_and_saveexec_b64 s[6:7], s[0:1]
	s_cbranch_execnz .LBB120_65
.LBB120_26:
	s_or_b64 exec, exec, s[6:7]
	s_and_saveexec_b64 s[6:7], s[2:3]
	s_cbranch_execnz .LBB120_66
.LBB120_27:
	s_or_b64 exec, exec, s[6:7]
	s_and_saveexec_b64 s[6:7], s[4:5]
	s_cbranch_execz .LBB120_29
.LBB120_28:
	v_add_u32_e32 v6, v5, v4
	v_mov_b32_e32 v7, 0
	s_waitcnt lgkmcnt(0)
	v_lshl_add_u64 v[6:7], v[6:7], 2, s[12:13]
	global_store_dword v[6:7], v117, off
.LBB120_29:
	s_or_b64 exec, exec, s[6:7]
	v_add3_u32 v5, v1, s15, 16
	v_cmp_gt_u32_e64 s[6:7], s10, v5
	s_and_b64 exec, exec, s[6:7]
	s_cbranch_execz .LBB120_3
; %bb.30:
	v_mul_lo_u32 v5, v5, s14
	s_and_saveexec_b64 s[6:7], vcc
	s_cbranch_execnz .LBB120_67
; %bb.31:
	s_or_b64 exec, exec, s[6:7]
	s_and_saveexec_b64 s[6:7], s[0:1]
	s_cbranch_execnz .LBB120_68
.LBB120_32:
	s_or_b64 exec, exec, s[6:7]
	s_and_saveexec_b64 s[6:7], s[2:3]
	s_cbranch_execnz .LBB120_69
.LBB120_33:
	s_or_b64 exec, exec, s[6:7]
	s_and_saveexec_b64 s[6:7], s[4:5]
	s_cbranch_execz .LBB120_35
.LBB120_34:
	v_add_u32_e32 v6, v5, v4
	v_mov_b32_e32 v7, 0
	s_waitcnt lgkmcnt(0)
	v_lshl_add_u64 v[6:7], v[6:7], 2, s[12:13]
	global_store_dword v[6:7], v72, off
.LBB120_35:
	s_or_b64 exec, exec, s[6:7]
	v_add3_u32 v5, v1, s15, 24
	v_cmp_gt_u32_e64 s[6:7], s10, v5
	s_and_b64 exec, exec, s[6:7]
	s_cbranch_execz .LBB120_3
; %bb.36:
	v_mul_lo_u32 v5, v5, s14
	s_and_saveexec_b64 s[6:7], vcc
	s_cbranch_execnz .LBB120_70
; %bb.37:
	s_or_b64 exec, exec, s[6:7]
	s_and_saveexec_b64 s[6:7], s[0:1]
	s_cbranch_execnz .LBB120_71
.LBB120_38:
	s_or_b64 exec, exec, s[6:7]
	s_and_saveexec_b64 s[6:7], s[2:3]
	s_cbranch_execnz .LBB120_72
.LBB120_39:
	s_or_b64 exec, exec, s[6:7]
	s_and_saveexec_b64 s[6:7], s[4:5]
	s_cbranch_execz .LBB120_41
.LBB120_40:
	v_add_u32_e32 v6, v5, v4
	v_mov_b32_e32 v7, 0
	s_waitcnt lgkmcnt(0)
	v_lshl_add_u64 v[6:7], v[6:7], 2, s[12:13]
	global_store_dword v[6:7], v73, off
.LBB120_41:
	s_or_b64 exec, exec, s[6:7]
	v_add3_u32 v5, v1, s15, 32
	v_cmp_gt_u32_e64 s[6:7], s10, v5
	s_and_b64 exec, exec, s[6:7]
	s_cbranch_execz .LBB120_3
; %bb.42:
	v_mul_lo_u32 v5, v5, s14
	s_and_saveexec_b64 s[6:7], vcc
	s_cbranch_execnz .LBB120_73
; %bb.43:
	s_or_b64 exec, exec, s[6:7]
	s_and_saveexec_b64 s[6:7], s[0:1]
	s_cbranch_execnz .LBB120_74
.LBB120_44:
	s_or_b64 exec, exec, s[6:7]
	s_and_saveexec_b64 s[6:7], s[2:3]
	s_cbranch_execnz .LBB120_75
.LBB120_45:
	s_or_b64 exec, exec, s[6:7]
	s_and_saveexec_b64 s[6:7], s[4:5]
	s_cbranch_execz .LBB120_47
.LBB120_46:
	v_add_u32_e32 v6, v5, v4
	v_mov_b32_e32 v7, 0
	s_waitcnt lgkmcnt(0)
	v_lshl_add_u64 v[6:7], v[6:7], 2, s[12:13]
	global_store_dword v[6:7], v64, off
.LBB120_47:
	s_or_b64 exec, exec, s[6:7]
	v_add3_u32 v5, v1, s15, 40
	v_cmp_gt_u32_e64 s[6:7], s10, v5
	s_and_b64 exec, exec, s[6:7]
	s_cbranch_execz .LBB120_3
; %bb.48:
	v_mul_lo_u32 v5, v5, s14
	s_and_saveexec_b64 s[6:7], vcc
	s_cbranch_execnz .LBB120_76
; %bb.49:
	s_or_b64 exec, exec, s[6:7]
	s_and_saveexec_b64 s[6:7], s[0:1]
	s_cbranch_execnz .LBB120_77
.LBB120_50:
	s_or_b64 exec, exec, s[6:7]
	s_and_saveexec_b64 s[6:7], s[2:3]
	s_cbranch_execnz .LBB120_78
.LBB120_51:
	s_or_b64 exec, exec, s[6:7]
	s_and_saveexec_b64 s[6:7], s[4:5]
	s_cbranch_execz .LBB120_53
.LBB120_52:
	v_add_u32_e32 v6, v5, v4
	v_mov_b32_e32 v7, 0
	s_waitcnt lgkmcnt(0)
	v_lshl_add_u64 v[6:7], v[6:7], 2, s[12:13]
	global_store_dword v[6:7], v65, off
.LBB120_53:
	s_or_b64 exec, exec, s[6:7]
	v_add3_u32 v5, v1, s15, 48
	v_cmp_gt_u32_e64 s[6:7], s10, v5
	s_and_b64 exec, exec, s[6:7]
	s_cbranch_execz .LBB120_3
; %bb.54:
	v_mul_lo_u32 v5, v5, s14
	s_and_saveexec_b64 s[6:7], vcc
	s_cbranch_execnz .LBB120_79
; %bb.55:
	s_or_b64 exec, exec, s[6:7]
	s_and_saveexec_b64 s[6:7], s[0:1]
	s_cbranch_execnz .LBB120_80
.LBB120_56:
	s_or_b64 exec, exec, s[6:7]
	s_and_saveexec_b64 s[6:7], s[2:3]
	s_cbranch_execnz .LBB120_81
.LBB120_57:
	s_or_b64 exec, exec, s[6:7]
	s_and_saveexec_b64 s[6:7], s[4:5]
	s_cbranch_execz .LBB120_59
.LBB120_58:
	v_add_u32_e32 v6, v5, v4
	v_mov_b32_e32 v7, 0
	s_waitcnt lgkmcnt(0)
	v_lshl_add_u64 v[6:7], v[6:7], 2, s[12:13]
	global_store_dword v[6:7], v56, off
.LBB120_59:
	s_or_b64 exec, exec, s[6:7]
	v_add3_u32 v1, v1, s15, 56
	v_cmp_gt_u32_e64 s[6:7], s10, v1
	s_and_b64 exec, exec, s[6:7]
	s_cbranch_execz .LBB120_3
; %bb.60:
	v_mul_lo_u32 v1, v1, s14
	s_and_saveexec_b64 s[6:7], vcc
	s_cbranch_execnz .LBB120_82
; %bb.61:
	s_or_b64 exec, exec, s[6:7]
	s_and_saveexec_b64 s[6:7], s[0:1]
	s_cbranch_execnz .LBB120_83
.LBB120_62:
	s_or_b64 exec, exec, s[6:7]
	s_and_saveexec_b64 s[0:1], s[2:3]
	s_cbranch_execnz .LBB120_84
.LBB120_63:
	s_or_b64 exec, exec, s[0:1]
	s_and_b64 exec, exec, s[4:5]
	s_cbranch_execz .LBB120_3
	s_branch .LBB120_85
.LBB120_64:
	v_add_u32_e32 v6, v5, v0
	v_mov_b32_e32 v7, 0
	s_waitcnt lgkmcnt(0)
	v_lshl_add_u64 v[6:7], v[6:7], 2, s[12:13]
	global_store_dword v[6:7], v121, off
	s_or_b64 exec, exec, s[6:7]
	s_and_saveexec_b64 s[6:7], s[0:1]
	s_cbranch_execz .LBB120_26
.LBB120_65:
	v_add_u32_e32 v6, v5, v2
	v_mov_b32_e32 v7, 0
	s_waitcnt lgkmcnt(0)
	v_lshl_add_u64 v[6:7], v[6:7], 2, s[12:13]
	global_store_dword v[6:7], v125, off
	s_or_b64 exec, exec, s[6:7]
	s_and_saveexec_b64 s[6:7], s[2:3]
	s_cbranch_execz .LBB120_27
.LBB120_66:
	v_add_u32_e32 v6, v5, v3
	v_mov_b32_e32 v7, 0
	s_waitcnt lgkmcnt(0)
	v_lshl_add_u64 v[6:7], v[6:7], 2, s[12:13]
	global_store_dword v[6:7], v119, off
	s_or_b64 exec, exec, s[6:7]
	s_and_saveexec_b64 s[6:7], s[4:5]
	s_cbranch_execnz .LBB120_28
	s_branch .LBB120_29
.LBB120_67:
	v_add_u32_e32 v6, v5, v0
	v_mov_b32_e32 v7, 0
	s_waitcnt lgkmcnt(0)
	v_lshl_add_u64 v[6:7], v[6:7], 2, s[12:13]
	global_store_dword v[6:7], v92, off
	s_or_b64 exec, exec, s[6:7]
	s_and_saveexec_b64 s[6:7], s[0:1]
	s_cbranch_execz .LBB120_32
.LBB120_68:
	v_add_u32_e32 v6, v5, v2
	v_mov_b32_e32 v7, 0
	s_waitcnt lgkmcnt(0)
	v_lshl_add_u64 v[6:7], v[6:7], 2, s[12:13]
	global_store_dword v[6:7], v84, off
	s_or_b64 exec, exec, s[6:7]
	s_and_saveexec_b64 s[6:7], s[2:3]
	s_cbranch_execz .LBB120_33
.LBB120_69:
	v_add_u32_e32 v6, v5, v3
	v_mov_b32_e32 v7, 0
	s_waitcnt lgkmcnt(0)
	v_lshl_add_u64 v[6:7], v[6:7], 2, s[12:13]
	global_store_dword v[6:7], v78, off
	s_or_b64 exec, exec, s[6:7]
	s_and_saveexec_b64 s[6:7], s[4:5]
	s_cbranch_execnz .LBB120_34
	s_branch .LBB120_35
.LBB120_70:
	v_add_u32_e32 v6, v5, v0
	v_mov_b32_e32 v7, 0
	s_waitcnt lgkmcnt(0)
	v_lshl_add_u64 v[6:7], v[6:7], 2, s[12:13]
	global_store_dword v[6:7], v93, off
	s_or_b64 exec, exec, s[6:7]
	s_and_saveexec_b64 s[6:7], s[0:1]
	s_cbranch_execz .LBB120_38
.LBB120_71:
	v_add_u32_e32 v6, v5, v2
	v_mov_b32_e32 v7, 0
	s_waitcnt lgkmcnt(0)
	v_lshl_add_u64 v[6:7], v[6:7], 2, s[12:13]
	global_store_dword v[6:7], v85, off
	s_or_b64 exec, exec, s[6:7]
	s_and_saveexec_b64 s[6:7], s[2:3]
	s_cbranch_execz .LBB120_39
.LBB120_72:
	v_add_u32_e32 v6, v5, v3
	v_mov_b32_e32 v7, 0
	s_waitcnt lgkmcnt(0)
	v_lshl_add_u64 v[6:7], v[6:7], 2, s[12:13]
	global_store_dword v[6:7], v79, off
	s_or_b64 exec, exec, s[6:7]
	s_and_saveexec_b64 s[6:7], s[4:5]
	s_cbranch_execnz .LBB120_40
	s_branch .LBB120_41
.LBB120_73:
	v_add_u32_e32 v6, v5, v0
	v_mov_b32_e32 v7, 0
	s_waitcnt lgkmcnt(0)
	v_lshl_add_u64 v[6:7], v[6:7], 2, s[12:13]
	global_store_dword v[6:7], v70, off
	s_or_b64 exec, exec, s[6:7]
	s_and_saveexec_b64 s[6:7], s[0:1]
	s_cbranch_execz .LBB120_44
.LBB120_74:
	v_add_u32_e32 v6, v5, v2
	v_mov_b32_e32 v7, 0
	s_waitcnt lgkmcnt(0)
	v_lshl_add_u64 v[6:7], v[6:7], 2, s[12:13]
	global_store_dword v[6:7], v68, off
	s_or_b64 exec, exec, s[6:7]
	s_and_saveexec_b64 s[6:7], s[2:3]
	s_cbranch_execz .LBB120_45
.LBB120_75:
	v_add_u32_e32 v6, v5, v3
	v_mov_b32_e32 v7, 0
	s_waitcnt lgkmcnt(0)
	v_lshl_add_u64 v[6:7], v[6:7], 2, s[12:13]
	global_store_dword v[6:7], v66, off
	s_or_b64 exec, exec, s[6:7]
	s_and_saveexec_b64 s[6:7], s[4:5]
	s_cbranch_execnz .LBB120_46
	s_branch .LBB120_47
.LBB120_76:
	v_add_u32_e32 v6, v5, v0
	v_mov_b32_e32 v7, 0
	s_waitcnt lgkmcnt(0)
	v_lshl_add_u64 v[6:7], v[6:7], 2, s[12:13]
	global_store_dword v[6:7], v71, off
	s_or_b64 exec, exec, s[6:7]
	s_and_saveexec_b64 s[6:7], s[0:1]
	s_cbranch_execz .LBB120_50
.LBB120_77:
	v_add_u32_e32 v6, v5, v2
	v_mov_b32_e32 v7, 0
	s_waitcnt lgkmcnt(0)
	v_lshl_add_u64 v[6:7], v[6:7], 2, s[12:13]
	global_store_dword v[6:7], v69, off
	s_or_b64 exec, exec, s[6:7]
	s_and_saveexec_b64 s[6:7], s[2:3]
	s_cbranch_execz .LBB120_51
.LBB120_78:
	v_add_u32_e32 v6, v5, v3
	v_mov_b32_e32 v7, 0
	s_waitcnt lgkmcnt(0)
	v_lshl_add_u64 v[6:7], v[6:7], 2, s[12:13]
	global_store_dword v[6:7], v67, off
	s_or_b64 exec, exec, s[6:7]
	s_and_saveexec_b64 s[6:7], s[4:5]
	s_cbranch_execnz .LBB120_52
	s_branch .LBB120_53
.LBB120_79:
	v_add_u32_e32 v6, v5, v0
	v_mov_b32_e32 v7, 0
	s_waitcnt lgkmcnt(0)
	v_lshl_add_u64 v[6:7], v[6:7], 2, s[12:13]
	global_store_dword v[6:7], v62, off
	s_or_b64 exec, exec, s[6:7]
	s_and_saveexec_b64 s[6:7], s[0:1]
	s_cbranch_execz .LBB120_56
.LBB120_80:
	v_add_u32_e32 v6, v5, v2
	v_mov_b32_e32 v7, 0
	s_waitcnt lgkmcnt(0)
	v_lshl_add_u64 v[6:7], v[6:7], 2, s[12:13]
	global_store_dword v[6:7], v60, off
	s_or_b64 exec, exec, s[6:7]
	s_and_saveexec_b64 s[6:7], s[2:3]
	s_cbranch_execz .LBB120_57
.LBB120_81:
	v_add_u32_e32 v6, v5, v3
	v_mov_b32_e32 v7, 0
	s_waitcnt lgkmcnt(0)
	v_lshl_add_u64 v[6:7], v[6:7], 2, s[12:13]
	global_store_dword v[6:7], v58, off
	s_or_b64 exec, exec, s[6:7]
	s_and_saveexec_b64 s[6:7], s[4:5]
	s_cbranch_execnz .LBB120_58
	s_branch .LBB120_59
.LBB120_82:
	v_add_u32_e32 v6, v1, v0
	v_mov_b32_e32 v7, 0
	s_waitcnt lgkmcnt(0)
	v_lshl_add_u64 v[6:7], v[6:7], 2, s[12:13]
	global_store_dword v[6:7], v63, off
	s_or_b64 exec, exec, s[6:7]
	s_and_saveexec_b64 s[6:7], s[0:1]
	s_cbranch_execz .LBB120_62
.LBB120_83:
	v_add_u32_e32 v6, v1, v2
	v_mov_b32_e32 v7, 0
	s_waitcnt lgkmcnt(0)
	v_lshl_add_u64 v[6:7], v[6:7], 2, s[12:13]
	global_store_dword v[6:7], v61, off
	s_or_b64 exec, exec, s[6:7]
	s_and_saveexec_b64 s[0:1], s[2:3]
	s_cbranch_execz .LBB120_63
.LBB120_84:
	v_add_u32_e32 v2, v1, v3
	v_mov_b32_e32 v3, 0
	s_waitcnt lgkmcnt(0)
	v_lshl_add_u64 v[2:3], v[2:3], 2, s[12:13]
	global_store_dword v[2:3], v59, off
	s_or_b64 exec, exec, s[0:1]
	s_and_b64 exec, exec, s[4:5]
	s_cbranch_execz .LBB120_3
.LBB120_85:
	v_add_u32_e32 v0, v1, v4
	v_mov_b32_e32 v1, 0
	s_waitcnt lgkmcnt(0)
	v_lshl_add_u64 v[0:1], v[0:1], 2, s[12:13]
	global_store_dword v[0:1], v57, off
	s_endpgm
	.section	.rodata,"a",@progbits
	.p2align	6, 0x0
	.amdhsa_kernel _ZL12mul_mat_q4_1IfLb1EEvPKvS1_PT_iiiii
		.amdhsa_group_segment_fixed_size 30336
		.amdhsa_private_segment_fixed_size 0
		.amdhsa_kernarg_size 44
		.amdhsa_user_sgpr_count 2
		.amdhsa_user_sgpr_dispatch_ptr 0
		.amdhsa_user_sgpr_queue_ptr 0
		.amdhsa_user_sgpr_kernarg_segment_ptr 1
		.amdhsa_user_sgpr_dispatch_id 0
		.amdhsa_user_sgpr_kernarg_preload_length 0
		.amdhsa_user_sgpr_kernarg_preload_offset 0
		.amdhsa_user_sgpr_private_segment_size 0
		.amdhsa_uses_dynamic_stack 0
		.amdhsa_enable_private_segment 0
		.amdhsa_system_sgpr_workgroup_id_x 1
		.amdhsa_system_sgpr_workgroup_id_y 1
		.amdhsa_system_sgpr_workgroup_id_z 0
		.amdhsa_system_sgpr_workgroup_info 0
		.amdhsa_system_vgpr_workitem_id 1
		.amdhsa_next_free_vgpr 251
		.amdhsa_next_free_sgpr 96
		.amdhsa_accum_offset 252
		.amdhsa_reserve_vcc 1
		.amdhsa_float_round_mode_32 0
		.amdhsa_float_round_mode_16_64 0
		.amdhsa_float_denorm_mode_32 3
		.amdhsa_float_denorm_mode_16_64 3
		.amdhsa_dx10_clamp 1
		.amdhsa_ieee_mode 1
		.amdhsa_fp16_overflow 0
		.amdhsa_tg_split 0
		.amdhsa_exception_fp_ieee_invalid_op 0
		.amdhsa_exception_fp_denorm_src 0
		.amdhsa_exception_fp_ieee_div_zero 0
		.amdhsa_exception_fp_ieee_overflow 0
		.amdhsa_exception_fp_ieee_underflow 0
		.amdhsa_exception_fp_ieee_inexact 0
		.amdhsa_exception_int_div_zero 0
	.end_amdhsa_kernel
	.section	.text._ZL12mul_mat_q4_1IfLb1EEvPKvS1_PT_iiiii,"axG",@progbits,_ZL12mul_mat_q4_1IfLb1EEvPKvS1_PT_iiiii,comdat
.Lfunc_end120:
	.size	_ZL12mul_mat_q4_1IfLb1EEvPKvS1_PT_iiiii, .Lfunc_end120-_ZL12mul_mat_q4_1IfLb1EEvPKvS1_PT_iiiii
                                        ; -- End function
	.set _ZL12mul_mat_q4_1IfLb1EEvPKvS1_PT_iiiii.num_vgpr, 251
	.set _ZL12mul_mat_q4_1IfLb1EEvPKvS1_PT_iiiii.num_agpr, 0
	.set _ZL12mul_mat_q4_1IfLb1EEvPKvS1_PT_iiiii.numbered_sgpr, 18
	.set _ZL12mul_mat_q4_1IfLb1EEvPKvS1_PT_iiiii.num_named_barrier, 0
	.set _ZL12mul_mat_q4_1IfLb1EEvPKvS1_PT_iiiii.private_seg_size, 0
	.set _ZL12mul_mat_q4_1IfLb1EEvPKvS1_PT_iiiii.uses_vcc, 1
	.set _ZL12mul_mat_q4_1IfLb1EEvPKvS1_PT_iiiii.uses_flat_scratch, 0
	.set _ZL12mul_mat_q4_1IfLb1EEvPKvS1_PT_iiiii.has_dyn_sized_stack, 0
	.set _ZL12mul_mat_q4_1IfLb1EEvPKvS1_PT_iiiii.has_recursion, 0
	.set _ZL12mul_mat_q4_1IfLb1EEvPKvS1_PT_iiiii.has_indirect_call, 0
	.section	.AMDGPU.csdata,"",@progbits
; Kernel info:
; codeLenInByte = 10680
; TotalNumSgprs: 24
; NumVgprs: 251
; NumAgprs: 0
; TotalNumVgprs: 251
; ScratchSize: 0
; MemoryBound: 0
; FloatMode: 240
; IeeeMode: 1
; LDSByteSize: 30336 bytes/workgroup (compile time only)
; SGPRBlocks: 12
; VGPRBlocks: 31
; NumSGPRsForWavesPerEU: 102
; NumVGPRsForWavesPerEU: 251
; AccumOffset: 252
; Occupancy: 2
; WaveLimiterHint : 0
; COMPUTE_PGM_RSRC2:SCRATCH_EN: 0
; COMPUTE_PGM_RSRC2:USER_SGPR: 2
; COMPUTE_PGM_RSRC2:TRAP_HANDLER: 0
; COMPUTE_PGM_RSRC2:TGID_X_EN: 1
; COMPUTE_PGM_RSRC2:TGID_Y_EN: 1
; COMPUTE_PGM_RSRC2:TGID_Z_EN: 0
; COMPUTE_PGM_RSRC2:TIDIG_COMP_CNT: 1
; COMPUTE_PGM_RSRC3_GFX90A:ACCUM_OFFSET: 62
; COMPUTE_PGM_RSRC3_GFX90A:TG_SPLIT: 0
	.section	.text._ZL12mul_mat_q5_0IfLb0EEvPKvS1_PT_iiiii,"axG",@progbits,_ZL12mul_mat_q5_0IfLb0EEvPKvS1_PT_iiiii,comdat
	.globl	_ZL12mul_mat_q5_0IfLb0EEvPKvS1_PT_iiiii ; -- Begin function _ZL12mul_mat_q5_0IfLb0EEvPKvS1_PT_iiiii
	.p2align	8
	.type	_ZL12mul_mat_q5_0IfLb0EEvPKvS1_PT_iiiii,@function
_ZL12mul_mat_q5_0IfLb0EEvPKvS1_PT_iiiii: ; @_ZL12mul_mat_q5_0IfLb0EEvPKvS1_PT_iiiii
; %bb.0:
	s_load_dword s6, s[0:1], 0x18
	s_load_dwordx4 s[8:11], s[0:1], 0x20
	s_waitcnt lgkmcnt(0)
	s_lshl_b32 s11, s3, 6
	v_bfe_u32 v77, v0, 10, 10
	s_cmp_gt_i32 s6, 31
	s_cbranch_scc1 .LBB121_4
; %bb.1:
	v_bfe_u32 v1, v0, 10, 10
	v_and_b32_e32 v73, 0x3ff, v0
	v_add_u32_e32 v79, s11, v1
	s_load_dwordx2 s[12:13], s[0:1], 0x10
	s_lshl_b32 s4, s2, 7
	s_cbranch_execz .LBB121_5
; %bb.2:
	v_mov_b32_e32 v48, 0
	v_mov_b32_e32 v49, v48
	v_mov_b64_e32 v[56:57], v[48:49]
	v_mov_b64_e32 v[64:65], v[48:49]
	;; [unrolled: 1-line block ×15, first 2 shown]
	v_cmp_gt_u32_e32 vcc, s8, v79
	s_and_saveexec_b64 s[0:1], vcc
	s_cbranch_execnz .LBB121_15
.LBB121_3:
	s_endpgm
.LBB121_4:
                                        ; implicit-def: $vgpr1
                                        ; implicit-def: $vgpr73
                                        ; implicit-def: $vgpr79
	s_load_dwordx2 s[12:13], s[0:1], 0x10
	s_lshl_b32 s4, s2, 7
.LBB121_5:
	s_ashr_i32 s5, s6, 31
	s_lshr_b32 s5, s5, 27
	s_load_dwordx4 s[0:3], s[0:1], 0x0
	s_add_i32 s14, s6, s5
	s_ashr_i32 s6, s9, 31
	s_lshr_b32 s6, s6, 27
	s_ashr_i32 s5, s14, 5
	s_add_i32 s6, s9, s6
	s_ashr_i32 s15, s6, 5
	s_mul_i32 s6, s5, s4
	s_mul_hi_i32 s7, s6, 22
	s_mul_i32 s6, s6, 22
	s_waitcnt lgkmcnt(0)
	s_add_u32 s6, s0, s6
	s_addc_u32 s7, s1, s7
	v_mul_lo_u32 v76, s5, v77
	s_lshl_b32 s0, s5, 3
	v_add_u32_e32 v78, s0, v76
	v_add_u32_e32 v80, s0, v78
	;; [unrolled: 1-line block ×11, first 2 shown]
	v_and_b32_e32 v73, 0x3ff, v0
	v_add_u32_e32 v108, s0, v104
	v_lshlrev_b32_e32 v1, 3, v73
	s_movk_i32 s16, 0x104
	v_add_u32_e32 v110, s0, v108
	v_bfe_u32 v121, v0, 3, 7
	v_mad_u32_u24 v81, v77, s16, v1
	v_add_u32_e32 v112, s0, v110
	v_and_b32_e32 v116, 7, v0
	v_lshl_add_u32 v1, v77, 2, v121
	v_add_u32_e32 v114, s0, v112
	v_and_b32_e32 v3, 0x7fc, v1
	v_lshlrev_b32_e32 v4, 2, v116
	s_mov_b32 s0, 0xa200
	v_add3_u32 v8, v3, v4, s0
	v_add_u32_e32 v3, 32, v1
	v_mul_lo_u32 v118, s5, v1
	v_lshlrev_b32_e32 v9, 5, v1
	v_and_b32_e32 v5, 0xffc, v3
	v_lshlrev_b32_e32 v11, 5, v3
	v_add_u32_e32 v3, 64, v1
	v_add_u32_e32 v1, 0x60, v1
	v_add3_u32 v10, v5, v4, s0
	v_and_b32_e32 v5, 0xffc, v3
	v_lshlrev_b32_e32 v13, 5, v3
	v_and_b32_e32 v3, 0xffc, v1
	v_bfe_u32 v72, v0, 2, 8
	v_add3_u32 v14, v3, v4, s0
	v_and_b32_e32 v3, 31, v0
	v_mov_b32_e32 v15, 0x8200
	v_lshl_or_b32 v123, v3, 2, v15
	v_lshl_add_u32 v3, v77, 3, v72
	v_and_b32_e32 v3, 63, v3
	v_and_b32_e32 v2, 3, v0
	v_add3_u32 v12, v5, v4, s0
	s_add_i32 s0, s8, -1
	v_or_b32_e32 v15, s11, v3
	v_lshlrev_b32_e32 v74, 2, v2
	v_min_i32_e32 v15, s0, v15
	v_add_u32_e32 v79, s11, v77
	v_cvt_f64_i32_e32 v[4:5], s0
	v_mad_u64_u32 v[126:127], s[0:1], v15, s15, v[2:3]
	v_lshl_or_b32 v2, v3, 4, v74
	v_add_u32_e32 v125, 0xb280, v2
	v_cvt_f64_u32_e32 v[2:3], v79
	v_min_f64 v[2:3], v[2:3], v[4:5]
	v_cvt_i32_f64_e32 v2, v[2:3]
	v_mul_lo_u32 v127, s15, v2
	v_add_u32_e32 v2, 8, v79
	v_cvt_f64_u32_e32 v[2:3], v2
	v_min_f64 v[2:3], v[2:3], v[4:5]
	v_cvt_i32_f64_e32 v2, v[2:3]
	v_mul_lo_u32 v186, s15, v2
	;; [unrolled: 5-line block ×7, first 2 shown]
	v_add_u32_e32 v2, 56, v79
	v_mov_b32_e32 v75, 0
	v_lshlrev_b32_e32 v6, 2, v73
	v_cvt_f64_u32_e32 v[2:3], v2
	v_and_b32_e32 v6, 28, v6
	v_mov_b32_e32 v7, v75
	v_min_f64 v[2:3], v[2:3], v[4:5]
	s_andn2_b32 s14, s14, 31
	v_cvt_i32_f64_e32 v2, v[2:3]
	v_add_u32_e32 v3, 32, v73
	v_add_u32_e32 v4, 64, v73
	;; [unrolled: 1-line block ×3, first 2 shown]
	v_lshl_add_u64 v[128:129], s[2:3], 0, v[6:7]
	v_lshlrev_b32_e32 v6, 5, v73
	v_and_b32_e32 v0, 0xfc, v0
	v_add_u32_e32 v120, s14, v118
	v_lshlrev_b32_e32 v147, 7, v77
	v_lshrrev_b32_e32 v194, 3, v3
	v_and_b32_e32 v5, 0x1fc, v5
	v_and_b32_e32 v4, 0x1fc, v4
	;; [unrolled: 1-line block ×3, first 2 shown]
	v_add_u32_e32 v0, v6, v0
	v_add_u32_e32 v122, s14, v120
	v_lshlrev_b32_e32 v1, 5, v1
	v_add_u32_e32 v15, 0x400, v147
	v_add_u32_e32 v16, 0x800, v147
	;; [unrolled: 1-line block ×6, first 2 shown]
	v_mul_lo_u32 v192, s15, v2
	v_add_u32_e32 v2, 0x1c00, v147
	v_add_u32_e32 v5, v6, v5
	;; [unrolled: 1-line block ×5, first 2 shown]
	v_mov_b32_e32 v6, 0xb280
	v_add_u32_e32 v204, 0xa210, v0
	v_mov_b32_e32 v0, 0x80
	v_mov_b32_e32 v102, v75
	;; [unrolled: 1-line block ×3, first 2 shown]
	v_add_u32_e32 v85, 0x820, v81
	v_add_u32_e32 v87, 0x1040, v81
	;; [unrolled: 1-line block ×16, first 2 shown]
	s_add_i32 s9, s5, 3
	v_mul_u32_u24_e32 v193, 0x104, v73
	v_add_u32_e32 v195, 0xae00, v5
	v_add_u32_e32 v196, 0xaa00, v4
	;; [unrolled: 1-line block ×3, first 2 shown]
	v_lshl_add_u32 v199, v77, 4, v6
	v_add_u32_e32 v200, 0x8200, v147
	v_add_u32_e32 v201, 0xae10, v5
	;; [unrolled: 1-line block ×4, first 2 shown]
	v_mad_u32_u24 v205, v73, s16, v0
	s_mov_b32 s14, 0
	s_movk_i32 s15, 0x1f00
	s_mov_b32 s16, 0xc0c0105
	v_add_u32_e32 v206, v8, v9
	v_add_u32_e32 v207, v10, v11
	;; [unrolled: 1-line block ×4, first 2 shown]
	v_mov_b32_e32 v210, 8
	v_add_u32_e32 v211, v123, v15
	v_add_u32_e32 v212, v123, v16
	;; [unrolled: 1-line block ×7, first 2 shown]
	v_mov_b64_e32 v[70:71], v[102:103]
	v_mov_b64_e32 v[62:63], v[102:103]
	v_mov_b64_e32 v[54:55], v[102:103]
	v_mov_b64_e32 v[106:107], v[102:103]
	v_mov_b64_e32 v[68:69], v[102:103]
	v_mov_b64_e32 v[60:61], v[102:103]
	v_mov_b64_e32 v[52:53], v[102:103]
	v_mov_b64_e32 v[94:95], v[102:103]
	v_mov_b64_e32 v[66:67], v[102:103]
	v_mov_b64_e32 v[58:59], v[102:103]
	v_mov_b64_e32 v[50:51], v[102:103]
	v_mov_b64_e32 v[82:83], v[102:103]
	v_mov_b64_e32 v[64:65], v[102:103]
	v_mov_b64_e32 v[56:57], v[102:103]
	v_mov_b64_e32 v[48:49], v[102:103]
	s_branch .LBB121_7
.LBB121_6:                              ;   in Loop: Header=BB121_7 Depth=1
	s_add_i32 s14, s14, 8
	s_add_i32 s9, s9, -8
	s_cmp_ge_i32 s14, s5
	s_cbranch_scc1 .LBB121_14
.LBB121_7:                              ; =>This Loop Header: Depth=1
                                        ;     Child Loop BB121_9 Depth 2
                                        ;     Child Loop BB121_12 Depth 2
	s_mul_i32 s0, s14, 22
	s_mul_hi_u32 s1, s14, 22
	s_add_u32 s0, s6, s0
	s_addc_u32 s1, s7, s1
	v_mad_u64_u32 v[0:1], s[18:19], v72, 22, s[0:1]
	v_mad_u64_u32 v[2:3], s[18:19], v76, 22, v[0:1]
	;; [unrolled: 1-line block ×3, first 2 shown]
	v_lshl_add_u64 v[4:5], v[2:3], 0, v[74:75]
	v_mad_u64_u32 v[6:7], s[18:19], v78, 22, v[0:1]
	v_mad_u64_u32 v[8:9], s[18:19], v80, 22, v[0:1]
	global_load_dword v18, v[10:11], off offset:2
	global_load_dword v12, v[8:9], off offset:2
	;; [unrolled: 1-line block ×5, first 2 shown]
	v_lshl_add_u64 v[2:3], v[6:7], 0, v[74:75]
	global_load_dword v6, v[2:3], off offset:6
	v_lshl_add_u64 v[2:3], v[8:9], 0, v[74:75]
	v_lshl_add_u64 v[4:5], v[10:11], 0, v[74:75]
	global_load_dword v19, v[2:3], off offset:6
	global_load_dword v20, v[4:5], off offset:6
	s_cmp_gt_u32 s9, 3
	s_waitcnt vmcnt(5)
	v_ashrrev_i32_e32 v5, v74, v13
	s_waitcnt vmcnt(4)
	v_ashrrev_i32_e32 v2, v74, v14
	s_waitcnt vmcnt(3)
	v_lshrrev_b32_e32 v4, 4, v15
	v_lshlrev_b32_e32 v8, 4, v2
	v_lshlrev_b32_e32 v9, 11, v2
	;; [unrolled: 1-line block ×4, first 2 shown]
	v_lshrrev_b32_e32 v13, 12, v2
	v_lshrrev_b32_e32 v14, 5, v2
	v_and_b32_e32 v3, 0xf0f0f0f, v15
	v_and_b32_e32 v4, 0xf0f0f0f, v4
	;; [unrolled: 1-line block ×8, first 2 shown]
	v_lshlrev_b32_e32 v15, 2, v2
	v_lshlrev_b32_e32 v2, 9, v2
	v_or3_b32 v8, v8, v3, v9
	v_or3_b32 v3, v3, v10, v11
	;; [unrolled: 1-line block ×3, first 2 shown]
	v_and_b32_e32 v15, 0x100000, v15
	v_and_b32_e32 v2, 0x10000000, v2
	;; [unrolled: 1-line block ×3, first 2 shown]
	v_lshlrev_b16_e32 v8, 8, v8
	v_and_b32_sdwa v11, v3, s15 dst_sel:DWORD dst_unused:UNUSED_PAD src0_sel:WORD_1 src1_sel:DWORD
	v_lshlrev_b16_sdwa v3, v210, v3 dst_sel:DWORD dst_unused:UNUSED_PAD src0_sel:DWORD src1_sel:WORD_1
	v_lshlrev_b16_e32 v14, 8, v9
	v_or3_b32 v2, v4, v15, v2
	v_add_u16_e32 v10, 0xf000, v10
	v_add_u16_e32 v8, 0xf000, v8
	;; [unrolled: 1-line block ×5, first 2 shown]
	v_and_b32_sdwa v13, v2, s15 dst_sel:DWORD dst_unused:UNUSED_PAD src0_sel:WORD_1 src1_sel:DWORD
	v_lshlrev_b16_sdwa v2, v210, v2 dst_sel:DWORD dst_unused:UNUSED_PAD src0_sel:DWORD src1_sel:WORD_1
	v_perm_b32 v8, v8, v10, s16
	v_perm_b32 v3, v3, v11, s16
	v_lshrrev_b16_e32 v10, 8, v14
	v_add_u16_e32 v13, 0xf000, v13
	v_add_u16_e32 v2, 0xf000, v2
	v_lshl_or_b32 v3, v3, 16, v8
	v_bitop3_b16 v8, v9, v10, s15 bitop3:0xec
	v_perm_b32 v2, v2, v13, s16
	v_add_u16_e32 v8, 0xf000, v8
	s_waitcnt vmcnt(2)
	v_and_b32_e32 v7, 0xf0f0f0f, v6
	v_lshrrev_b32_e32 v6, 4, v6
	v_lshl_or_b32 v2, v2, 16, v8
	ds_write2_b32 v81, v3, v2 offset1:1
	v_and_b32_e32 v2, 0xf0f0f0f, v6
	v_lshrrev_b32_e32 v3, 12, v5
	v_lshrrev_b32_e32 v6, 5, v5
	v_lshlrev_b32_e32 v16, 4, v5
	v_lshlrev_b32_e32 v17, 11, v5
	v_and_b32_e32 v3, 16, v3
	v_and_b32_e32 v6, 0x1000, v6
	v_lshlrev_b32_e32 v21, 18, v5
	v_lshlrev_b32_e32 v22, 25, v5
	v_and_b32_e32 v16, 16, v16
	v_and_b32_e32 v17, 0x1000, v17
	v_or3_b32 v3, v3, v2, v6
	v_lshlrev_b32_e32 v6, 2, v5
	v_lshlrev_b32_e32 v5, 9, v5
	v_or3_b32 v4, v16, v7, v17
	v_and_b32_e32 v6, 0x100000, v6
	v_and_b32_e32 v5, 0x10000000, v5
	;; [unrolled: 1-line block ×4, first 2 shown]
	v_lshlrev_b16_e32 v16, 8, v4
	v_or3_b32 v2, v2, v6, v5
	v_and_b32_e32 v5, 0x1f00, v3
	v_lshlrev_b16_e32 v3, 8, v3
	v_or3_b32 v7, v7, v21, v22
	v_add_u16_e32 v16, 0xf000, v16
	v_add_u16_e32 v5, 0xf000, v5
	;; [unrolled: 1-line block ×3, first 2 shown]
	v_and_b32_sdwa v15, v7, s15 dst_sel:DWORD dst_unused:UNUSED_PAD src0_sel:WORD_1 src1_sel:DWORD
	v_lshlrev_b16_sdwa v7, v210, v7 dst_sel:DWORD dst_unused:UNUSED_PAD src0_sel:DWORD src1_sel:WORD_1
	v_lshrrev_b16_e32 v11, 8, v16
	v_perm_b32 v3, v3, v5, s16
	v_and_b32_sdwa v5, v2, s15 dst_sel:DWORD dst_unused:UNUSED_PAD src0_sel:WORD_1 src1_sel:DWORD
	v_lshlrev_b16_sdwa v2, v210, v2 dst_sel:DWORD dst_unused:UNUSED_PAD src0_sel:DWORD src1_sel:WORD_1
	v_add_u16_e32 v15, 0xf000, v15
	v_add_u16_e32 v7, 0xf000, v7
	v_bitop3_b16 v4, v4, v11, s15 bitop3:0xec
	v_add_u16_e32 v5, 0xf000, v5
	v_add_u16_e32 v2, 0xf000, v2
	v_perm_b32 v7, v7, v15, s16
	v_add_u16_e32 v4, 0xf000, v4
	v_perm_b32 v2, v2, v5, s16
	v_lshl_or_b32 v4, v7, 16, v4
	v_lshl_or_b32 v2, v2, 16, v3
	v_ashrrev_i32_e32 v21, v74, v12
	ds_write2_b32 v85, v4, v2 offset1:1
	v_lshlrev_b32_e32 v3, 4, v21
	v_lshlrev_b32_e32 v4, 11, v21
	s_waitcnt vmcnt(1)
	v_and_b32_e32 v2, 0xf0f0f0f, v19
	v_and_b32_e32 v3, 16, v3
	;; [unrolled: 1-line block ×3, first 2 shown]
	v_or3_b32 v22, v3, v2, v4
	v_lshlrev_b32_e32 v3, 18, v21
	v_lshlrev_b32_e32 v4, 25, v21
	v_and_b32_e32 v3, 0x100000, v3
	v_and_b32_e32 v4, 0x10000000, v4
	v_or3_b32 v2, v2, v3, v4
	v_and_b32_sdwa v3, v2, s15 dst_sel:DWORD dst_unused:UNUSED_PAD src0_sel:WORD_1 src1_sel:DWORD
	v_add_u16_e32 v23, 0xf000, v3
	v_lshlrev_b16_sdwa v24, v210, v2 dst_sel:DWORD dst_unused:UNUSED_PAD src0_sel:DWORD src1_sel:WORD_1
	v_mad_u64_u32 v[2:3], s[18:19], v86, 22, v[0:1]
	v_mad_u64_u32 v[6:7], s[18:19], v88, 22, v[0:1]
	v_lshl_add_u64 v[4:5], v[2:3], 0, v[74:75]
	v_lshl_add_u64 v[8:9], v[6:7], 0, v[74:75]
	v_mad_u64_u32 v[10:11], s[18:19], v90, 22, v[0:1]
	v_mad_u64_u32 v[14:15], s[18:19], v92, 22, v[0:1]
	v_lshl_add_u64 v[12:13], v[10:11], 0, v[74:75]
	v_lshl_add_u64 v[16:17], v[14:15], 0, v[74:75]
	global_load_dword v4, v[4:5], off offset:6
	s_nop 0
	global_load_dword v5, v[8:9], off offset:6
	global_load_dword v25, v[12:13], off offset:6
	;; [unrolled: 1-line block ×4, first 2 shown]
	s_nop 0
	global_load_dword v8, v[10:11], off offset:2
	s_nop 0
	global_load_dword v6, v[6:7], off offset:2
	;; [unrolled: 2-line block ×3, first 2 shown]
	v_lshlrev_b16_e32 v7, 8, v22
	v_add_u16_e32 v7, 0xf000, v7
	v_lshrrev_b16_e32 v7, 8, v7
	v_add_u16_e32 v3, 0xf000, v24
	v_bitop3_b16 v7, v22, v7, s15 bitop3:0xec
	v_perm_b32 v3, v3, v23, s16
	v_add_u16_e32 v7, 0xf000, v7
	v_lshl_or_b32 v3, v3, 16, v7
	v_lshrrev_b32_e32 v7, 4, v19
	v_lshrrev_b32_e32 v9, 12, v21
	;; [unrolled: 1-line block ×3, first 2 shown]
	v_and_b32_e32 v7, 0xf0f0f0f, v7
	v_and_b32_e32 v9, 16, v9
	;; [unrolled: 1-line block ×3, first 2 shown]
	v_or3_b32 v9, v9, v7, v10
	v_lshlrev_b32_e32 v10, 2, v21
	v_lshlrev_b32_e32 v11, 9, v21
	v_and_b32_e32 v10, 0x100000, v10
	v_and_b32_e32 v11, 0x10000000, v11
	v_or3_b32 v7, v7, v10, v11
	v_and_b32_e32 v10, 0x1f00, v9
	v_lshlrev_b16_e32 v9, 8, v9
	v_add_u16_e32 v10, 0xf000, v10
	v_add_u16_e32 v9, 0xf000, v9
	v_perm_b32 v9, v9, v10, s16
	v_and_b32_sdwa v10, v7, s15 dst_sel:DWORD dst_unused:UNUSED_PAD src0_sel:WORD_1 src1_sel:DWORD
	v_lshlrev_b16_sdwa v7, v210, v7 dst_sel:DWORD dst_unused:UNUSED_PAD src0_sel:DWORD src1_sel:WORD_1
	v_add_u16_e32 v10, 0xf000, v10
	v_add_u16_e32 v7, 0xf000, v7
	v_perm_b32 v7, v7, v10, s16
	v_lshl_or_b32 v7, v7, 16, v9
	ds_write2_b32 v87, v3, v7 offset1:1
	v_ashrrev_i32_e32 v3, v74, v18
	v_lshlrev_b32_e32 v9, 4, v3
	v_lshlrev_b32_e32 v10, 11, v3
	s_waitcnt vmcnt(8)
	v_and_b32_e32 v7, 0xf0f0f0f, v20
	v_and_b32_e32 v9, 16, v9
	;; [unrolled: 1-line block ×3, first 2 shown]
	v_or3_b32 v9, v9, v7, v10
	v_lshlrev_b32_e32 v10, 18, v3
	v_lshlrev_b32_e32 v11, 25, v3
	v_and_b32_e32 v10, 0x100000, v10
	v_and_b32_e32 v11, 0x10000000, v11
	v_or3_b32 v7, v7, v10, v11
	v_and_b32_sdwa v10, v7, s15 dst_sel:DWORD dst_unused:UNUSED_PAD src0_sel:WORD_1 src1_sel:DWORD
	v_lshlrev_b16_sdwa v7, v210, v7 dst_sel:DWORD dst_unused:UNUSED_PAD src0_sel:DWORD src1_sel:WORD_1
	v_add_u16_e32 v10, 0xf000, v10
	v_add_u16_e32 v7, 0xf000, v7
	v_perm_b32 v7, v7, v10, s16
	v_lshlrev_b16_e32 v10, 8, v9
	v_add_u16_e32 v10, 0xf000, v10
	v_lshrrev_b16_e32 v10, 8, v10
	v_bitop3_b16 v9, v9, v10, s15 bitop3:0xec
	v_add_u16_e32 v9, 0xf000, v9
	v_lshl_or_b32 v7, v7, 16, v9
	v_lshrrev_b32_e32 v9, 4, v20
	v_lshrrev_b32_e32 v10, 12, v3
	;; [unrolled: 1-line block ×3, first 2 shown]
	v_and_b32_e32 v9, 0xf0f0f0f, v9
	v_and_b32_e32 v10, 16, v10
	;; [unrolled: 1-line block ×3, first 2 shown]
	v_or3_b32 v10, v10, v9, v11
	v_lshlrev_b32_e32 v11, 2, v3
	v_lshlrev_b32_e32 v3, 9, v3
	v_and_b32_e32 v11, 0x100000, v11
	v_and_b32_e32 v3, 0x10000000, v3
	v_or3_b32 v3, v9, v11, v3
	v_and_b32_e32 v9, 0x1f00, v10
	v_lshlrev_b16_e32 v10, 8, v10
	v_add_u16_e32 v9, 0xf000, v9
	v_add_u16_e32 v10, 0xf000, v10
	v_perm_b32 v9, v10, v9, s16
	v_and_b32_sdwa v10, v3, s15 dst_sel:DWORD dst_unused:UNUSED_PAD src0_sel:WORD_1 src1_sel:DWORD
	v_lshlrev_b16_sdwa v3, v210, v3 dst_sel:DWORD dst_unused:UNUSED_PAD src0_sel:DWORD src1_sel:WORD_1
	v_add_u16_e32 v10, 0xf000, v10
	v_add_u16_e32 v3, 0xf000, v3
	v_perm_b32 v3, v3, v10, s16
	v_lshl_or_b32 v3, v3, 16, v9
	ds_write2_b32 v89, v7, v3 offset1:1
	s_waitcnt vmcnt(0)
	v_ashrrev_i32_e32 v2, v74, v2
	v_lshlrev_b32_e32 v7, 4, v2
	v_lshlrev_b32_e32 v9, 11, v2
	v_and_b32_e32 v3, 0xf0f0f0f, v4
	v_and_b32_e32 v7, 16, v7
	;; [unrolled: 1-line block ×3, first 2 shown]
	v_or3_b32 v7, v7, v3, v9
	v_lshlrev_b32_e32 v9, 18, v2
	v_lshlrev_b32_e32 v10, 25, v2
	v_and_b32_e32 v9, 0x100000, v9
	v_and_b32_e32 v10, 0x10000000, v10
	v_or3_b32 v3, v3, v9, v10
	v_and_b32_sdwa v9, v3, s15 dst_sel:DWORD dst_unused:UNUSED_PAD src0_sel:WORD_1 src1_sel:DWORD
	v_lshlrev_b16_sdwa v3, v210, v3 dst_sel:DWORD dst_unused:UNUSED_PAD src0_sel:DWORD src1_sel:WORD_1
	v_add_u16_e32 v9, 0xf000, v9
	v_add_u16_e32 v3, 0xf000, v3
	v_perm_b32 v3, v3, v9, s16
	v_lshlrev_b16_e32 v9, 8, v7
	v_add_u16_e32 v9, 0xf000, v9
	v_lshrrev_b16_e32 v9, 8, v9
	v_bitop3_b16 v7, v7, v9, s15 bitop3:0xec
	v_add_u16_e32 v7, 0xf000, v7
	v_lshl_or_b32 v3, v3, 16, v7
	v_lshrrev_b32_e32 v4, 4, v4
	v_lshrrev_b32_e32 v7, 12, v2
	;; [unrolled: 1-line block ×3, first 2 shown]
	v_and_b32_e32 v4, 0xf0f0f0f, v4
	v_and_b32_e32 v7, 16, v7
	;; [unrolled: 1-line block ×3, first 2 shown]
	v_or3_b32 v7, v7, v4, v9
	v_lshlrev_b32_e32 v9, 2, v2
	v_lshlrev_b32_e32 v2, 9, v2
	v_and_b32_e32 v9, 0x100000, v9
	v_and_b32_e32 v2, 0x10000000, v2
	v_or3_b32 v2, v4, v9, v2
	v_and_b32_e32 v4, 0x1f00, v7
	v_lshlrev_b16_e32 v7, 8, v7
	v_add_u16_e32 v4, 0xf000, v4
	v_add_u16_e32 v7, 0xf000, v7
	v_perm_b32 v4, v7, v4, s16
	v_and_b32_sdwa v7, v2, s15 dst_sel:DWORD dst_unused:UNUSED_PAD src0_sel:WORD_1 src1_sel:DWORD
	v_lshlrev_b16_sdwa v2, v210, v2 dst_sel:DWORD dst_unused:UNUSED_PAD src0_sel:DWORD src1_sel:WORD_1
	v_add_u16_e32 v7, 0xf000, v7
	v_add_u16_e32 v2, 0xf000, v2
	v_perm_b32 v2, v2, v7, s16
	v_lshl_or_b32 v2, v2, 16, v4
	ds_write2_b32 v91, v3, v2 offset1:1
	v_ashrrev_i32_e32 v2, v74, v6
	v_lshlrev_b32_e32 v4, 4, v2
	v_lshlrev_b32_e32 v6, 11, v2
	v_and_b32_e32 v3, 0xf0f0f0f, v5
	v_and_b32_e32 v4, 16, v4
	;; [unrolled: 1-line block ×3, first 2 shown]
	v_or3_b32 v4, v4, v3, v6
	v_lshlrev_b32_e32 v6, 18, v2
	v_lshlrev_b32_e32 v7, 25, v2
	v_and_b32_e32 v6, 0x100000, v6
	v_and_b32_e32 v7, 0x10000000, v7
	v_or3_b32 v3, v3, v6, v7
	v_and_b32_sdwa v6, v3, s15 dst_sel:DWORD dst_unused:UNUSED_PAD src0_sel:WORD_1 src1_sel:DWORD
	v_lshlrev_b16_sdwa v3, v210, v3 dst_sel:DWORD dst_unused:UNUSED_PAD src0_sel:DWORD src1_sel:WORD_1
	v_add_u16_e32 v6, 0xf000, v6
	v_add_u16_e32 v3, 0xf000, v3
	v_perm_b32 v3, v3, v6, s16
	v_lshlrev_b16_e32 v6, 8, v4
	v_add_u16_e32 v6, 0xf000, v6
	v_lshrrev_b16_e32 v6, 8, v6
	v_bitop3_b16 v4, v4, v6, s15 bitop3:0xec
	v_add_u16_e32 v4, 0xf000, v4
	v_lshl_or_b32 v3, v3, 16, v4
	v_lshrrev_b32_e32 v4, 4, v5
	v_lshrrev_b32_e32 v5, 12, v2
	;; [unrolled: 1-line block ×3, first 2 shown]
	v_and_b32_e32 v4, 0xf0f0f0f, v4
	v_and_b32_e32 v5, 16, v5
	;; [unrolled: 1-line block ×3, first 2 shown]
	v_or3_b32 v5, v5, v4, v6
	v_lshlrev_b32_e32 v6, 2, v2
	v_lshlrev_b32_e32 v2, 9, v2
	v_and_b32_e32 v6, 0x100000, v6
	v_and_b32_e32 v2, 0x10000000, v2
	v_or3_b32 v2, v4, v6, v2
	v_and_b32_e32 v4, 0x1f00, v5
	v_lshlrev_b16_e32 v5, 8, v5
	v_add_u16_e32 v4, 0xf000, v4
	v_add_u16_e32 v5, 0xf000, v5
	v_perm_b32 v4, v5, v4, s16
	v_and_b32_sdwa v5, v2, s15 dst_sel:DWORD dst_unused:UNUSED_PAD src0_sel:WORD_1 src1_sel:DWORD
	v_lshlrev_b16_sdwa v2, v210, v2 dst_sel:DWORD dst_unused:UNUSED_PAD src0_sel:DWORD src1_sel:WORD_1
	v_add_u16_e32 v5, 0xf000, v5
	v_add_u16_e32 v2, 0xf000, v2
	v_perm_b32 v2, v2, v5, s16
	v_lshl_or_b32 v2, v2, 16, v4
	v_ashrrev_i32_e32 v18, v74, v8
	ds_write2_b32 v93, v3, v2 offset1:1
	v_lshlrev_b32_e32 v3, 4, v18
	v_lshlrev_b32_e32 v4, 11, v18
	v_and_b32_e32 v2, 0xf0f0f0f, v25
	v_and_b32_e32 v3, 16, v3
	;; [unrolled: 1-line block ×3, first 2 shown]
	v_or3_b32 v3, v3, v2, v4
	v_lshlrev_b32_e32 v4, 18, v18
	v_lshlrev_b32_e32 v5, 25, v18
	v_and_b32_e32 v4, 0x100000, v4
	v_and_b32_e32 v5, 0x10000000, v5
	v_or3_b32 v19, v2, v4, v5
	v_and_b32_e32 v2, 0x1f00, v3
	v_add_u16_e32 v20, 0xf000, v2
	v_lshlrev_b16_e32 v21, 8, v3
	v_mad_u64_u32 v[2:3], s[18:19], v96, 22, v[0:1]
	v_mad_u64_u32 v[6:7], s[18:19], v98, 22, v[0:1]
	;; [unrolled: 1-line block ×3, first 2 shown]
	v_lshl_add_u64 v[4:5], v[2:3], 0, v[74:75]
	v_lshl_add_u64 v[8:9], v[6:7], 0, v[74:75]
	v_mad_u64_u32 v[10:11], s[18:19], v100, 22, v[0:1]
	v_lshl_add_u64 v[16:17], v[14:15], 0, v[74:75]
	v_lshl_add_u64 v[12:13], v[10:11], 0, v[74:75]
	global_load_dword v4, v[4:5], off offset:6
	s_nop 0
	global_load_dword v5, v[8:9], off offset:6
	global_load_dword v22, v[12:13], off offset:6
	s_nop 0
	global_load_dword v16, v[16:17], off offset:6
	s_nop 0
	global_load_dword v17, v[14:15], off offset:2
	global_load_dword v8, v[10:11], off offset:2
	s_nop 0
	global_load_dword v6, v[6:7], off offset:2
	s_nop 0
	global_load_dword v2, v[2:3], off offset:2
	v_and_b32_sdwa v7, v19, s15 dst_sel:DWORD dst_unused:UNUSED_PAD src0_sel:WORD_1 src1_sel:DWORD
	v_lshlrev_b16_sdwa v9, v210, v19 dst_sel:DWORD dst_unused:UNUSED_PAD src0_sel:DWORD src1_sel:WORD_1
	v_add_u16_e32 v3, 0xf000, v21
	v_add_u16_e32 v7, 0xf000, v7
	;; [unrolled: 1-line block ×3, first 2 shown]
	v_perm_b32 v3, v3, v20, s16
	v_perm_b32 v7, v9, v7, s16
	v_lshl_or_b32 v3, v7, 16, v3
	v_lshrrev_b32_e32 v7, 4, v25
	v_lshrrev_b32_e32 v9, 12, v18
	;; [unrolled: 1-line block ×3, first 2 shown]
	v_and_b32_e32 v7, 0xf0f0f0f, v7
	v_and_b32_e32 v9, 16, v9
	;; [unrolled: 1-line block ×3, first 2 shown]
	v_or3_b32 v9, v9, v7, v10
	v_lshlrev_b32_e32 v10, 2, v18
	v_lshlrev_b32_e32 v11, 9, v18
	v_and_b32_e32 v10, 0x100000, v10
	v_and_b32_e32 v11, 0x10000000, v11
	v_or3_b32 v7, v7, v10, v11
	v_and_b32_sdwa v10, v7, s15 dst_sel:DWORD dst_unused:UNUSED_PAD src0_sel:WORD_1 src1_sel:DWORD
	v_lshlrev_b16_sdwa v7, v210, v7 dst_sel:DWORD dst_unused:UNUSED_PAD src0_sel:DWORD src1_sel:WORD_1
	v_add_u16_e32 v10, 0xf000, v10
	v_add_u16_e32 v7, 0xf000, v7
	v_perm_b32 v7, v7, v10, s16
	v_lshlrev_b16_e32 v10, 8, v9
	v_add_u16_e32 v10, 0xf000, v10
	v_lshrrev_b16_e32 v10, 8, v10
	v_bitop3_b16 v9, v9, v10, s15 bitop3:0xec
	v_add_u16_e32 v9, 0xf000, v9
	v_lshl_or_b32 v7, v7, 16, v9
	ds_write2_b32 v97, v3, v7 offset1:1
	v_ashrrev_i32_e32 v3, v74, v27
	v_lshlrev_b32_e32 v9, 4, v3
	v_lshlrev_b32_e32 v10, 11, v3
	v_and_b32_e32 v7, 0xf0f0f0f, v26
	v_and_b32_e32 v9, 16, v9
	;; [unrolled: 1-line block ×3, first 2 shown]
	v_or3_b32 v9, v9, v7, v10
	v_lshlrev_b32_e32 v10, 18, v3
	v_lshlrev_b32_e32 v11, 25, v3
	v_and_b32_e32 v10, 0x100000, v10
	v_and_b32_e32 v11, 0x10000000, v11
	v_or3_b32 v7, v7, v10, v11
	v_and_b32_e32 v10, 0x1f00, v9
	v_lshlrev_b16_e32 v9, 8, v9
	v_add_u16_e32 v10, 0xf000, v10
	v_add_u16_e32 v9, 0xf000, v9
	v_perm_b32 v9, v9, v10, s16
	v_and_b32_sdwa v10, v7, s15 dst_sel:DWORD dst_unused:UNUSED_PAD src0_sel:WORD_1 src1_sel:DWORD
	v_lshlrev_b16_sdwa v7, v210, v7 dst_sel:DWORD dst_unused:UNUSED_PAD src0_sel:DWORD src1_sel:WORD_1
	v_add_u16_e32 v10, 0xf000, v10
	v_add_u16_e32 v7, 0xf000, v7
	v_perm_b32 v7, v7, v10, s16
	v_lshl_or_b32 v7, v7, 16, v9
	v_lshrrev_b32_e32 v9, 4, v26
	v_lshrrev_b32_e32 v10, 12, v3
	;; [unrolled: 1-line block ×3, first 2 shown]
	v_and_b32_e32 v9, 0xf0f0f0f, v9
	v_and_b32_e32 v10, 16, v10
	;; [unrolled: 1-line block ×3, first 2 shown]
	v_or3_b32 v10, v10, v9, v11
	v_lshlrev_b32_e32 v11, 2, v3
	v_lshlrev_b32_e32 v3, 9, v3
	v_and_b32_e32 v11, 0x100000, v11
	v_and_b32_e32 v3, 0x10000000, v3
	v_or3_b32 v3, v9, v11, v3
	v_and_b32_sdwa v9, v3, s15 dst_sel:DWORD dst_unused:UNUSED_PAD src0_sel:WORD_1 src1_sel:DWORD
	v_lshlrev_b16_sdwa v3, v210, v3 dst_sel:DWORD dst_unused:UNUSED_PAD src0_sel:DWORD src1_sel:WORD_1
	v_add_u16_e32 v9, 0xf000, v9
	v_add_u16_e32 v3, 0xf000, v3
	v_perm_b32 v3, v3, v9, s16
	v_lshlrev_b16_e32 v9, 8, v10
	v_add_u16_e32 v9, 0xf000, v9
	v_lshrrev_b16_e32 v9, 8, v9
	v_bitop3_b16 v9, v10, v9, s15 bitop3:0xec
	v_add_u16_e32 v9, 0xf000, v9
	v_lshl_or_b32 v3, v3, 16, v9
	ds_write2_b32 v99, v7, v3 offset1:1
	s_waitcnt vmcnt(0)
	v_ashrrev_i32_e32 v2, v74, v2
	v_lshlrev_b32_e32 v7, 4, v2
	v_lshlrev_b32_e32 v9, 11, v2
	v_and_b32_e32 v3, 0xf0f0f0f, v4
	v_and_b32_e32 v7, 16, v7
	;; [unrolled: 1-line block ×3, first 2 shown]
	v_or3_b32 v7, v7, v3, v9
	v_lshlrev_b32_e32 v9, 18, v2
	v_lshlrev_b32_e32 v10, 25, v2
	v_and_b32_e32 v9, 0x100000, v9
	v_and_b32_e32 v10, 0x10000000, v10
	v_or3_b32 v3, v3, v9, v10
	v_and_b32_e32 v9, 0x1f00, v7
	v_lshlrev_b16_e32 v7, 8, v7
	v_add_u16_e32 v9, 0xf000, v9
	v_add_u16_e32 v7, 0xf000, v7
	v_perm_b32 v7, v7, v9, s16
	v_and_b32_sdwa v9, v3, s15 dst_sel:DWORD dst_unused:UNUSED_PAD src0_sel:WORD_1 src1_sel:DWORD
	v_lshlrev_b16_sdwa v3, v210, v3 dst_sel:DWORD dst_unused:UNUSED_PAD src0_sel:DWORD src1_sel:WORD_1
	v_add_u16_e32 v9, 0xf000, v9
	v_add_u16_e32 v3, 0xf000, v3
	v_perm_b32 v3, v3, v9, s16
	v_lshl_or_b32 v3, v3, 16, v7
	v_lshrrev_b32_e32 v4, 4, v4
	v_lshrrev_b32_e32 v7, 12, v2
	v_lshrrev_b32_e32 v9, 5, v2
	v_and_b32_e32 v4, 0xf0f0f0f, v4
	v_and_b32_e32 v7, 16, v7
	;; [unrolled: 1-line block ×3, first 2 shown]
	v_or3_b32 v7, v7, v4, v9
	v_lshlrev_b32_e32 v9, 2, v2
	v_lshlrev_b32_e32 v2, 9, v2
	v_and_b32_e32 v9, 0x100000, v9
	v_and_b32_e32 v2, 0x10000000, v2
	v_or3_b32 v2, v4, v9, v2
	v_and_b32_sdwa v4, v2, s15 dst_sel:DWORD dst_unused:UNUSED_PAD src0_sel:WORD_1 src1_sel:DWORD
	v_lshlrev_b16_sdwa v2, v210, v2 dst_sel:DWORD dst_unused:UNUSED_PAD src0_sel:DWORD src1_sel:WORD_1
	v_add_u16_e32 v4, 0xf000, v4
	v_add_u16_e32 v2, 0xf000, v2
	v_perm_b32 v2, v2, v4, s16
	v_lshlrev_b16_e32 v4, 8, v7
	v_add_u16_e32 v4, 0xf000, v4
	v_lshrrev_b16_e32 v4, 8, v4
	v_bitop3_b16 v4, v7, v4, s15 bitop3:0xec
	v_add_u16_e32 v4, 0xf000, v4
	v_lshl_or_b32 v2, v2, 16, v4
	ds_write2_b32 v101, v3, v2 offset1:1
	v_ashrrev_i32_e32 v2, v74, v6
	v_lshlrev_b32_e32 v4, 4, v2
	v_lshlrev_b32_e32 v6, 11, v2
	v_and_b32_e32 v3, 0xf0f0f0f, v5
	v_and_b32_e32 v4, 16, v4
	;; [unrolled: 1-line block ×3, first 2 shown]
	v_or3_b32 v4, v4, v3, v6
	v_lshlrev_b32_e32 v6, 18, v2
	v_lshlrev_b32_e32 v7, 25, v2
	v_and_b32_e32 v6, 0x100000, v6
	v_and_b32_e32 v7, 0x10000000, v7
	v_or3_b32 v3, v3, v6, v7
	v_and_b32_e32 v6, 0x1f00, v4
	v_lshlrev_b16_e32 v4, 8, v4
	v_add_u16_e32 v6, 0xf000, v6
	v_add_u16_e32 v4, 0xf000, v4
	v_perm_b32 v4, v4, v6, s16
	v_and_b32_sdwa v6, v3, s15 dst_sel:DWORD dst_unused:UNUSED_PAD src0_sel:WORD_1 src1_sel:DWORD
	v_lshlrev_b16_sdwa v3, v210, v3 dst_sel:DWORD dst_unused:UNUSED_PAD src0_sel:DWORD src1_sel:WORD_1
	v_add_u16_e32 v6, 0xf000, v6
	v_add_u16_e32 v3, 0xf000, v3
	v_perm_b32 v3, v3, v6, s16
	v_lshl_or_b32 v3, v3, 16, v4
	v_lshrrev_b32_e32 v4, 4, v5
	v_lshrrev_b32_e32 v5, 12, v2
	;; [unrolled: 1-line block ×3, first 2 shown]
	v_and_b32_e32 v4, 0xf0f0f0f, v4
	v_and_b32_e32 v5, 16, v5
	;; [unrolled: 1-line block ×3, first 2 shown]
	v_or3_b32 v5, v5, v4, v6
	v_lshlrev_b32_e32 v6, 2, v2
	v_lshlrev_b32_e32 v2, 9, v2
	v_and_b32_e32 v6, 0x100000, v6
	v_and_b32_e32 v2, 0x10000000, v2
	v_or3_b32 v2, v4, v6, v2
	v_and_b32_sdwa v4, v2, s15 dst_sel:DWORD dst_unused:UNUSED_PAD src0_sel:WORD_1 src1_sel:DWORD
	v_lshlrev_b16_sdwa v2, v210, v2 dst_sel:DWORD dst_unused:UNUSED_PAD src0_sel:DWORD src1_sel:WORD_1
	v_add_u16_e32 v4, 0xf000, v4
	v_add_u16_e32 v2, 0xf000, v2
	v_perm_b32 v2, v2, v4, s16
	v_lshlrev_b16_e32 v4, 8, v5
	v_add_u16_e32 v4, 0xf000, v4
	v_lshrrev_b16_e32 v4, 8, v4
	v_bitop3_b16 v4, v5, v4, s15 bitop3:0xec
	v_add_u16_e32 v4, 0xf000, v4
	v_lshl_or_b32 v2, v2, 16, v4
	v_ashrrev_i32_e32 v18, v74, v8
	ds_write2_b32 v105, v3, v2 offset1:1
	v_lshlrev_b32_e32 v3, 4, v18
	v_lshlrev_b32_e32 v4, 11, v18
	v_and_b32_e32 v2, 0xf0f0f0f, v22
	v_and_b32_e32 v3, 16, v3
	;; [unrolled: 1-line block ×3, first 2 shown]
	v_or3_b32 v3, v3, v2, v4
	v_lshlrev_b32_e32 v4, 18, v18
	v_lshlrev_b32_e32 v5, 25, v18
	v_and_b32_e32 v4, 0x100000, v4
	v_and_b32_e32 v5, 0x10000000, v5
	v_or3_b32 v19, v2, v4, v5
	v_and_b32_e32 v2, 0x1f00, v3
	v_add_u16_e32 v20, 0xf000, v2
	v_lshlrev_b16_e32 v21, 8, v3
	v_mad_u64_u32 v[2:3], s[18:19], v108, 22, v[0:1]
	v_mad_u64_u32 v[6:7], s[18:19], v110, 22, v[0:1]
	;; [unrolled: 1-line block ×3, first 2 shown]
	v_lshl_add_u64 v[4:5], v[2:3], 0, v[74:75]
	v_lshl_add_u64 v[8:9], v[6:7], 0, v[74:75]
	;; [unrolled: 1-line block ×3, first 2 shown]
	v_mad_u64_u32 v[0:1], s[18:19], v114, 22, v[0:1]
	v_lshl_add_u64 v[14:15], v[0:1], 0, v[74:75]
	global_load_dword v4, v[4:5], off offset:6
	s_nop 0
	global_load_dword v5, v[8:9], off offset:6
	s_nop 0
	global_load_dword v8, v[12:13], off offset:6
	global_load_dword v9, v[14:15], off offset:6
	s_nop 0
	global_load_dword v12, v[0:1], off offset:2
	s_nop 0
	global_load_dword v0, v[10:11], off offset:2
	global_load_dword v1, v[6:7], off offset:2
	s_nop 0
	global_load_dword v2, v[2:3], off offset:2
	v_and_b32_sdwa v6, v19, s15 dst_sel:DWORD dst_unused:UNUSED_PAD src0_sel:WORD_1 src1_sel:DWORD
	v_lshlrev_b16_sdwa v7, v210, v19 dst_sel:DWORD dst_unused:UNUSED_PAD src0_sel:DWORD src1_sel:WORD_1
	v_add_u16_e32 v3, 0xf000, v21
	v_add_u16_e32 v6, 0xf000, v6
	;; [unrolled: 1-line block ×3, first 2 shown]
	v_perm_b32 v3, v3, v20, s16
	v_perm_b32 v6, v7, v6, s16
	v_lshl_or_b32 v3, v6, 16, v3
	v_lshrrev_b32_e32 v6, 4, v22
	v_lshrrev_b32_e32 v7, 12, v18
	;; [unrolled: 1-line block ×3, first 2 shown]
	v_and_b32_e32 v6, 0xf0f0f0f, v6
	v_and_b32_e32 v7, 16, v7
	;; [unrolled: 1-line block ×3, first 2 shown]
	v_or3_b32 v7, v7, v6, v10
	v_lshlrev_b32_e32 v10, 2, v18
	v_lshlrev_b32_e32 v11, 9, v18
	v_and_b32_e32 v10, 0x100000, v10
	v_and_b32_e32 v11, 0x10000000, v11
	v_or3_b32 v6, v6, v10, v11
	v_and_b32_sdwa v10, v6, s15 dst_sel:DWORD dst_unused:UNUSED_PAD src0_sel:WORD_1 src1_sel:DWORD
	v_lshlrev_b16_sdwa v6, v210, v6 dst_sel:DWORD dst_unused:UNUSED_PAD src0_sel:DWORD src1_sel:WORD_1
	v_add_u16_e32 v10, 0xf000, v10
	v_add_u16_e32 v6, 0xf000, v6
	v_perm_b32 v6, v6, v10, s16
	v_lshlrev_b16_e32 v10, 8, v7
	v_add_u16_e32 v10, 0xf000, v10
	v_lshrrev_b16_e32 v10, 8, v10
	v_bitop3_b16 v7, v7, v10, s15 bitop3:0xec
	v_add_u16_e32 v7, 0xf000, v7
	v_lshl_or_b32 v6, v6, 16, v7
	ds_write2_b32 v109, v3, v6 offset1:1
	v_ashrrev_i32_e32 v3, v74, v17
	v_lshlrev_b32_e32 v7, 4, v3
	v_lshlrev_b32_e32 v10, 11, v3
	v_and_b32_e32 v6, 0xf0f0f0f, v16
	v_and_b32_e32 v7, 16, v7
	;; [unrolled: 1-line block ×3, first 2 shown]
	v_or3_b32 v7, v7, v6, v10
	v_lshlrev_b32_e32 v10, 18, v3
	v_lshlrev_b32_e32 v11, 25, v3
	v_and_b32_e32 v10, 0x100000, v10
	v_and_b32_e32 v11, 0x10000000, v11
	v_or3_b32 v6, v6, v10, v11
	v_and_b32_e32 v10, 0x1f00, v7
	v_lshlrev_b16_e32 v7, 8, v7
	v_add_u16_e32 v10, 0xf000, v10
	v_add_u16_e32 v7, 0xf000, v7
	v_perm_b32 v7, v7, v10, s16
	v_and_b32_sdwa v10, v6, s15 dst_sel:DWORD dst_unused:UNUSED_PAD src0_sel:WORD_1 src1_sel:DWORD
	v_lshlrev_b16_sdwa v6, v210, v6 dst_sel:DWORD dst_unused:UNUSED_PAD src0_sel:DWORD src1_sel:WORD_1
	v_add_u16_e32 v10, 0xf000, v10
	v_add_u16_e32 v6, 0xf000, v6
	v_perm_b32 v6, v6, v10, s16
	v_lshl_or_b32 v6, v6, 16, v7
	v_lshrrev_b32_e32 v7, 4, v16
	v_lshrrev_b32_e32 v10, 12, v3
	v_lshrrev_b32_e32 v11, 5, v3
	v_and_b32_e32 v7, 0xf0f0f0f, v7
	v_and_b32_e32 v10, 16, v10
	;; [unrolled: 1-line block ×3, first 2 shown]
	v_or3_b32 v10, v10, v7, v11
	v_lshlrev_b32_e32 v11, 2, v3
	v_lshlrev_b32_e32 v3, 9, v3
	v_and_b32_e32 v11, 0x100000, v11
	v_and_b32_e32 v3, 0x10000000, v3
	v_or3_b32 v3, v7, v11, v3
	v_and_b32_sdwa v7, v3, s15 dst_sel:DWORD dst_unused:UNUSED_PAD src0_sel:WORD_1 src1_sel:DWORD
	v_lshlrev_b16_sdwa v3, v210, v3 dst_sel:DWORD dst_unused:UNUSED_PAD src0_sel:DWORD src1_sel:WORD_1
	v_add_u16_e32 v7, 0xf000, v7
	v_add_u16_e32 v3, 0xf000, v3
	v_perm_b32 v3, v3, v7, s16
	v_lshlrev_b16_e32 v7, 8, v10
	v_add_u16_e32 v7, 0xf000, v7
	v_lshrrev_b16_e32 v7, 8, v7
	v_bitop3_b16 v7, v10, v7, s15 bitop3:0xec
	v_add_u16_e32 v7, 0xf000, v7
	v_lshl_or_b32 v3, v3, 16, v7
	ds_write2_b32 v111, v6, v3 offset1:1
	s_waitcnt vmcnt(0)
	v_ashrrev_i32_e32 v2, v74, v2
	v_lshlrev_b32_e32 v6, 4, v2
	v_lshlrev_b32_e32 v7, 11, v2
	v_and_b32_e32 v3, 0xf0f0f0f, v4
	v_and_b32_e32 v6, 16, v6
	;; [unrolled: 1-line block ×3, first 2 shown]
	v_or3_b32 v6, v6, v3, v7
	v_lshlrev_b32_e32 v7, 18, v2
	v_lshlrev_b32_e32 v10, 25, v2
	v_and_b32_e32 v7, 0x100000, v7
	v_and_b32_e32 v10, 0x10000000, v10
	v_or3_b32 v3, v3, v7, v10
	v_and_b32_e32 v7, 0x1f00, v6
	v_lshlrev_b16_e32 v6, 8, v6
	v_add_u16_e32 v7, 0xf000, v7
	v_add_u16_e32 v6, 0xf000, v6
	v_perm_b32 v6, v6, v7, s16
	v_and_b32_sdwa v7, v3, s15 dst_sel:DWORD dst_unused:UNUSED_PAD src0_sel:WORD_1 src1_sel:DWORD
	v_lshlrev_b16_sdwa v3, v210, v3 dst_sel:DWORD dst_unused:UNUSED_PAD src0_sel:DWORD src1_sel:WORD_1
	v_add_u16_e32 v7, 0xf000, v7
	v_add_u16_e32 v3, 0xf000, v3
	v_perm_b32 v3, v3, v7, s16
	v_lshl_or_b32 v3, v3, 16, v6
	v_lshrrev_b32_e32 v4, 4, v4
	v_lshrrev_b32_e32 v6, 12, v2
	;; [unrolled: 1-line block ×3, first 2 shown]
	v_and_b32_e32 v4, 0xf0f0f0f, v4
	v_and_b32_e32 v6, 16, v6
	;; [unrolled: 1-line block ×3, first 2 shown]
	v_or3_b32 v6, v6, v4, v7
	v_lshlrev_b32_e32 v7, 2, v2
	v_lshlrev_b32_e32 v2, 9, v2
	v_and_b32_e32 v7, 0x100000, v7
	v_and_b32_e32 v2, 0x10000000, v2
	v_or3_b32 v2, v4, v7, v2
	v_and_b32_sdwa v4, v2, s15 dst_sel:DWORD dst_unused:UNUSED_PAD src0_sel:WORD_1 src1_sel:DWORD
	v_lshlrev_b16_sdwa v2, v210, v2 dst_sel:DWORD dst_unused:UNUSED_PAD src0_sel:DWORD src1_sel:WORD_1
	v_add_u16_e32 v4, 0xf000, v4
	v_add_u16_e32 v2, 0xf000, v2
	v_perm_b32 v2, v2, v4, s16
	v_lshlrev_b16_e32 v4, 8, v6
	v_add_u16_e32 v4, 0xf000, v4
	v_lshrrev_b16_e32 v4, 8, v4
	v_bitop3_b16 v4, v6, v4, s15 bitop3:0xec
	v_add_u16_e32 v4, 0xf000, v4
	v_lshl_or_b32 v2, v2, 16, v4
	v_ashrrev_i32_e32 v1, v74, v1
	ds_write2_b32 v113, v3, v2 offset1:1
	v_lshlrev_b32_e32 v3, 4, v1
	v_lshlrev_b32_e32 v4, 11, v1
	v_and_b32_e32 v2, 0xf0f0f0f, v5
	v_and_b32_e32 v3, 16, v3
	;; [unrolled: 1-line block ×3, first 2 shown]
	v_or3_b32 v3, v3, v2, v4
	v_lshlrev_b32_e32 v4, 18, v1
	v_lshlrev_b32_e32 v6, 25, v1
	v_and_b32_e32 v4, 0x100000, v4
	v_and_b32_e32 v6, 0x10000000, v6
	v_or3_b32 v2, v2, v4, v6
	v_and_b32_e32 v4, 0x1f00, v3
	v_lshlrev_b16_e32 v3, 8, v3
	v_add_u16_e32 v4, 0xf000, v4
	v_add_u16_e32 v3, 0xf000, v3
	v_perm_b32 v3, v3, v4, s16
	v_and_b32_sdwa v4, v2, s15 dst_sel:DWORD dst_unused:UNUSED_PAD src0_sel:WORD_1 src1_sel:DWORD
	v_lshlrev_b16_sdwa v2, v210, v2 dst_sel:DWORD dst_unused:UNUSED_PAD src0_sel:DWORD src1_sel:WORD_1
	v_add_u16_e32 v4, 0xf000, v4
	v_add_u16_e32 v2, 0xf000, v2
	v_perm_b32 v2, v2, v4, s16
	v_lshl_or_b32 v2, v2, 16, v3
	v_lshrrev_b32_e32 v3, 4, v5
	v_lshrrev_b32_e32 v4, 12, v1
	;; [unrolled: 1-line block ×3, first 2 shown]
	v_and_b32_e32 v3, 0xf0f0f0f, v3
	v_and_b32_e32 v4, 16, v4
	;; [unrolled: 1-line block ×3, first 2 shown]
	v_or3_b32 v4, v4, v3, v5
	v_lshlrev_b32_e32 v5, 2, v1
	v_lshlrev_b32_e32 v1, 9, v1
	v_and_b32_e32 v5, 0x100000, v5
	v_and_b32_e32 v1, 0x10000000, v1
	v_or3_b32 v1, v3, v5, v1
	v_and_b32_sdwa v3, v1, s15 dst_sel:DWORD dst_unused:UNUSED_PAD src0_sel:WORD_1 src1_sel:DWORD
	v_lshlrev_b16_sdwa v1, v210, v1 dst_sel:DWORD dst_unused:UNUSED_PAD src0_sel:DWORD src1_sel:WORD_1
	v_add_u16_e32 v3, 0xf000, v3
	v_add_u16_e32 v1, 0xf000, v1
	v_perm_b32 v1, v1, v3, s16
	v_lshlrev_b16_e32 v3, 8, v4
	v_add_u16_e32 v3, 0xf000, v3
	v_lshrrev_b16_e32 v3, 8, v3
	v_bitop3_b16 v3, v4, v3, s15 bitop3:0xec
	v_add_u16_e32 v3, 0xf000, v3
	v_lshl_or_b32 v1, v1, 16, v3
	v_ashrrev_i32_e32 v10, v74, v0
	ds_write2_b32 v115, v2, v1 offset1:1
	v_lshlrev_b32_e32 v1, 4, v10
	v_lshlrev_b32_e32 v2, 11, v10
	v_and_b32_e32 v0, 0xf0f0f0f, v8
	v_and_b32_e32 v1, 16, v1
	;; [unrolled: 1-line block ×3, first 2 shown]
	v_or3_b32 v1, v1, v0, v2
	v_lshlrev_b32_e32 v2, 18, v10
	v_lshlrev_b32_e32 v3, 25, v10
	v_and_b32_e32 v2, 0x100000, v2
	v_and_b32_e32 v3, 0x10000000, v3
	v_or3_b32 v11, v0, v2, v3
	v_and_b32_e32 v0, 0x1f00, v1
	v_lshlrev_b16_e32 v1, 8, v1
	v_add_u16_e32 v0, 0xf000, v0
	v_add_u16_e32 v1, 0xf000, v1
	v_perm_b32 v13, v1, v0, s16
	v_and_b32_sdwa v0, v11, s15 dst_sel:DWORD dst_unused:UNUSED_PAD src0_sel:WORD_1 src1_sel:DWORD
	v_add_u16_e32 v14, 0xf000, v0
	v_mad_u64_u32 v[0:1], s[0:1], v116, 22, s[0:1]
	v_mad_u64_u32 v[2:3], s[0:1], v118, 22, v[0:1]
	;; [unrolled: 1-line block ×5, first 2 shown]
	global_load_ushort v2, v[2:3], off
	s_nop 0
	global_load_ushort v3, v[4:5], off
	s_nop 0
	global_load_ushort v4, v[6:7], off
	v_lshrrev_b32_e32 v5, 4, v8
	global_load_ushort v0, v[0:1], off
	v_lshrrev_b32_e32 v6, 12, v10
	v_lshrrev_b32_e32 v7, 5, v10
	v_and_b32_e32 v5, 0xf0f0f0f, v5
	v_and_b32_e32 v6, 16, v6
	;; [unrolled: 1-line block ×3, first 2 shown]
	v_or3_b32 v6, v6, v5, v7
	v_lshlrev_b32_e32 v7, 2, v10
	v_lshlrev_b32_e32 v8, 9, v10
	v_and_b32_e32 v7, 0x100000, v7
	v_and_b32_e32 v8, 0x10000000, v8
	v_or3_b32 v5, v5, v7, v8
	v_and_b32_sdwa v7, v5, s15 dst_sel:DWORD dst_unused:UNUSED_PAD src0_sel:WORD_1 src1_sel:DWORD
	v_lshlrev_b16_sdwa v5, v210, v5 dst_sel:DWORD dst_unused:UNUSED_PAD src0_sel:DWORD src1_sel:WORD_1
	v_add_u16_e32 v7, 0xf000, v7
	v_add_u16_e32 v5, 0xf000, v5
	v_perm_b32 v5, v5, v7, s16
	v_lshlrev_b16_e32 v7, 8, v6
	v_add_u16_e32 v7, 0xf000, v7
	v_lshlrev_b16_sdwa v1, v210, v11 dst_sel:DWORD dst_unused:UNUSED_PAD src0_sel:DWORD src1_sel:WORD_1
	v_lshrrev_b16_e32 v7, 8, v7
	v_add_u16_e32 v1, 0xf000, v1
	v_bitop3_b16 v6, v6, v7, s15 bitop3:0xec
	v_perm_b32 v1, v1, v14, s16
	v_add_u16_e32 v6, 0xf000, v6
	v_lshl_or_b32 v1, v1, 16, v13
	v_lshl_or_b32 v5, v5, 16, v6
	ds_write2_b32 v117, v1, v5 offset1:1
	v_ashrrev_i32_e32 v1, v74, v12
	v_lshlrev_b32_e32 v6, 4, v1
	v_lshlrev_b32_e32 v7, 11, v1
	v_and_b32_e32 v5, 0xf0f0f0f, v9
	v_and_b32_e32 v6, 16, v6
	;; [unrolled: 1-line block ×3, first 2 shown]
	v_or3_b32 v6, v6, v5, v7
	v_lshlrev_b32_e32 v7, 18, v1
	v_lshlrev_b32_e32 v8, 25, v1
	v_and_b32_e32 v7, 0x100000, v7
	v_and_b32_e32 v8, 0x10000000, v8
	v_or3_b32 v5, v5, v7, v8
	v_and_b32_e32 v7, 0x1f00, v6
	v_lshlrev_b16_e32 v6, 8, v6
	v_add_u16_e32 v7, 0xf000, v7
	v_add_u16_e32 v6, 0xf000, v6
	v_perm_b32 v6, v6, v7, s16
	v_and_b32_sdwa v7, v5, s15 dst_sel:DWORD dst_unused:UNUSED_PAD src0_sel:WORD_1 src1_sel:DWORD
	v_lshlrev_b16_sdwa v5, v210, v5 dst_sel:DWORD dst_unused:UNUSED_PAD src0_sel:DWORD src1_sel:WORD_1
	v_add_u16_e32 v7, 0xf000, v7
	v_add_u16_e32 v5, 0xf000, v5
	v_perm_b32 v5, v5, v7, s16
	v_lshl_or_b32 v5, v5, 16, v6
	v_lshrrev_b32_e32 v6, 4, v9
	v_lshrrev_b32_e32 v7, 12, v1
	;; [unrolled: 1-line block ×3, first 2 shown]
	v_and_b32_e32 v6, 0xf0f0f0f, v6
	v_and_b32_e32 v7, 16, v7
	;; [unrolled: 1-line block ×3, first 2 shown]
	v_or3_b32 v7, v7, v6, v8
	v_lshlrev_b32_e32 v8, 2, v1
	v_lshlrev_b32_e32 v1, 9, v1
	v_and_b32_e32 v8, 0x100000, v8
	v_and_b32_e32 v1, 0x10000000, v1
	v_or3_b32 v1, v6, v8, v1
	v_and_b32_sdwa v6, v1, s15 dst_sel:DWORD dst_unused:UNUSED_PAD src0_sel:WORD_1 src1_sel:DWORD
	v_lshlrev_b16_sdwa v1, v210, v1 dst_sel:DWORD dst_unused:UNUSED_PAD src0_sel:DWORD src1_sel:WORD_1
	v_add_u16_e32 v6, 0xf000, v6
	v_add_u16_e32 v1, 0xf000, v1
	v_perm_b32 v1, v1, v6, s16
	v_lshlrev_b16_e32 v6, 8, v7
	v_add_u16_e32 v6, 0xf000, v6
	v_lshrrev_b16_e32 v6, 8, v6
	v_bitop3_b16 v6, v7, v6, s15 bitop3:0xec
	v_add_u16_e32 v6, 0xf000, v6
	v_lshl_or_b32 v1, v1, 16, v6
	ds_write2_b32 v119, v5, v1 offset1:1
	s_waitcnt vmcnt(3)
	v_cvt_f32_f16_e32 v2, v2
	s_waitcnt vmcnt(2)
	v_cvt_f32_f16_e32 v1, v3
	;; [unrolled: 2-line block ×4, first 2 shown]
	ds_write_b32 v206, v2
	ds_write_b32 v207, v1
	;; [unrolled: 1-line block ×4, first 2 shown]
	s_cbranch_scc0 .LBB121_6
; %bb.8:                                ;   in Loop: Header=BB121_7 Depth=1
	v_add_u32_e32 v14, s14, v121
	v_add_u32_e32 v218, s14, v126
	;; [unrolled: 1-line block ×6, first 2 shown]
	v_mad_i64_i32 v[0:1], s[0:1], v0, 36, v[128:129]
	v_mad_i64_i32 v[2:3], s[0:1], v2, 36, v[128:129]
	;; [unrolled: 1-line block ×4, first 2 shown]
	v_add_u32_e32 v8, v14, v189
	v_add_u32_e32 v10, v14, v190
	;; [unrolled: 1-line block ×4, first 2 shown]
	v_mad_u64_u32 v[16:17], s[0:1], v218, 36, s[2:3]
	v_mad_i64_i32 v[8:9], s[0:1], v8, 36, v[128:129]
	v_mad_i64_i32 v[10:11], s[0:1], v10, 36, v[128:129]
	;; [unrolled: 1-line block ×4, first 2 shown]
	global_load_dword v16, v[16:17], off
	s_nop 0
	global_load_dword v0, v[0:1], off offset:4
	s_nop 0
	global_load_dword v1, v[2:3], off offset:4
	;; [unrolled: 2-line block ×3, first 2 shown]
	global_load_dword v3, v[6:7], off offset:4
	s_nop 0
	global_load_dword v4, v[8:9], off offset:4
	global_load_dword v5, v[10:11], off offset:4
	;; [unrolled: 1-line block ×4, first 2 shown]
	v_add_u32_e32 v219, v123, v147
	s_mov_b32 s0, -4
	v_mov_b32_e32 v220, v200
	v_mov_b32_e32 v221, v193
	;; [unrolled: 1-line block ×7, first 2 shown]
	s_waitcnt vmcnt(8)
	v_cvt_f32_f16_e32 v8, v16
	s_waitcnt vmcnt(7)
	ds_write_b32 v219, v0
	s_waitcnt vmcnt(6)
	ds_write_b32 v211, v1
	;; [unrolled: 2-line block ×8, first 2 shown]
	ds_write_b32 v125, v8
	s_waitcnt lgkmcnt(0)
	s_barrier
.LBB121_9:                              ;   Parent Loop BB121_7 Depth=1
                                        ; =>  This Inner Loop Header: Depth=2
	ds_read_b128 v[32:35], v220
	ds_read_b128 v[0:3], v220 offset:16
	ds_read2_b32 v[156:157], v222 offset1:32
	v_add_u32_e32 v138, 0x2080, v221
	v_add_u32_e32 v150, 0x4108, v221
	;; [unrolled: 1-line block ×5, first 2 shown]
	ds_read2_b32 v[136:137], v221 offset1:1
	ds_read2_b32 v[134:135], v221 offset0:2 offset1:3
	ds_read2_b32 v[132:133], v221 offset0:4 offset1:5
	ds_read2_b32 v[130:131], v221 offset0:6 offset1:7
	v_add_u32_e32 v139, 0x2088, v221
	v_add_u32_e32 v141, 0x2090, v221
	;; [unrolled: 1-line block ×4, first 2 shown]
	ds_read_b32 v140, v223
	ds_read_b32 v142, v224
	;; [unrolled: 1-line block ×4, first 2 shown]
	v_add_u32_e32 v154, 0x6188, v221
	v_add_u32_e32 v155, 0x6190, v221
	v_add_u32_e32 v158, 0x6198, v221
	ds_read_b128 v[36:39], v220 offset:1024
	ds_read_b128 v[4:7], v220 offset:1040
	;; [unrolled: 1-line block ×4, first 2 shown]
	ds_read2_b32 v[160:161], v222 offset0:64 offset1:96
	ds_read_b128 v[44:47], v220 offset:3072
	ds_read_b128 v[12:15], v220 offset:3088
	;; [unrolled: 1-line block ×4, first 2 shown]
	ds_read2_b32 v[166:167], v222 offset0:128 offset1:160
	ds_read_b128 v[20:23], v220 offset:5120
	ds_read_b128 v[24:27], v220 offset:6144
	ds_read2_b32 v[184:185], v222 offset0:192 offset1:224
	ds_read2_b32 v[182:183], v138 offset1:1
	ds_read2_b32 v[176:177], v139 offset1:1
	;; [unrolled: 1-line block ×12, first 2 shown]
	v_mov_b32_e32 v228, 0
	v_mov_b32_e32 v227, 0
	;; [unrolled: 1-line block ×4, first 2 shown]
	s_waitcnt lgkmcnt(14)
	v_dot4c_i32_i8_e32 v228, v136, v32
	s_waitcnt lgkmcnt(11)
	v_dot4c_i32_i8_e32 v227, v182, v32
	;; [unrolled: 2-line block ×4, first 2 shown]
	v_dot4c_i32_i8_e32 v228, v137, v0
	v_dot4c_i32_i8_e32 v227, v183, v0
	;; [unrolled: 1-line block ×7, first 2 shown]
	s_waitcnt lgkmcnt(2)
	v_dot4c_i32_i8_e32 v230, v172, v33
	v_dot4c_i32_i8_e32 v228, v135, v1
	;; [unrolled: 1-line block ×8, first 2 shown]
	s_waitcnt lgkmcnt(1)
	v_dot4c_i32_i8_e32 v230, v162, v34
	v_mov_b32_e32 v240, 0
	v_mov_b32_e32 v242, 0
	;; [unrolled: 1-line block ×3, first 2 shown]
	v_dot4c_i32_i8_e32 v228, v133, v2
	v_dot4c_i32_i8_e32 v227, v171, v2
	;; [unrolled: 1-line block ×4, first 2 shown]
	v_mov_b32_e32 v2, 0
	v_mov_b32_e32 v232, 0
	;; [unrolled: 1-line block ×9, first 2 shown]
	v_dot4c_i32_i8_e32 v240, v136, v28
	v_dot4c_i32_i8_e32 v242, v182, v28
	;; [unrolled: 1-line block ×40, first 2 shown]
	v_mov_b32_e32 v239, 0
	v_mov_b32_e32 v243, 0
	;; [unrolled: 1-line block ×4, first 2 shown]
	v_dot4c_i32_i8_e32 v232, v135, v5
	v_dot4c_i32_i8_e32 v231, v177, v5
	v_dot4c_i32_i8_e32 v233, v175, v5
	v_dot4c_i32_i8_e32 v234, v173, v5
	v_dot4c_i32_i8_e32 v236, v135, v9
	v_dot4c_i32_i8_e32 v235, v177, v9
	v_dot4c_i32_i8_e32 v237, v175, v9
	v_dot4c_i32_i8_e32 v238, v173, v9
	v_dot4c_i32_i8_e32 v240, v132, v30
	v_dot4c_i32_i8_e32 v242, v170, v30
	v_dot4c_i32_i8_e32 v244, v168, v30
	v_dot4c_i32_i8_e32 v2, v162, v30
	v_dot4c_i32_i8_e32 v232, v132, v38
	v_dot4c_i32_i8_e32 v231, v170, v38
	v_dot4c_i32_i8_e32 v233, v168, v38
	v_dot4c_i32_i8_e32 v234, v162, v38
	v_dot4c_i32_i8_e32 v236, v132, v42
	v_dot4c_i32_i8_e32 v235, v170, v42
	v_dot4c_i32_i8_e32 v237, v168, v42
	v_dot4c_i32_i8_e32 v238, v162, v42
	v_dot4c_i32_i8_e32 v239, v136, v44
	v_dot4c_i32_i8_e32 v243, v182, v44
	v_dot4c_i32_i8_e32 v245, v180, v44
	v_dot4c_i32_i8_e32 v246, v178, v44
	v_dot4c_i32_i8_e32 v240, v133, v18
	v_dot4c_i32_i8_e32 v242, v171, v18
	v_dot4c_i32_i8_e32 v244, v169, v18
	v_dot4c_i32_i8_e32 v2, v163, v18
	v_dot4c_i32_i8_e32 v232, v133, v6
	v_dot4c_i32_i8_e32 v231, v171, v6
	v_dot4c_i32_i8_e32 v233, v169, v6
	v_dot4c_i32_i8_e32 v234, v163, v6
	v_dot4c_i32_i8_e32 v236, v133, v10
	v_dot4c_i32_i8_e32 v235, v171, v10
	v_dot4c_i32_i8_e32 v237, v169, v10
	v_dot4c_i32_i8_e32 v238, v163, v10
	v_dot4c_i32_i8_e32 v239, v137, v12
	v_dot4c_i32_i8_e32 v243, v183, v12
	v_dot4c_i32_i8_e32 v245, v181, v12
	v_dot4c_i32_i8_e32 v246, v179, v12
	v_dot4c_i32_i8_e32 v240, v130, v31
	v_dot4c_i32_i8_e32 v242, v148, v31
	v_dot4c_i32_i8_e32 v244, v150, v31
	s_waitcnt lgkmcnt(0)
	v_dot4c_i32_i8_e32 v2, v152, v31
	ds_read_b128 v[28:31], v220 offset:7168
	v_dot4c_i32_i8_e32 v228, v130, v35
	v_dot4c_i32_i8_e32 v227, v148, v35
	;; [unrolled: 1-line block ×16, first 2 shown]
	ds_read_b128 v[32:35], v220 offset:5136
	ds_read_b128 v[40:43], v220 offset:6160
	;; [unrolled: 1-line block ×3, first 2 shown]
	v_dot4c_i32_i8_e32 v239, v135, v13
	v_dot4c_i32_i8_e32 v243, v177, v13
	;; [unrolled: 1-line block ×8, first 2 shown]
	v_mov_b32_e32 v241, 0
	v_dot4c_i32_i8_e32 v239, v133, v14
	v_dot4c_i32_i8_e32 v243, v171, v14
	;; [unrolled: 1-line block ×4, first 2 shown]
	v_mov_b32_e32 v14, 0
	v_mov_b32_e32 v18, 0
	v_dot4c_i32_i8_e32 v241, v136, v20
	v_dot4c_i32_i8_e32 v14, v136, v24
	s_waitcnt lgkmcnt(3)
	v_dot4c_i32_i8_e32 v18, v136, v28
	v_pk_mul_f32 v[138:139], v[140:141], v[156:157] op_sel_hi:[0,1]
	v_pk_mul_f32 v[0:1], v[142:143], v[156:157] op_sel_hi:[0,1]
	;; [unrolled: 1-line block ×9, first 2 shown]
	v_dot4c_i32_i8_e32 v239, v130, v47
	v_dot4c_i32_i8_e32 v243, v148, v47
	;; [unrolled: 1-line block ×4, first 2 shown]
	v_pk_mul_f32 v[12:13], v[142:143], v[166:167] op_sel_hi:[0,1]
	v_pk_mul_f32 v[44:45], v[144:145], v[166:167] op_sel_hi:[0,1]
	;; [unrolled: 1-line block ×7, first 2 shown]
	s_waitcnt lgkmcnt(2)
	v_dot4c_i32_i8_e32 v241, v137, v32
	s_waitcnt lgkmcnt(1)
	v_dot4c_i32_i8_e32 v14, v137, v40
	;; [unrolled: 2-line block ×3, first 2 shown]
	v_mov_b32_e32 v136, 0
	v_mov_b32_e32 v137, 0
	v_mov_b32_e32 v146, 0
	v_dot4c_i32_i8_e32 v136, v182, v20
	v_dot4c_i32_i8_e32 v137, v182, v24
	v_dot4c_i32_i8_e32 v146, v182, v28
	v_dot4c_i32_i8_e32 v136, v183, v32
	v_dot4c_i32_i8_e32 v137, v183, v40
	v_dot4c_i32_i8_e32 v146, v183, v36
	v_mov_b32_e32 v182, 0
	v_mov_b32_e32 v183, 0
	v_mov_b32_e32 v184, 0
	v_dot4c_i32_i8_e32 v182, v180, v20
	v_dot4c_i32_i8_e32 v183, v180, v24
	v_dot4c_i32_i8_e32 v184, v180, v28
	v_dot4c_i32_i8_e32 v182, v181, v32
	v_dot4c_i32_i8_e32 v183, v181, v40
	v_dot4c_i32_i8_e32 v184, v181, v36
	;; [unrolled: 9-line block ×3, first 2 shown]
	v_dot4c_i32_i8_e32 v241, v134, v21
	v_dot4c_i32_i8_e32 v14, v134, v25
	;; [unrolled: 1-line block ×92, first 2 shown]
	v_cvt_f32_i32_e32 v17, v232
	v_cvt_f32_i32_e32 v16, v228
	;; [unrolled: 1-line block ×32, first 2 shown]
	s_add_i32 s0, s0, 4
	v_add_u32_e32 v226, 4, v226
	v_add_u32_e32 v225, 4, v225
	;; [unrolled: 1-line block ×7, first 2 shown]
	s_cmp_lt_u32 s0, 12
	v_pk_fma_f32 v[102:103], v[138:139], v[16:17], v[102:103]
	v_pk_fma_f32 v[70:71], v[158:159], v[6:7], v[70:71]
	;; [unrolled: 1-line block ×16, first 2 shown]
	s_cbranch_scc1 .LBB121_9
; %bb.10:                               ;   in Loop: Header=BB121_7 Depth=1
	s_and_b32 s0, s9, -4
	s_cmp_eq_u32 s0, 4
	s_barrier
	s_cbranch_scc1 .LBB121_6
; %bb.11:                               ;   in Loop: Header=BB121_7 Depth=1
	v_add_u32_e32 v14, s14, v194
	v_add_u32_e32 v0, v14, v127
	;; [unrolled: 1-line block ×8, first 2 shown]
	v_mad_i64_i32 v[0:1], s[0:1], v0, 36, v[128:129]
	v_mad_i64_i32 v[2:3], s[0:1], v2, 36, v[128:129]
	;; [unrolled: 1-line block ×6, first 2 shown]
	v_add_u32_e32 v12, v14, v191
	v_add_u32_e32 v14, v14, v192
	v_mad_u64_u32 v[16:17], s[0:1], v16, 36, s[2:3]
	v_mad_i64_i32 v[12:13], s[0:1], v12, 36, v[128:129]
	v_mad_i64_i32 v[14:15], s[0:1], v14, 36, v[128:129]
	global_load_dword v16, v[16:17], off
	s_nop 0
	global_load_dword v0, v[0:1], off offset:4
	s_nop 0
	global_load_dword v2, v[2:3], off offset:4
	;; [unrolled: 2-line block ×6, first 2 shown]
	global_load_dword v9, v[12:13], off offset:4
	s_nop 0
	global_load_dword v10, v[14:15], off offset:4
	s_mov_b32 s0, 12
	v_mov_b32_e32 v1, v199
	v_mov_b32_e32 v3, v200
	;; [unrolled: 1-line block ×7, first 2 shown]
	s_waitcnt vmcnt(8)
	v_cvt_f32_f16_e32 v11, v16
	s_waitcnt vmcnt(7)
	ds_write_b32 v219, v0
	s_waitcnt vmcnt(6)
	ds_write_b32 v211, v2
	;; [unrolled: 2-line block ×8, first 2 shown]
	ds_write_b32 v125, v11
	s_waitcnt lgkmcnt(0)
	s_barrier
.LBB121_12:                             ;   Parent Loop BB121_7 Depth=1
                                        ; =>  This Inner Loop Header: Depth=2
	v_add_u32_e32 v2, 0x2080, v5
	ds_read_b128 v[130:133], v3
	ds_read_b128 v[134:137], v3 offset:16
	ds_read2_b32 v[40:41], v1 offset1:32
	ds_read_b32 v4, v13
	ds_read2_b32 v[10:11], v5 offset1:1
	ds_read2_b32 v[20:21], v5 offset0:2 offset1:3
	ds_read2_b32 v[26:27], v5 offset0:4 offset1:5
	;; [unrolled: 1-line block ×3, first 2 shown]
	ds_read_b32 v0, v42
	ds_read2_b32 v[6:7], v2 offset1:1
	v_add_u32_e32 v2, 0x2088, v5
	ds_read2_b32 v[14:15], v2 offset1:1
	v_add_u32_e32 v2, 0x2090, v5
	;; [unrolled: 2-line block ×3, first 2 shown]
	v_add_u32_e32 v8, 0x4100, v5
	v_add_u32_e32 v12, 0x4108, v5
	ds_read2_b32 v[32:33], v2 offset1:1
	ds_read_b32 v2, v43
	ds_read2_b32 v[8:9], v8 offset1:1
	ds_read2_b32 v[18:19], v12 offset1:1
	v_add_u32_e32 v12, 0x4110, v5
	ds_read2_b32 v[28:29], v12 offset1:1
	v_add_u32_e32 v12, 0x4118, v5
	v_add_u32_e32 v16, 0x6180, v5
	ds_read2_b32 v[36:37], v12 offset1:1
	ds_read_b32 v12, v44
	ds_read2_b32 v[16:17], v16 offset1:1
	v_add_u32_e32 v24, 0x6188, v5
	ds_read2_b32 v[24:25], v24 offset1:1
	v_add_u32_e32 v34, 0x6190, v5
	v_mov_b32_e32 v45, 0
	v_mov_b32_e32 v140, 0
	;; [unrolled: 1-line block ×4, first 2 shown]
	ds_read2_b32 v[34:35], v34 offset1:1
	s_waitcnt lgkmcnt(14)
	v_dot4c_i32_i8_e32 v45, v10, v130
	s_waitcnt lgkmcnt(12)
	v_dot4c_i32_i8_e32 v140, v6, v130
	;; [unrolled: 2-line block ×4, first 2 shown]
	v_add_u32_e32 v38, 0x6198, v5
	v_dot4c_i32_i8_e32 v45, v11, v134
	v_dot4c_i32_i8_e32 v140, v7, v134
	;; [unrolled: 1-line block ×4, first 2 shown]
	ds_read2_b32 v[38:39], v38 offset1:1
	v_dot4c_i32_i8_e32 v45, v20, v131
	v_dot4c_i32_i8_e32 v140, v14, v131
	v_dot4c_i32_i8_e32 v141, v18, v131
	s_waitcnt lgkmcnt(2)
	v_dot4c_i32_i8_e32 v142, v24, v131
	v_dot4c_i32_i8_e32 v45, v21, v135
	v_dot4c_i32_i8_e32 v140, v15, v135
	v_dot4c_i32_i8_e32 v141, v19, v135
	v_dot4c_i32_i8_e32 v142, v25, v135
	v_dot4c_i32_i8_e32 v45, v26, v132
	v_dot4c_i32_i8_e32 v140, v22, v132
	v_dot4c_i32_i8_e32 v141, v28, v132
	s_waitcnt lgkmcnt(1)
	v_dot4c_i32_i8_e32 v142, v34, v132
	v_dot4c_i32_i8_e32 v45, v27, v136
	v_dot4c_i32_i8_e32 v140, v23, v136
	v_dot4c_i32_i8_e32 v141, v29, v136
	v_dot4c_i32_i8_e32 v142, v35, v136
	;; [unrolled: 9-line block ×3, first 2 shown]
	ds_read_b128 v[130:133], v3 offset:1024
	ds_read_b128 v[134:137], v3 offset:1040
	v_mov_b32_e32 v138, 0
	v_pk_mul_f32 v[46:47], v[4:5], v[40:41] op_sel_hi:[0,1]
	s_add_i32 s0, s0, 4
	s_waitcnt lgkmcnt(1)
	v_dot4c_i32_i8_e32 v138, v10, v130
	s_waitcnt lgkmcnt(0)
	v_dot4c_i32_i8_e32 v138, v11, v134
	v_dot4c_i32_i8_e32 v138, v20, v131
	v_dot4c_i32_i8_e32 v138, v21, v135
	v_dot4c_i32_i8_e32 v138, v26, v132
	v_dot4c_i32_i8_e32 v138, v27, v136
	v_dot4c_i32_i8_e32 v138, v30, v133
	v_dot4c_i32_i8_e32 v138, v31, v137
	v_add_u32_e32 v44, 4, v44
	v_add_u32_e32 v43, 4, v43
	;; [unrolled: 1-line block ×3, first 2 shown]
	v_cvt_f32_i32_e32 v139, v138
	v_cvt_f32_i32_e32 v138, v45
	v_mov_b32_e32 v45, 0
	v_dot4c_i32_i8_e32 v45, v6, v130
	v_dot4c_i32_i8_e32 v45, v7, v134
	v_dot4c_i32_i8_e32 v45, v14, v131
	v_dot4c_i32_i8_e32 v45, v15, v135
	v_dot4c_i32_i8_e32 v45, v22, v132
	v_dot4c_i32_i8_e32 v45, v23, v136
	v_dot4c_i32_i8_e32 v45, v32, v133
	v_dot4c_i32_i8_e32 v45, v33, v137
	v_pk_fma_f32 v[102:103], v[46:47], v[138:139], v[102:103]
	v_cvt_f32_i32_e32 v138, v140
	v_pk_mul_f32 v[46:47], v[0:1], v[40:41] op_sel_hi:[0,1]
	v_cvt_f32_i32_e32 v139, v45
	v_mov_b32_e32 v45, 0
	v_dot4c_i32_i8_e32 v45, v8, v130
	v_dot4c_i32_i8_e32 v45, v9, v134
	v_dot4c_i32_i8_e32 v45, v18, v131
	v_dot4c_i32_i8_e32 v45, v19, v135
	v_dot4c_i32_i8_e32 v45, v28, v132
	v_dot4c_i32_i8_e32 v45, v29, v136
	v_dot4c_i32_i8_e32 v45, v36, v133
	v_dot4c_i32_i8_e32 v45, v37, v137
	v_pk_fma_f32 v[106:107], v[46:47], v[138:139], v[106:107]
	v_cvt_f32_i32_e32 v138, v141
	v_pk_mul_f32 v[46:47], v[2:3], v[40:41] op_sel_hi:[0,1]
	;; [unrolled: 13-line block ×3, first 2 shown]
	v_cvt_f32_i32_e32 v47, v45
	v_mov_b32_e32 v45, 0
	v_mov_b32_e32 v140, 0
	;; [unrolled: 1-line block ×3, first 2 shown]
	v_pk_fma_f32 v[82:83], v[40:41], v[46:47], v[82:83]
	ds_read_b128 v[130:133], v3 offset:2048
	ds_read_b128 v[134:137], v3 offset:2064
	ds_read2_b32 v[40:41], v1 offset0:64 offset1:96
	v_mov_b32_e32 v142, 0
	v_mov_b32_e32 v138, 0
	s_waitcnt lgkmcnt(2)
	v_dot4c_i32_i8_e32 v45, v10, v130
	v_dot4c_i32_i8_e32 v140, v6, v130
	;; [unrolled: 1-line block ×4, first 2 shown]
	s_waitcnt lgkmcnt(1)
	v_dot4c_i32_i8_e32 v45, v11, v134
	v_dot4c_i32_i8_e32 v140, v7, v134
	v_dot4c_i32_i8_e32 v141, v9, v134
	v_dot4c_i32_i8_e32 v142, v17, v134
	v_dot4c_i32_i8_e32 v45, v20, v131
	v_dot4c_i32_i8_e32 v140, v14, v131
	v_dot4c_i32_i8_e32 v141, v18, v131
	v_dot4c_i32_i8_e32 v142, v24, v131
	v_dot4c_i32_i8_e32 v45, v21, v135
	v_dot4c_i32_i8_e32 v140, v15, v135
	v_dot4c_i32_i8_e32 v141, v19, v135
	v_dot4c_i32_i8_e32 v142, v25, v135
	v_dot4c_i32_i8_e32 v45, v26, v132
	v_dot4c_i32_i8_e32 v140, v22, v132
	v_dot4c_i32_i8_e32 v141, v28, v132
	v_dot4c_i32_i8_e32 v142, v34, v132
	v_dot4c_i32_i8_e32 v45, v27, v136
	v_dot4c_i32_i8_e32 v140, v23, v136
	v_dot4c_i32_i8_e32 v141, v29, v136
	v_dot4c_i32_i8_e32 v142, v35, v136
	v_dot4c_i32_i8_e32 v45, v30, v133
	v_dot4c_i32_i8_e32 v140, v32, v133
	v_dot4c_i32_i8_e32 v141, v36, v133
	v_dot4c_i32_i8_e32 v142, v38, v133
	v_dot4c_i32_i8_e32 v45, v31, v137
	v_dot4c_i32_i8_e32 v140, v33, v137
	v_dot4c_i32_i8_e32 v141, v37, v137
	v_dot4c_i32_i8_e32 v142, v39, v137
	ds_read_b128 v[130:133], v3 offset:3072
	ds_read_b128 v[134:137], v3 offset:3088
	s_waitcnt lgkmcnt(2)
	v_pk_mul_f32 v[46:47], v[4:5], v[40:41] op_sel_hi:[0,1]
	s_cmp_lt_u32 s0, 28
	s_waitcnt lgkmcnt(1)
	v_dot4c_i32_i8_e32 v138, v10, v130
	s_waitcnt lgkmcnt(0)
	v_dot4c_i32_i8_e32 v138, v11, v134
	v_dot4c_i32_i8_e32 v138, v20, v131
	;; [unrolled: 1-line block ×7, first 2 shown]
	s_nop 2
	v_cvt_f32_i32_e32 v139, v138
	v_cvt_f32_i32_e32 v138, v45
	v_mov_b32_e32 v45, 0
	v_dot4c_i32_i8_e32 v45, v6, v130
	v_dot4c_i32_i8_e32 v45, v7, v134
	v_dot4c_i32_i8_e32 v45, v14, v131
	v_dot4c_i32_i8_e32 v45, v15, v135
	v_dot4c_i32_i8_e32 v45, v22, v132
	v_dot4c_i32_i8_e32 v45, v23, v136
	v_dot4c_i32_i8_e32 v45, v32, v133
	v_dot4c_i32_i8_e32 v45, v33, v137
	v_pk_fma_f32 v[70:71], v[46:47], v[138:139], v[70:71]
	v_cvt_f32_i32_e32 v138, v140
	v_pk_mul_f32 v[46:47], v[0:1], v[40:41] op_sel_hi:[0,1]
	v_cvt_f32_i32_e32 v139, v45
	v_mov_b32_e32 v45, 0
	v_dot4c_i32_i8_e32 v45, v8, v130
	v_dot4c_i32_i8_e32 v45, v9, v134
	v_dot4c_i32_i8_e32 v45, v18, v131
	v_dot4c_i32_i8_e32 v45, v19, v135
	v_dot4c_i32_i8_e32 v45, v28, v132
	v_dot4c_i32_i8_e32 v45, v29, v136
	v_dot4c_i32_i8_e32 v45, v36, v133
	v_dot4c_i32_i8_e32 v45, v37, v137
	v_pk_fma_f32 v[68:69], v[46:47], v[138:139], v[68:69]
	v_cvt_f32_i32_e32 v138, v141
	v_pk_mul_f32 v[46:47], v[2:3], v[40:41] op_sel_hi:[0,1]
	;; [unrolled: 13-line block ×3, first 2 shown]
	v_cvt_f32_i32_e32 v47, v45
	v_mov_b32_e32 v45, 0
	v_mov_b32_e32 v140, 0
	;; [unrolled: 1-line block ×3, first 2 shown]
	v_pk_fma_f32 v[64:65], v[40:41], v[46:47], v[64:65]
	ds_read_b128 v[130:133], v3 offset:4096
	ds_read_b128 v[134:137], v3 offset:4112
	ds_read2_b32 v[40:41], v1 offset0:128 offset1:160
	v_mov_b32_e32 v142, 0
	v_mov_b32_e32 v138, 0
	s_waitcnt lgkmcnt(2)
	v_dot4c_i32_i8_e32 v45, v10, v130
	v_dot4c_i32_i8_e32 v140, v6, v130
	v_dot4c_i32_i8_e32 v141, v8, v130
	v_dot4c_i32_i8_e32 v142, v16, v130
	s_waitcnt lgkmcnt(1)
	v_dot4c_i32_i8_e32 v45, v11, v134
	v_dot4c_i32_i8_e32 v140, v7, v134
	v_dot4c_i32_i8_e32 v141, v9, v134
	v_dot4c_i32_i8_e32 v142, v17, v134
	v_dot4c_i32_i8_e32 v45, v20, v131
	v_dot4c_i32_i8_e32 v140, v14, v131
	v_dot4c_i32_i8_e32 v141, v18, v131
	v_dot4c_i32_i8_e32 v142, v24, v131
	v_dot4c_i32_i8_e32 v45, v21, v135
	v_dot4c_i32_i8_e32 v140, v15, v135
	v_dot4c_i32_i8_e32 v141, v19, v135
	v_dot4c_i32_i8_e32 v142, v25, v135
	v_dot4c_i32_i8_e32 v45, v26, v132
	v_dot4c_i32_i8_e32 v140, v22, v132
	v_dot4c_i32_i8_e32 v141, v28, v132
	v_dot4c_i32_i8_e32 v142, v34, v132
	v_dot4c_i32_i8_e32 v45, v27, v136
	v_dot4c_i32_i8_e32 v140, v23, v136
	v_dot4c_i32_i8_e32 v141, v29, v136
	v_dot4c_i32_i8_e32 v142, v35, v136
	v_dot4c_i32_i8_e32 v45, v30, v133
	v_dot4c_i32_i8_e32 v140, v32, v133
	v_dot4c_i32_i8_e32 v141, v36, v133
	v_dot4c_i32_i8_e32 v142, v38, v133
	v_dot4c_i32_i8_e32 v45, v31, v137
	v_dot4c_i32_i8_e32 v140, v33, v137
	v_dot4c_i32_i8_e32 v141, v37, v137
	v_dot4c_i32_i8_e32 v142, v39, v137
	ds_read_b128 v[130:133], v3 offset:5120
	ds_read_b128 v[134:137], v3 offset:5136
	s_waitcnt lgkmcnt(2)
	v_pk_mul_f32 v[46:47], v[4:5], v[40:41] op_sel_hi:[0,1]
	s_waitcnt lgkmcnt(1)
	v_dot4c_i32_i8_e32 v138, v10, v130
	s_waitcnt lgkmcnt(0)
	v_dot4c_i32_i8_e32 v138, v11, v134
	v_dot4c_i32_i8_e32 v138, v20, v131
	;; [unrolled: 1-line block ×7, first 2 shown]
	s_nop 2
	v_cvt_f32_i32_e32 v139, v138
	v_cvt_f32_i32_e32 v138, v45
	v_mov_b32_e32 v45, 0
	v_dot4c_i32_i8_e32 v45, v6, v130
	v_dot4c_i32_i8_e32 v45, v7, v134
	v_dot4c_i32_i8_e32 v45, v14, v131
	v_dot4c_i32_i8_e32 v45, v15, v135
	v_dot4c_i32_i8_e32 v45, v22, v132
	v_dot4c_i32_i8_e32 v45, v23, v136
	v_dot4c_i32_i8_e32 v45, v32, v133
	v_dot4c_i32_i8_e32 v45, v33, v137
	v_pk_fma_f32 v[62:63], v[46:47], v[138:139], v[62:63]
	v_cvt_f32_i32_e32 v138, v140
	v_pk_mul_f32 v[46:47], v[0:1], v[40:41] op_sel_hi:[0,1]
	v_cvt_f32_i32_e32 v139, v45
	v_mov_b32_e32 v45, 0
	v_dot4c_i32_i8_e32 v45, v8, v130
	v_dot4c_i32_i8_e32 v45, v9, v134
	v_dot4c_i32_i8_e32 v45, v18, v131
	v_dot4c_i32_i8_e32 v45, v19, v135
	v_dot4c_i32_i8_e32 v45, v28, v132
	v_dot4c_i32_i8_e32 v45, v29, v136
	v_dot4c_i32_i8_e32 v45, v36, v133
	v_dot4c_i32_i8_e32 v45, v37, v137
	v_pk_fma_f32 v[60:61], v[46:47], v[138:139], v[60:61]
	v_cvt_f32_i32_e32 v138, v141
	v_pk_mul_f32 v[46:47], v[2:3], v[40:41] op_sel_hi:[0,1]
	;; [unrolled: 13-line block ×3, first 2 shown]
	v_cvt_f32_i32_e32 v47, v45
	v_mov_b32_e32 v45, 0
	v_mov_b32_e32 v138, 0
	;; [unrolled: 1-line block ×3, first 2 shown]
	v_pk_fma_f32 v[56:57], v[40:41], v[46:47], v[56:57]
	ds_read_b128 v[130:133], v3 offset:6144
	ds_read_b128 v[134:137], v3 offset:6160
	ds_read2_b32 v[40:41], v1 offset0:192 offset1:224
	v_mov_b32_e32 v46, 0
	v_mov_b32_e32 v47, 0
	s_waitcnt lgkmcnt(2)
	v_dot4c_i32_i8_e32 v45, v10, v130
	v_dot4c_i32_i8_e32 v46, v6, v130
	;; [unrolled: 1-line block ×4, first 2 shown]
	s_waitcnt lgkmcnt(1)
	v_dot4c_i32_i8_e32 v45, v11, v134
	v_dot4c_i32_i8_e32 v46, v7, v134
	;; [unrolled: 1-line block ×28, first 2 shown]
	ds_read_b128 v[130:133], v3 offset:7168
	ds_read_b128 v[134:137], v3 offset:7184
	s_waitcnt lgkmcnt(1)
	v_dot4c_i32_i8_e32 v139, v10, v130
	s_waitcnt lgkmcnt(0)
	v_dot4c_i32_i8_e32 v139, v11, v134
	v_pk_mul_f32 v[10:11], v[4:5], v[40:41] op_sel_hi:[0,1]
	v_mov_b32_e32 v4, 0
	v_dot4c_i32_i8_e32 v4, v6, v130
	v_dot4c_i32_i8_e32 v4, v7, v134
	v_pk_mul_f32 v[6:7], v[0:1], v[40:41] op_sel_hi:[0,1]
	v_mov_b32_e32 v0, 0
	v_dot4c_i32_i8_e32 v0, v8, v130
	v_dot4c_i32_i8_e32 v0, v9, v134
	;; [unrolled: 1-line block ×16, first 2 shown]
	v_cvt_f32_i32_e32 v20, v45
	v_cvt_f32_i32_e32 v21, v139
	v_dot4c_i32_i8_e32 v4, v22, v132
	v_cvt_f32_i32_e32 v9, v0
	v_mov_b32_e32 v0, 0
	v_dot4c_i32_i8_e32 v4, v23, v136
	v_dot4c_i32_i8_e32 v0, v16, v130
	;; [unrolled: 1-line block ×6, first 2 shown]
	v_pk_fma_f32 v[54:55], v[10:11], v[20:21], v[54:55]
	v_cvt_f32_i32_e32 v10, v46
	v_cvt_f32_i32_e32 v11, v4
	v_dot4c_i32_i8_e32 v0, v25, v135
	v_cvt_f32_i32_e32 v8, v47
	v_dot4c_i32_i8_e32 v0, v34, v132
	v_dot4c_i32_i8_e32 v0, v35, v136
	;; [unrolled: 1-line block ×3, first 2 shown]
	v_pk_fma_f32 v[52:53], v[6:7], v[10:11], v[52:53]
	v_pk_mul_f32 v[6:7], v[2:3], v[40:41] op_sel_hi:[0,1]
	v_dot4c_i32_i8_e32 v0, v39, v137
	v_pk_fma_f32 v[50:51], v[6:7], v[8:9], v[50:51]
	v_cvt_f32_i32_e32 v8, v138
	v_pk_mul_f32 v[6:7], v[12:13], v[40:41] op_sel_hi:[0,1]
	v_cvt_f32_i32_e32 v9, v0
	v_add_u32_e32 v13, 4, v13
	v_add_u32_e32 v5, 32, v5
	;; [unrolled: 1-line block ×3, first 2 shown]
	v_pk_fma_f32 v[48:49], v[6:7], v[8:9], v[48:49]
	v_add_u32_e32 v1, 4, v1
	s_cbranch_scc1 .LBB121_12
; %bb.13:                               ;   in Loop: Header=BB121_7 Depth=1
	s_barrier
	s_branch .LBB121_6
.LBB121_14:
	v_mov_b32_e32 v1, v77
	v_cmp_gt_u32_e32 vcc, s8, v79
	s_and_saveexec_b64 s[0:1], vcc
	s_cbranch_execz .LBB121_3
.LBB121_15:
	v_add_u32_e32 v0, s4, v73
	v_mul_lo_u32 v5, v79, s10
	v_cmp_gt_u32_e32 vcc, s10, v0
	s_and_saveexec_b64 s[0:1], vcc
	s_cbranch_execz .LBB121_17
; %bb.16:
	v_add_u32_e32 v2, v0, v5
	v_mov_b32_e32 v3, 0
	s_waitcnt lgkmcnt(0)
	v_lshl_add_u64 v[2:3], v[2:3], 2, s[12:13]
	global_store_dword v[2:3], v102, off
.LBB121_17:
	s_or_b64 exec, exec, s[0:1]
	v_add_u32_e32 v2, 32, v0
	v_cmp_gt_u32_e64 s[0:1], s10, v2
	s_and_saveexec_b64 s[2:3], s[0:1]
	s_cbranch_execz .LBB121_19
; %bb.18:
	v_add_u32_e32 v6, v2, v5
	v_mov_b32_e32 v7, 0
	s_waitcnt lgkmcnt(0)
	v_lshl_add_u64 v[6:7], v[6:7], 2, s[12:13]
	global_store_dword v[6:7], v106, off
.LBB121_19:
	s_or_b64 exec, exec, s[2:3]
	v_add_u32_e32 v3, 64, v0
	v_cmp_gt_u32_e64 s[2:3], s10, v3
	s_and_saveexec_b64 s[4:5], s[2:3]
	;; [unrolled: 12-line block ×3, first 2 shown]
	s_cbranch_execz .LBB121_23
; %bb.22:
	v_add_u32_e32 v6, v4, v5
	v_mov_b32_e32 v7, 0
	s_waitcnt lgkmcnt(0)
	v_lshl_add_u64 v[6:7], v[6:7], 2, s[12:13]
	global_store_dword v[6:7], v82, off
.LBB121_23:
	s_or_b64 exec, exec, s[6:7]
	v_add3_u32 v5, v1, s11, 8
	v_cmp_gt_u32_e64 s[6:7], s8, v5
	s_and_b64 exec, exec, s[6:7]
	s_cbranch_execz .LBB121_3
; %bb.24:
	v_mul_lo_u32 v5, v5, s10
	s_and_saveexec_b64 s[6:7], vcc
	s_cbranch_execnz .LBB121_64
; %bb.25:
	s_or_b64 exec, exec, s[6:7]
	s_and_saveexec_b64 s[6:7], s[0:1]
	s_cbranch_execnz .LBB121_65
.LBB121_26:
	s_or_b64 exec, exec, s[6:7]
	s_and_saveexec_b64 s[6:7], s[2:3]
	s_cbranch_execnz .LBB121_66
.LBB121_27:
	s_or_b64 exec, exec, s[6:7]
	s_and_saveexec_b64 s[6:7], s[4:5]
	s_cbranch_execz .LBB121_29
.LBB121_28:
	v_add_u32_e32 v6, v5, v4
	v_mov_b32_e32 v7, 0
	s_waitcnt lgkmcnt(0)
	v_lshl_add_u64 v[6:7], v[6:7], 2, s[12:13]
	global_store_dword v[6:7], v83, off
.LBB121_29:
	s_or_b64 exec, exec, s[6:7]
	v_add3_u32 v5, v1, s11, 16
	v_cmp_gt_u32_e64 s[6:7], s8, v5
	s_and_b64 exec, exec, s[6:7]
	s_cbranch_execz .LBB121_3
; %bb.30:
	v_mul_lo_u32 v5, v5, s10
	s_and_saveexec_b64 s[6:7], vcc
	s_cbranch_execnz .LBB121_67
; %bb.31:
	s_or_b64 exec, exec, s[6:7]
	s_and_saveexec_b64 s[6:7], s[0:1]
	s_cbranch_execnz .LBB121_68
.LBB121_32:
	s_or_b64 exec, exec, s[6:7]
	s_and_saveexec_b64 s[6:7], s[2:3]
	s_cbranch_execnz .LBB121_69
.LBB121_33:
	s_or_b64 exec, exec, s[6:7]
	s_and_saveexec_b64 s[6:7], s[4:5]
	s_cbranch_execz .LBB121_35
.LBB121_34:
	v_add_u32_e32 v6, v5, v4
	v_mov_b32_e32 v7, 0
	s_waitcnt lgkmcnt(0)
	v_lshl_add_u64 v[6:7], v[6:7], 2, s[12:13]
	global_store_dword v[6:7], v64, off
.LBB121_35:
	s_or_b64 exec, exec, s[6:7]
	v_add3_u32 v5, v1, s11, 24
	v_cmp_gt_u32_e64 s[6:7], s8, v5
	s_and_b64 exec, exec, s[6:7]
	s_cbranch_execz .LBB121_3
; %bb.36:
	v_mul_lo_u32 v5, v5, s10
	s_and_saveexec_b64 s[6:7], vcc
	s_cbranch_execnz .LBB121_70
; %bb.37:
	s_or_b64 exec, exec, s[6:7]
	s_and_saveexec_b64 s[6:7], s[0:1]
	s_cbranch_execnz .LBB121_71
.LBB121_38:
	s_or_b64 exec, exec, s[6:7]
	s_and_saveexec_b64 s[6:7], s[2:3]
	s_cbranch_execnz .LBB121_72
.LBB121_39:
	s_or_b64 exec, exec, s[6:7]
	s_and_saveexec_b64 s[6:7], s[4:5]
	s_cbranch_execz .LBB121_41
.LBB121_40:
	v_add_u32_e32 v6, v5, v4
	v_mov_b32_e32 v7, 0
	s_waitcnt lgkmcnt(0)
	v_lshl_add_u64 v[6:7], v[6:7], 2, s[12:13]
	global_store_dword v[6:7], v65, off
.LBB121_41:
	s_or_b64 exec, exec, s[6:7]
	v_add3_u32 v5, v1, s11, 32
	v_cmp_gt_u32_e64 s[6:7], s8, v5
	s_and_b64 exec, exec, s[6:7]
	s_cbranch_execz .LBB121_3
; %bb.42:
	v_mul_lo_u32 v5, v5, s10
	s_and_saveexec_b64 s[6:7], vcc
	s_cbranch_execnz .LBB121_73
; %bb.43:
	s_or_b64 exec, exec, s[6:7]
	s_and_saveexec_b64 s[6:7], s[0:1]
	s_cbranch_execnz .LBB121_74
.LBB121_44:
	s_or_b64 exec, exec, s[6:7]
	s_and_saveexec_b64 s[6:7], s[2:3]
	s_cbranch_execnz .LBB121_75
.LBB121_45:
	s_or_b64 exec, exec, s[6:7]
	s_and_saveexec_b64 s[6:7], s[4:5]
	s_cbranch_execz .LBB121_47
.LBB121_46:
	v_add_u32_e32 v6, v5, v4
	v_mov_b32_e32 v7, 0
	s_waitcnt lgkmcnt(0)
	v_lshl_add_u64 v[6:7], v[6:7], 2, s[12:13]
	global_store_dword v[6:7], v56, off
.LBB121_47:
	s_or_b64 exec, exec, s[6:7]
	v_add3_u32 v5, v1, s11, 40
	v_cmp_gt_u32_e64 s[6:7], s8, v5
	s_and_b64 exec, exec, s[6:7]
	s_cbranch_execz .LBB121_3
; %bb.48:
	v_mul_lo_u32 v5, v5, s10
	s_and_saveexec_b64 s[6:7], vcc
	s_cbranch_execnz .LBB121_76
; %bb.49:
	s_or_b64 exec, exec, s[6:7]
	s_and_saveexec_b64 s[6:7], s[0:1]
	s_cbranch_execnz .LBB121_77
.LBB121_50:
	s_or_b64 exec, exec, s[6:7]
	s_and_saveexec_b64 s[6:7], s[2:3]
	s_cbranch_execnz .LBB121_78
.LBB121_51:
	s_or_b64 exec, exec, s[6:7]
	s_and_saveexec_b64 s[6:7], s[4:5]
	s_cbranch_execz .LBB121_53
.LBB121_52:
	v_add_u32_e32 v6, v5, v4
	v_mov_b32_e32 v7, 0
	s_waitcnt lgkmcnt(0)
	v_lshl_add_u64 v[6:7], v[6:7], 2, s[12:13]
	global_store_dword v[6:7], v57, off
.LBB121_53:
	s_or_b64 exec, exec, s[6:7]
	v_add3_u32 v5, v1, s11, 48
	v_cmp_gt_u32_e64 s[6:7], s8, v5
	s_and_b64 exec, exec, s[6:7]
	s_cbranch_execz .LBB121_3
; %bb.54:
	v_mul_lo_u32 v5, v5, s10
	s_and_saveexec_b64 s[6:7], vcc
	s_cbranch_execnz .LBB121_79
; %bb.55:
	s_or_b64 exec, exec, s[6:7]
	s_and_saveexec_b64 s[6:7], s[0:1]
	s_cbranch_execnz .LBB121_80
.LBB121_56:
	s_or_b64 exec, exec, s[6:7]
	s_and_saveexec_b64 s[6:7], s[2:3]
	s_cbranch_execnz .LBB121_81
.LBB121_57:
	s_or_b64 exec, exec, s[6:7]
	s_and_saveexec_b64 s[6:7], s[4:5]
	s_cbranch_execz .LBB121_59
.LBB121_58:
	v_add_u32_e32 v6, v5, v4
	v_mov_b32_e32 v7, 0
	s_waitcnt lgkmcnt(0)
	v_lshl_add_u64 v[6:7], v[6:7], 2, s[12:13]
	global_store_dword v[6:7], v48, off
.LBB121_59:
	s_or_b64 exec, exec, s[6:7]
	v_add3_u32 v1, v1, s11, 56
	v_cmp_gt_u32_e64 s[6:7], s8, v1
	s_and_b64 exec, exec, s[6:7]
	s_cbranch_execz .LBB121_3
; %bb.60:
	v_mul_lo_u32 v1, v1, s10
	s_and_saveexec_b64 s[6:7], vcc
	s_cbranch_execnz .LBB121_82
; %bb.61:
	s_or_b64 exec, exec, s[6:7]
	s_and_saveexec_b64 s[6:7], s[0:1]
	s_cbranch_execnz .LBB121_83
.LBB121_62:
	s_or_b64 exec, exec, s[6:7]
	s_and_saveexec_b64 s[0:1], s[2:3]
	s_cbranch_execnz .LBB121_84
.LBB121_63:
	s_or_b64 exec, exec, s[0:1]
	s_and_b64 exec, exec, s[4:5]
	s_cbranch_execz .LBB121_3
	s_branch .LBB121_85
.LBB121_64:
	v_add_u32_e32 v6, v5, v0
	v_mov_b32_e32 v7, 0
	s_waitcnt lgkmcnt(0)
	v_lshl_add_u64 v[6:7], v[6:7], 2, s[12:13]
	global_store_dword v[6:7], v103, off
	s_or_b64 exec, exec, s[6:7]
	s_and_saveexec_b64 s[6:7], s[0:1]
	s_cbranch_execz .LBB121_26
.LBB121_65:
	v_add_u32_e32 v6, v5, v2
	v_mov_b32_e32 v7, 0
	s_waitcnt lgkmcnt(0)
	v_lshl_add_u64 v[6:7], v[6:7], 2, s[12:13]
	global_store_dword v[6:7], v107, off
	s_or_b64 exec, exec, s[6:7]
	s_and_saveexec_b64 s[6:7], s[2:3]
	s_cbranch_execz .LBB121_27
.LBB121_66:
	v_add_u32_e32 v6, v5, v3
	v_mov_b32_e32 v7, 0
	s_waitcnt lgkmcnt(0)
	v_lshl_add_u64 v[6:7], v[6:7], 2, s[12:13]
	global_store_dword v[6:7], v95, off
	s_or_b64 exec, exec, s[6:7]
	s_and_saveexec_b64 s[6:7], s[4:5]
	s_cbranch_execnz .LBB121_28
	s_branch .LBB121_29
.LBB121_67:
	v_add_u32_e32 v6, v5, v0
	v_mov_b32_e32 v7, 0
	s_waitcnt lgkmcnt(0)
	v_lshl_add_u64 v[6:7], v[6:7], 2, s[12:13]
	global_store_dword v[6:7], v70, off
	s_or_b64 exec, exec, s[6:7]
	s_and_saveexec_b64 s[6:7], s[0:1]
	s_cbranch_execz .LBB121_32
.LBB121_68:
	v_add_u32_e32 v6, v5, v2
	v_mov_b32_e32 v7, 0
	s_waitcnt lgkmcnt(0)
	v_lshl_add_u64 v[6:7], v[6:7], 2, s[12:13]
	global_store_dword v[6:7], v68, off
	s_or_b64 exec, exec, s[6:7]
	s_and_saveexec_b64 s[6:7], s[2:3]
	s_cbranch_execz .LBB121_33
.LBB121_69:
	v_add_u32_e32 v6, v5, v3
	v_mov_b32_e32 v7, 0
	s_waitcnt lgkmcnt(0)
	v_lshl_add_u64 v[6:7], v[6:7], 2, s[12:13]
	global_store_dword v[6:7], v66, off
	s_or_b64 exec, exec, s[6:7]
	s_and_saveexec_b64 s[6:7], s[4:5]
	s_cbranch_execnz .LBB121_34
	s_branch .LBB121_35
.LBB121_70:
	v_add_u32_e32 v6, v5, v0
	v_mov_b32_e32 v7, 0
	s_waitcnt lgkmcnt(0)
	v_lshl_add_u64 v[6:7], v[6:7], 2, s[12:13]
	global_store_dword v[6:7], v71, off
	s_or_b64 exec, exec, s[6:7]
	s_and_saveexec_b64 s[6:7], s[0:1]
	s_cbranch_execz .LBB121_38
.LBB121_71:
	v_add_u32_e32 v6, v5, v2
	v_mov_b32_e32 v7, 0
	s_waitcnt lgkmcnt(0)
	v_lshl_add_u64 v[6:7], v[6:7], 2, s[12:13]
	global_store_dword v[6:7], v69, off
	s_or_b64 exec, exec, s[6:7]
	s_and_saveexec_b64 s[6:7], s[2:3]
	s_cbranch_execz .LBB121_39
.LBB121_72:
	v_add_u32_e32 v6, v5, v3
	v_mov_b32_e32 v7, 0
	s_waitcnt lgkmcnt(0)
	v_lshl_add_u64 v[6:7], v[6:7], 2, s[12:13]
	global_store_dword v[6:7], v67, off
	s_or_b64 exec, exec, s[6:7]
	s_and_saveexec_b64 s[6:7], s[4:5]
	s_cbranch_execnz .LBB121_40
	s_branch .LBB121_41
.LBB121_73:
	v_add_u32_e32 v6, v5, v0
	v_mov_b32_e32 v7, 0
	s_waitcnt lgkmcnt(0)
	v_lshl_add_u64 v[6:7], v[6:7], 2, s[12:13]
	global_store_dword v[6:7], v62, off
	s_or_b64 exec, exec, s[6:7]
	s_and_saveexec_b64 s[6:7], s[0:1]
	s_cbranch_execz .LBB121_44
.LBB121_74:
	v_add_u32_e32 v6, v5, v2
	v_mov_b32_e32 v7, 0
	s_waitcnt lgkmcnt(0)
	v_lshl_add_u64 v[6:7], v[6:7], 2, s[12:13]
	global_store_dword v[6:7], v60, off
	s_or_b64 exec, exec, s[6:7]
	s_and_saveexec_b64 s[6:7], s[2:3]
	s_cbranch_execz .LBB121_45
.LBB121_75:
	v_add_u32_e32 v6, v5, v3
	v_mov_b32_e32 v7, 0
	s_waitcnt lgkmcnt(0)
	v_lshl_add_u64 v[6:7], v[6:7], 2, s[12:13]
	global_store_dword v[6:7], v58, off
	s_or_b64 exec, exec, s[6:7]
	s_and_saveexec_b64 s[6:7], s[4:5]
	s_cbranch_execnz .LBB121_46
	s_branch .LBB121_47
.LBB121_76:
	v_add_u32_e32 v6, v5, v0
	v_mov_b32_e32 v7, 0
	s_waitcnt lgkmcnt(0)
	v_lshl_add_u64 v[6:7], v[6:7], 2, s[12:13]
	global_store_dword v[6:7], v63, off
	s_or_b64 exec, exec, s[6:7]
	s_and_saveexec_b64 s[6:7], s[0:1]
	s_cbranch_execz .LBB121_50
.LBB121_77:
	v_add_u32_e32 v6, v5, v2
	v_mov_b32_e32 v7, 0
	s_waitcnt lgkmcnt(0)
	v_lshl_add_u64 v[6:7], v[6:7], 2, s[12:13]
	global_store_dword v[6:7], v61, off
	s_or_b64 exec, exec, s[6:7]
	s_and_saveexec_b64 s[6:7], s[2:3]
	s_cbranch_execz .LBB121_51
.LBB121_78:
	v_add_u32_e32 v6, v5, v3
	v_mov_b32_e32 v7, 0
	s_waitcnt lgkmcnt(0)
	v_lshl_add_u64 v[6:7], v[6:7], 2, s[12:13]
	global_store_dword v[6:7], v59, off
	s_or_b64 exec, exec, s[6:7]
	s_and_saveexec_b64 s[6:7], s[4:5]
	s_cbranch_execnz .LBB121_52
	s_branch .LBB121_53
.LBB121_79:
	v_add_u32_e32 v6, v5, v0
	v_mov_b32_e32 v7, 0
	s_waitcnt lgkmcnt(0)
	v_lshl_add_u64 v[6:7], v[6:7], 2, s[12:13]
	global_store_dword v[6:7], v54, off
	s_or_b64 exec, exec, s[6:7]
	s_and_saveexec_b64 s[6:7], s[0:1]
	s_cbranch_execz .LBB121_56
.LBB121_80:
	v_add_u32_e32 v6, v5, v2
	v_mov_b32_e32 v7, 0
	s_waitcnt lgkmcnt(0)
	v_lshl_add_u64 v[6:7], v[6:7], 2, s[12:13]
	global_store_dword v[6:7], v52, off
	s_or_b64 exec, exec, s[6:7]
	s_and_saveexec_b64 s[6:7], s[2:3]
	s_cbranch_execz .LBB121_57
.LBB121_81:
	v_add_u32_e32 v6, v5, v3
	v_mov_b32_e32 v7, 0
	s_waitcnt lgkmcnt(0)
	v_lshl_add_u64 v[6:7], v[6:7], 2, s[12:13]
	global_store_dword v[6:7], v50, off
	s_or_b64 exec, exec, s[6:7]
	s_and_saveexec_b64 s[6:7], s[4:5]
	s_cbranch_execnz .LBB121_58
	s_branch .LBB121_59
.LBB121_82:
	v_add_u32_e32 v6, v1, v0
	v_mov_b32_e32 v7, 0
	s_waitcnt lgkmcnt(0)
	v_lshl_add_u64 v[6:7], v[6:7], 2, s[12:13]
	global_store_dword v[6:7], v55, off
	s_or_b64 exec, exec, s[6:7]
	s_and_saveexec_b64 s[6:7], s[0:1]
	s_cbranch_execz .LBB121_62
.LBB121_83:
	v_add_u32_e32 v6, v1, v2
	v_mov_b32_e32 v7, 0
	s_waitcnt lgkmcnt(0)
	v_lshl_add_u64 v[6:7], v[6:7], 2, s[12:13]
	global_store_dword v[6:7], v53, off
	s_or_b64 exec, exec, s[6:7]
	s_and_saveexec_b64 s[0:1], s[2:3]
	s_cbranch_execz .LBB121_63
.LBB121_84:
	v_add_u32_e32 v2, v1, v3
	v_mov_b32_e32 v3, 0
	s_waitcnt lgkmcnt(0)
	v_lshl_add_u64 v[2:3], v[2:3], 2, s[12:13]
	global_store_dword v[2:3], v51, off
	s_or_b64 exec, exec, s[0:1]
	s_and_b64 exec, exec, s[4:5]
	s_cbranch_execz .LBB121_3
.LBB121_85:
	v_add_u32_e32 v0, v1, v4
	v_mov_b32_e32 v1, 0
	s_waitcnt lgkmcnt(0)
	v_lshl_add_u64 v[0:1], v[0:1], 2, s[12:13]
	global_store_dword v[0:1], v49, off
	s_endpgm
	.section	.rodata,"a",@progbits
	.p2align	6, 0x0
	.amdhsa_kernel _ZL12mul_mat_q5_0IfLb0EEvPKvS1_PT_iiiii
		.amdhsa_group_segment_fixed_size 46720
		.amdhsa_private_segment_fixed_size 0
		.amdhsa_kernarg_size 44
		.amdhsa_user_sgpr_count 2
		.amdhsa_user_sgpr_dispatch_ptr 0
		.amdhsa_user_sgpr_queue_ptr 0
		.amdhsa_user_sgpr_kernarg_segment_ptr 1
		.amdhsa_user_sgpr_dispatch_id 0
		.amdhsa_user_sgpr_kernarg_preload_length 0
		.amdhsa_user_sgpr_kernarg_preload_offset 0
		.amdhsa_user_sgpr_private_segment_size 0
		.amdhsa_uses_dynamic_stack 0
		.amdhsa_enable_private_segment 0
		.amdhsa_system_sgpr_workgroup_id_x 1
		.amdhsa_system_sgpr_workgroup_id_y 1
		.amdhsa_system_sgpr_workgroup_id_z 0
		.amdhsa_system_sgpr_workgroup_info 0
		.amdhsa_system_vgpr_workitem_id 1
		.amdhsa_next_free_vgpr 247
		.amdhsa_next_free_sgpr 96
		.amdhsa_accum_offset 248
		.amdhsa_reserve_vcc 1
		.amdhsa_float_round_mode_32 0
		.amdhsa_float_round_mode_16_64 0
		.amdhsa_float_denorm_mode_32 3
		.amdhsa_float_denorm_mode_16_64 3
		.amdhsa_dx10_clamp 1
		.amdhsa_ieee_mode 1
		.amdhsa_fp16_overflow 0
		.amdhsa_tg_split 0
		.amdhsa_exception_fp_ieee_invalid_op 0
		.amdhsa_exception_fp_denorm_src 0
		.amdhsa_exception_fp_ieee_div_zero 0
		.amdhsa_exception_fp_ieee_overflow 0
		.amdhsa_exception_fp_ieee_underflow 0
		.amdhsa_exception_fp_ieee_inexact 0
		.amdhsa_exception_int_div_zero 0
	.end_amdhsa_kernel
	.section	.text._ZL12mul_mat_q5_0IfLb0EEvPKvS1_PT_iiiii,"axG",@progbits,_ZL12mul_mat_q5_0IfLb0EEvPKvS1_PT_iiiii,comdat
.Lfunc_end121:
	.size	_ZL12mul_mat_q5_0IfLb0EEvPKvS1_PT_iiiii, .Lfunc_end121-_ZL12mul_mat_q5_0IfLb0EEvPKvS1_PT_iiiii
                                        ; -- End function
	.set _ZL12mul_mat_q5_0IfLb0EEvPKvS1_PT_iiiii.num_vgpr, 247
	.set _ZL12mul_mat_q5_0IfLb0EEvPKvS1_PT_iiiii.num_agpr, 0
	.set _ZL12mul_mat_q5_0IfLb0EEvPKvS1_PT_iiiii.numbered_sgpr, 20
	.set _ZL12mul_mat_q5_0IfLb0EEvPKvS1_PT_iiiii.num_named_barrier, 0
	.set _ZL12mul_mat_q5_0IfLb0EEvPKvS1_PT_iiiii.private_seg_size, 0
	.set _ZL12mul_mat_q5_0IfLb0EEvPKvS1_PT_iiiii.uses_vcc, 1
	.set _ZL12mul_mat_q5_0IfLb0EEvPKvS1_PT_iiiii.uses_flat_scratch, 0
	.set _ZL12mul_mat_q5_0IfLb0EEvPKvS1_PT_iiiii.has_dyn_sized_stack, 0
	.set _ZL12mul_mat_q5_0IfLb0EEvPKvS1_PT_iiiii.has_recursion, 0
	.set _ZL12mul_mat_q5_0IfLb0EEvPKvS1_PT_iiiii.has_indirect_call, 0
	.section	.AMDGPU.csdata,"",@progbits
; Kernel info:
; codeLenInByte = 13904
; TotalNumSgprs: 26
; NumVgprs: 247
; NumAgprs: 0
; TotalNumVgprs: 247
; ScratchSize: 0
; MemoryBound: 0
; FloatMode: 240
; IeeeMode: 1
; LDSByteSize: 46720 bytes/workgroup (compile time only)
; SGPRBlocks: 12
; VGPRBlocks: 30
; NumSGPRsForWavesPerEU: 102
; NumVGPRsForWavesPerEU: 247
; AccumOffset: 248
; Occupancy: 2
; WaveLimiterHint : 0
; COMPUTE_PGM_RSRC2:SCRATCH_EN: 0
; COMPUTE_PGM_RSRC2:USER_SGPR: 2
; COMPUTE_PGM_RSRC2:TRAP_HANDLER: 0
; COMPUTE_PGM_RSRC2:TGID_X_EN: 1
; COMPUTE_PGM_RSRC2:TGID_Y_EN: 1
; COMPUTE_PGM_RSRC2:TGID_Z_EN: 0
; COMPUTE_PGM_RSRC2:TIDIG_COMP_CNT: 1
; COMPUTE_PGM_RSRC3_GFX90A:ACCUM_OFFSET: 61
; COMPUTE_PGM_RSRC3_GFX90A:TG_SPLIT: 0
	.section	.text._ZL12mul_mat_q5_0IfLb1EEvPKvS1_PT_iiiii,"axG",@progbits,_ZL12mul_mat_q5_0IfLb1EEvPKvS1_PT_iiiii,comdat
	.globl	_ZL12mul_mat_q5_0IfLb1EEvPKvS1_PT_iiiii ; -- Begin function _ZL12mul_mat_q5_0IfLb1EEvPKvS1_PT_iiiii
	.p2align	8
	.type	_ZL12mul_mat_q5_0IfLb1EEvPKvS1_PT_iiiii,@function
_ZL12mul_mat_q5_0IfLb1EEvPKvS1_PT_iiiii: ; @_ZL12mul_mat_q5_0IfLb1EEvPKvS1_PT_iiiii
; %bb.0:
	s_load_dwordx4 s[8:11], s[0:1], 0x18
	s_load_dword s14, s[0:1], 0x28
	s_lshl_b32 s15, s3, 6
	v_bfe_u32 v77, v0, 10, 10
	s_waitcnt lgkmcnt(0)
	s_cmp_gt_i32 s8, 31
	s_cbranch_scc1 .LBB122_4
; %bb.1:
	v_bfe_u32 v1, v0, 10, 10
	v_and_b32_e32 v73, 0x3ff, v0
	v_add_u32_e32 v79, s15, v1
	s_load_dwordx2 s[12:13], s[0:1], 0x10
	s_lshl_b32 s4, s2, 7
	s_cbranch_execz .LBB122_5
; %bb.2:
	v_mov_b32_e32 v48, 0
	v_mov_b32_e32 v49, v48
	v_mov_b64_e32 v[56:57], v[48:49]
	v_mov_b64_e32 v[64:65], v[48:49]
	;; [unrolled: 1-line block ×15, first 2 shown]
	v_cmp_gt_u32_e32 vcc, s10, v79
	s_and_saveexec_b64 s[0:1], vcc
	s_cbranch_execnz .LBB122_15
.LBB122_3:
	s_endpgm
.LBB122_4:
                                        ; implicit-def: $vgpr1
                                        ; implicit-def: $vgpr73
                                        ; implicit-def: $vgpr79
	s_load_dwordx2 s[12:13], s[0:1], 0x10
	s_lshl_b32 s4, s2, 7
.LBB122_5:
	s_ashr_i32 s5, s8, 31
	s_load_dwordx4 s[0:3], s[0:1], 0x0
	s_lshr_b32 s5, s5, 27
	s_ashr_i32 s6, s11, 31
	s_add_i32 s5, s8, s5
	s_lshr_b32 s6, s6, 27
	s_ashr_i32 s5, s5, 5
	s_add_i32 s6, s11, s6
	s_ashr_i32 s11, s6, 5
	s_mul_i32 s6, s5, s4
	s_mul_hi_i32 s7, s6, 22
	s_mul_i32 s6, s6, 22
	s_waitcnt lgkmcnt(0)
	s_add_u32 s6, s0, s6
	s_addc_u32 s7, s1, s7
	s_not_b32 s0, s4
	s_add_i32 s1, s9, s0
	v_and_b32_e32 v73, 0x3ff, v0
	v_min_i32_e32 v1, s1, v77
	v_lshlrev_b32_e32 v4, 3, v73
	s_movk_i32 s0, 0x104
	v_mul_lo_u32 v76, v1, s5
	v_mad_u64_u32 v[78:79], s[8:9], v1, s0, v[4:5]
	v_add_u32_e32 v1, 8, v77
	v_min_i32_e32 v3, s1, v1
	v_add_u32_e32 v8, 16, v77
	v_mul_lo_u32 v80, v3, s5
	v_mad_u64_u32 v[82:83], s[8:9], v3, s0, v[4:5]
	v_min_i32_e32 v3, s1, v8
	v_add_u32_e32 v9, 24, v77
	v_mul_lo_u32 v84, v3, s5
	v_mad_u64_u32 v[86:87], s[8:9], v3, s0, v[4:5]
	;; [unrolled: 4-line block ×6, first 2 shown]
	v_min_i32_e32 v3, s1, v13
	v_mul_lo_u32 v104, v3, s5
	v_mad_u64_u32 v[106:107], s[8:9], v3, s0, v[4:5]
	v_add_u32_e32 v3, 64, v77
	v_min_i32_e32 v3, s1, v3
	v_mul_lo_u32 v108, v3, s5
	v_mad_u64_u32 v[110:111], s[8:9], v3, s0, v[4:5]
	v_add_u32_e32 v3, 0x48, v77
	;; [unrolled: 4-line block ×8, first 2 shown]
	v_min_i32_e32 v3, s1, v3
	v_bfe_u32 v81, v0, 3, 7
	v_mul_lo_u32 v140, v3, s5
	v_mad_u64_u32 v[142:143], s[8:9], v3, s0, v[4:5]
	v_lshl_add_u32 v3, v77, 2, v81
	v_min_i32_e32 v4, s1, v3
	v_ashrrev_i32_e32 v5, 31, v4
	v_lshrrev_b32_e32 v5, 30, v5
	v_and_b32_e32 v146, 7, v0
	v_mul_lo_u32 v150, v4, s5
	v_add_u32_e32 v5, v4, v5
	v_lshlrev_b32_e32 v15, 5, v4
	v_add_u32_e32 v4, 32, v3
	v_and_b32_e32 v5, -4, v5
	v_lshlrev_b32_e32 v6, 2, v146
	s_mov_b32 s8, 0xa200
	v_min_i32_e32 v4, s1, v4
	v_add3_u32 v14, v5, v6, s8
	v_ashrrev_i32_e32 v5, 31, v4
	v_lshrrev_b32_e32 v5, 30, v5
	v_mul_lo_u32 v152, v4, s5
	v_add_u32_e32 v5, v4, v5
	v_lshlrev_b32_e32 v17, 5, v4
	v_add_u32_e32 v4, 64, v3
	v_and_b32_e32 v5, -4, v5
	v_min_i32_e32 v4, s1, v4
	v_add3_u32 v16, v5, v6, s8
	v_ashrrev_i32_e32 v5, 31, v4
	v_add_u32_e32 v3, 0x60, v3
	v_lshrrev_b32_e32 v5, 30, v5
	v_min_i32_e32 v3, s1, v3
	v_mul_lo_u32 v154, v4, s5
	v_add_u32_e32 v5, v4, v5
	v_lshlrev_b32_e32 v19, 5, v4
	v_ashrrev_i32_e32 v4, 31, v3
	v_lshrrev_b32_e32 v4, 30, v4
	v_bfe_u32 v72, v0, 2, 8
	v_mul_lo_u32 v156, v3, s5
	v_add_u32_e32 v4, v3, v4
	v_lshlrev_b32_e32 v21, 5, v3
	v_and_b32_e32 v3, 31, v0
	v_mov_b32_e32 v22, 0x8200
	v_lshl_or_b32 v83, v3, 2, v22
	v_lshl_add_u32 v3, v77, 3, v72
	v_and_b32_e32 v3, 63, v3
	v_and_b32_e32 v2, 3, v0
	s_add_i32 s1, s10, -1
	v_or_b32_e32 v22, s15, v3
	v_lshlrev_b32_e32 v74, 2, v2
	v_and_b32_e32 v5, -4, v5
	v_and_b32_e32 v4, -4, v4
	v_min_i32_e32 v22, s1, v22
	v_add3_u32 v18, v5, v6, s8
	v_add3_u32 v20, v4, v6, s8
	v_add_u32_e32 v79, s15, v77
	v_mad_u64_u32 v[158:159], s[8:9], v22, s11, v[2:3]
	v_lshl_or_b32 v2, v3, 4, v74
	v_cvt_f64_i32_e32 v[4:5], s1
	v_add_u32_e32 v85, 0xb280, v2
	v_cvt_f64_u32_e32 v[2:3], v79
	v_min_f64 v[2:3], v[2:3], v[4:5]
	v_cvt_i32_f64_e32 v2, v[2:3]
	v_mul_lo_u32 v87, s11, v2
	v_add_u32_e32 v2, 8, v79
	v_cvt_f64_u32_e32 v[2:3], v2
	v_min_f64 v[2:3], v[2:3], v[4:5]
	v_cvt_i32_f64_e32 v2, v[2:3]
	v_mul_lo_u32 v91, s11, v2
	;; [unrolled: 5-line block ×7, first 2 shown]
	v_add_u32_e32 v2, 56, v79
	v_mov_b32_e32 v75, 0
	v_lshlrev_b32_e32 v6, 2, v73
	v_cvt_f64_u32_e32 v[2:3], v2
	v_and_b32_e32 v6, 28, v6
	v_mov_b32_e32 v7, v75
	v_min_f64 v[2:3], v[2:3], v[4:5]
	v_cvt_i32_f64_e32 v2, v[2:3]
	v_add_u32_e32 v3, 32, v73
	v_add_u32_e32 v4, 64, v73
	;; [unrolled: 1-line block ×3, first 2 shown]
	v_lshl_add_u64 v[160:161], s[2:3], 0, v[6:7]
	v_lshlrev_b32_e32 v6, 5, v73
	v_and_b32_e32 v0, 0xfc, v0
	v_lshrrev_b32_e32 v107, 3, v3
	v_and_b32_e32 v5, 0x1fc, v5
	v_and_b32_e32 v4, 0x1fc, v4
	;; [unrolled: 1-line block ×3, first 2 shown]
	v_add_u32_e32 v0, v6, v0
	v_lshlrev_b32_e32 v89, 7, v77
	v_lshlrev_b32_e32 v1, 7, v1
	;; [unrolled: 1-line block ×7, first 2 shown]
	v_mul_lo_u32 v103, s11, v2
	v_lshlrev_b32_e32 v2, 7, v13
	v_add_u32_e32 v5, v6, v5
	v_add_u32_e32 v4, v6, v4
	;; [unrolled: 1-line block ×4, first 2 shown]
	v_mov_b32_e32 v6, 0xb280
	v_add_u32_e32 v129, 0xa210, v0
	v_mov_b32_e32 v0, 0x80
	v_mov_b32_e32 v144, v75
	;; [unrolled: 1-line block ×3, first 2 shown]
	s_add_i32 s8, s5, 3
	v_mul_u32_u24_e32 v105, 0x104, v73
	v_add_u32_e32 v109, 0xae00, v5
	v_add_u32_e32 v111, 0xaa00, v4
	;; [unrolled: 1-line block ×3, first 2 shown]
	v_lshl_add_u32 v117, v77, 4, v6
	v_add_u32_e32 v119, 0x8200, v89
	v_add_u32_e32 v123, 0xae10, v5
	;; [unrolled: 1-line block ×4, first 2 shown]
	v_mad_u32_u24 v131, v73, s0, v0
	s_mov_b32 s9, 0
	s_movk_i32 s11, 0x1f00
	s_mov_b32 s16, 0xc0c0105
	v_add_u32_e32 v135, v14, v15
	v_add_u32_e32 v137, v16, v17
	;; [unrolled: 1-line block ×4, first 2 shown]
	v_mov_b32_e32 v143, 8
	v_add_u32_e32 v147, v83, v1
	v_add_u32_e32 v151, v83, v8
	;; [unrolled: 1-line block ×7, first 2 shown]
	v_mov_b64_e32 v[70:71], v[144:145]
	v_mov_b64_e32 v[62:63], v[144:145]
	;; [unrolled: 1-line block ×15, first 2 shown]
	s_branch .LBB122_7
.LBB122_6:                              ;   in Loop: Header=BB122_7 Depth=1
	s_add_i32 s9, s9, 8
	s_add_i32 s8, s8, -8
	s_cmp_ge_i32 s9, s5
	s_cbranch_scc1 .LBB122_14
.LBB122_7:                              ; =>This Loop Header: Depth=1
                                        ;     Child Loop BB122_9 Depth 2
                                        ;     Child Loop BB122_12 Depth 2
	s_mul_i32 s0, s9, 22
	s_mul_hi_u32 s1, s9, 22
	s_add_u32 s0, s6, s0
	s_addc_u32 s1, s7, s1
	v_mad_u64_u32 v[0:1], s[18:19], v72, 22, s[0:1]
	v_mad_i64_i32 v[2:3], s[18:19], v76, 22, v[0:1]
	v_mad_i64_i32 v[10:11], s[18:19], v88, 22, v[0:1]
	v_lshl_add_u64 v[4:5], v[2:3], 0, v[74:75]
	v_mad_i64_i32 v[6:7], s[18:19], v80, 22, v[0:1]
	v_mad_i64_i32 v[8:9], s[18:19], v84, 22, v[0:1]
	global_load_dword v18, v[10:11], off offset:2
	global_load_dword v12, v[8:9], off offset:2
	;; [unrolled: 1-line block ×5, first 2 shown]
	v_lshl_add_u64 v[2:3], v[6:7], 0, v[74:75]
	global_load_dword v6, v[2:3], off offset:6
	v_lshl_add_u64 v[2:3], v[8:9], 0, v[74:75]
	v_lshl_add_u64 v[4:5], v[10:11], 0, v[74:75]
	global_load_dword v19, v[2:3], off offset:6
	global_load_dword v20, v[4:5], off offset:6
	s_cmp_gt_u32 s8, 3
	s_waitcnt vmcnt(5)
	v_ashrrev_i32_e32 v5, v74, v13
	s_waitcnt vmcnt(4)
	v_ashrrev_i32_e32 v2, v74, v14
	s_waitcnt vmcnt(3)
	v_lshrrev_b32_e32 v4, 4, v15
	v_lshlrev_b32_e32 v8, 4, v2
	v_lshlrev_b32_e32 v9, 11, v2
	;; [unrolled: 1-line block ×4, first 2 shown]
	v_lshrrev_b32_e32 v13, 12, v2
	v_lshrrev_b32_e32 v14, 5, v2
	v_and_b32_e32 v3, 0xf0f0f0f, v15
	v_and_b32_e32 v4, 0xf0f0f0f, v4
	;; [unrolled: 1-line block ×8, first 2 shown]
	v_lshlrev_b32_e32 v15, 2, v2
	v_lshlrev_b32_e32 v2, 9, v2
	v_or3_b32 v8, v8, v3, v9
	v_or3_b32 v3, v3, v10, v11
	;; [unrolled: 1-line block ×3, first 2 shown]
	v_and_b32_e32 v15, 0x100000, v15
	v_and_b32_e32 v2, 0x10000000, v2
	;; [unrolled: 1-line block ×3, first 2 shown]
	v_lshlrev_b16_e32 v8, 8, v8
	v_and_b32_sdwa v11, v3, s11 dst_sel:DWORD dst_unused:UNUSED_PAD src0_sel:WORD_1 src1_sel:DWORD
	v_lshlrev_b16_sdwa v3, v143, v3 dst_sel:DWORD dst_unused:UNUSED_PAD src0_sel:DWORD src1_sel:WORD_1
	v_lshlrev_b16_e32 v14, 8, v9
	v_or3_b32 v2, v4, v15, v2
	v_add_u16_e32 v10, 0xf000, v10
	v_add_u16_e32 v8, 0xf000, v8
	;; [unrolled: 1-line block ×5, first 2 shown]
	v_and_b32_sdwa v13, v2, s11 dst_sel:DWORD dst_unused:UNUSED_PAD src0_sel:WORD_1 src1_sel:DWORD
	v_lshlrev_b16_sdwa v2, v143, v2 dst_sel:DWORD dst_unused:UNUSED_PAD src0_sel:DWORD src1_sel:WORD_1
	v_perm_b32 v8, v8, v10, s16
	v_perm_b32 v3, v3, v11, s16
	v_lshrrev_b16_e32 v10, 8, v14
	v_add_u16_e32 v13, 0xf000, v13
	v_add_u16_e32 v2, 0xf000, v2
	v_lshl_or_b32 v3, v3, 16, v8
	v_bitop3_b16 v8, v9, v10, s11 bitop3:0xec
	v_perm_b32 v2, v2, v13, s16
	v_add_u16_e32 v8, 0xf000, v8
	s_waitcnt vmcnt(2)
	v_and_b32_e32 v7, 0xf0f0f0f, v6
	v_lshrrev_b32_e32 v6, 4, v6
	v_lshl_or_b32 v2, v2, 16, v8
	ds_write2_b32 v78, v3, v2 offset1:1
	v_and_b32_e32 v2, 0xf0f0f0f, v6
	v_lshrrev_b32_e32 v3, 12, v5
	v_lshrrev_b32_e32 v6, 5, v5
	v_lshlrev_b32_e32 v16, 4, v5
	v_lshlrev_b32_e32 v17, 11, v5
	v_and_b32_e32 v3, 16, v3
	v_and_b32_e32 v6, 0x1000, v6
	v_lshlrev_b32_e32 v21, 18, v5
	v_lshlrev_b32_e32 v22, 25, v5
	v_and_b32_e32 v16, 16, v16
	v_and_b32_e32 v17, 0x1000, v17
	v_or3_b32 v3, v3, v2, v6
	v_lshlrev_b32_e32 v6, 2, v5
	v_lshlrev_b32_e32 v5, 9, v5
	v_or3_b32 v4, v16, v7, v17
	v_and_b32_e32 v6, 0x100000, v6
	v_and_b32_e32 v5, 0x10000000, v5
	;; [unrolled: 1-line block ×4, first 2 shown]
	v_lshlrev_b16_e32 v16, 8, v4
	v_or3_b32 v2, v2, v6, v5
	v_and_b32_e32 v5, 0x1f00, v3
	v_lshlrev_b16_e32 v3, 8, v3
	v_or3_b32 v7, v7, v21, v22
	v_add_u16_e32 v16, 0xf000, v16
	v_add_u16_e32 v5, 0xf000, v5
	;; [unrolled: 1-line block ×3, first 2 shown]
	v_and_b32_sdwa v15, v7, s11 dst_sel:DWORD dst_unused:UNUSED_PAD src0_sel:WORD_1 src1_sel:DWORD
	v_lshlrev_b16_sdwa v7, v143, v7 dst_sel:DWORD dst_unused:UNUSED_PAD src0_sel:DWORD src1_sel:WORD_1
	v_lshrrev_b16_e32 v11, 8, v16
	v_perm_b32 v3, v3, v5, s16
	v_and_b32_sdwa v5, v2, s11 dst_sel:DWORD dst_unused:UNUSED_PAD src0_sel:WORD_1 src1_sel:DWORD
	v_lshlrev_b16_sdwa v2, v143, v2 dst_sel:DWORD dst_unused:UNUSED_PAD src0_sel:DWORD src1_sel:WORD_1
	v_add_u16_e32 v15, 0xf000, v15
	v_add_u16_e32 v7, 0xf000, v7
	v_bitop3_b16 v4, v4, v11, s11 bitop3:0xec
	v_add_u16_e32 v5, 0xf000, v5
	v_add_u16_e32 v2, 0xf000, v2
	v_perm_b32 v7, v7, v15, s16
	v_add_u16_e32 v4, 0xf000, v4
	v_perm_b32 v2, v2, v5, s16
	v_lshl_or_b32 v4, v7, 16, v4
	v_lshl_or_b32 v2, v2, 16, v3
	v_ashrrev_i32_e32 v21, v74, v12
	ds_write2_b32 v82, v4, v2 offset1:1
	v_lshlrev_b32_e32 v3, 4, v21
	v_lshlrev_b32_e32 v4, 11, v21
	s_waitcnt vmcnt(1)
	v_and_b32_e32 v2, 0xf0f0f0f, v19
	v_and_b32_e32 v3, 16, v3
	v_and_b32_e32 v4, 0x1000, v4
	v_or3_b32 v22, v3, v2, v4
	v_lshlrev_b32_e32 v3, 18, v21
	v_lshlrev_b32_e32 v4, 25, v21
	v_and_b32_e32 v3, 0x100000, v3
	v_and_b32_e32 v4, 0x10000000, v4
	v_or3_b32 v2, v2, v3, v4
	v_and_b32_sdwa v3, v2, s11 dst_sel:DWORD dst_unused:UNUSED_PAD src0_sel:WORD_1 src1_sel:DWORD
	v_add_u16_e32 v23, 0xf000, v3
	v_lshlrev_b16_sdwa v24, v143, v2 dst_sel:DWORD dst_unused:UNUSED_PAD src0_sel:DWORD src1_sel:WORD_1
	v_mad_i64_i32 v[2:3], s[18:19], v92, 22, v[0:1]
	v_mad_i64_i32 v[6:7], s[18:19], v96, 22, v[0:1]
	v_lshl_add_u64 v[4:5], v[2:3], 0, v[74:75]
	v_lshl_add_u64 v[8:9], v[6:7], 0, v[74:75]
	v_mad_i64_i32 v[10:11], s[18:19], v100, 22, v[0:1]
	v_mad_i64_i32 v[14:15], s[18:19], v104, 22, v[0:1]
	v_lshl_add_u64 v[12:13], v[10:11], 0, v[74:75]
	v_lshl_add_u64 v[16:17], v[14:15], 0, v[74:75]
	global_load_dword v4, v[4:5], off offset:6
	s_nop 0
	global_load_dword v5, v[8:9], off offset:6
	global_load_dword v25, v[12:13], off offset:6
	;; [unrolled: 1-line block ×4, first 2 shown]
	s_nop 0
	global_load_dword v8, v[10:11], off offset:2
	s_nop 0
	global_load_dword v6, v[6:7], off offset:2
	;; [unrolled: 2-line block ×3, first 2 shown]
	v_lshlrev_b16_e32 v7, 8, v22
	v_add_u16_e32 v7, 0xf000, v7
	v_lshrrev_b16_e32 v7, 8, v7
	v_add_u16_e32 v3, 0xf000, v24
	v_bitop3_b16 v7, v22, v7, s11 bitop3:0xec
	v_perm_b32 v3, v3, v23, s16
	v_add_u16_e32 v7, 0xf000, v7
	v_lshl_or_b32 v3, v3, 16, v7
	v_lshrrev_b32_e32 v7, 4, v19
	v_lshrrev_b32_e32 v9, 12, v21
	;; [unrolled: 1-line block ×3, first 2 shown]
	v_and_b32_e32 v7, 0xf0f0f0f, v7
	v_and_b32_e32 v9, 16, v9
	;; [unrolled: 1-line block ×3, first 2 shown]
	v_or3_b32 v9, v9, v7, v10
	v_lshlrev_b32_e32 v10, 2, v21
	v_lshlrev_b32_e32 v11, 9, v21
	v_and_b32_e32 v10, 0x100000, v10
	v_and_b32_e32 v11, 0x10000000, v11
	v_or3_b32 v7, v7, v10, v11
	v_and_b32_e32 v10, 0x1f00, v9
	v_lshlrev_b16_e32 v9, 8, v9
	v_add_u16_e32 v10, 0xf000, v10
	v_add_u16_e32 v9, 0xf000, v9
	v_perm_b32 v9, v9, v10, s16
	v_and_b32_sdwa v10, v7, s11 dst_sel:DWORD dst_unused:UNUSED_PAD src0_sel:WORD_1 src1_sel:DWORD
	v_lshlrev_b16_sdwa v7, v143, v7 dst_sel:DWORD dst_unused:UNUSED_PAD src0_sel:DWORD src1_sel:WORD_1
	v_add_u16_e32 v10, 0xf000, v10
	v_add_u16_e32 v7, 0xf000, v7
	v_perm_b32 v7, v7, v10, s16
	v_lshl_or_b32 v7, v7, 16, v9
	ds_write2_b32 v86, v3, v7 offset1:1
	v_ashrrev_i32_e32 v3, v74, v18
	v_lshlrev_b32_e32 v9, 4, v3
	v_lshlrev_b32_e32 v10, 11, v3
	s_waitcnt vmcnt(8)
	v_and_b32_e32 v7, 0xf0f0f0f, v20
	v_and_b32_e32 v9, 16, v9
	v_and_b32_e32 v10, 0x1000, v10
	v_or3_b32 v9, v9, v7, v10
	v_lshlrev_b32_e32 v10, 18, v3
	v_lshlrev_b32_e32 v11, 25, v3
	v_and_b32_e32 v10, 0x100000, v10
	v_and_b32_e32 v11, 0x10000000, v11
	v_or3_b32 v7, v7, v10, v11
	v_and_b32_sdwa v10, v7, s11 dst_sel:DWORD dst_unused:UNUSED_PAD src0_sel:WORD_1 src1_sel:DWORD
	v_lshlrev_b16_sdwa v7, v143, v7 dst_sel:DWORD dst_unused:UNUSED_PAD src0_sel:DWORD src1_sel:WORD_1
	v_add_u16_e32 v10, 0xf000, v10
	v_add_u16_e32 v7, 0xf000, v7
	v_perm_b32 v7, v7, v10, s16
	v_lshlrev_b16_e32 v10, 8, v9
	v_add_u16_e32 v10, 0xf000, v10
	v_lshrrev_b16_e32 v10, 8, v10
	v_bitop3_b16 v9, v9, v10, s11 bitop3:0xec
	v_add_u16_e32 v9, 0xf000, v9
	v_lshl_or_b32 v7, v7, 16, v9
	v_lshrrev_b32_e32 v9, 4, v20
	v_lshrrev_b32_e32 v10, 12, v3
	;; [unrolled: 1-line block ×3, first 2 shown]
	v_and_b32_e32 v9, 0xf0f0f0f, v9
	v_and_b32_e32 v10, 16, v10
	;; [unrolled: 1-line block ×3, first 2 shown]
	v_or3_b32 v10, v10, v9, v11
	v_lshlrev_b32_e32 v11, 2, v3
	v_lshlrev_b32_e32 v3, 9, v3
	v_and_b32_e32 v11, 0x100000, v11
	v_and_b32_e32 v3, 0x10000000, v3
	v_or3_b32 v3, v9, v11, v3
	v_and_b32_e32 v9, 0x1f00, v10
	v_lshlrev_b16_e32 v10, 8, v10
	v_add_u16_e32 v9, 0xf000, v9
	v_add_u16_e32 v10, 0xf000, v10
	v_perm_b32 v9, v10, v9, s16
	v_and_b32_sdwa v10, v3, s11 dst_sel:DWORD dst_unused:UNUSED_PAD src0_sel:WORD_1 src1_sel:DWORD
	v_lshlrev_b16_sdwa v3, v143, v3 dst_sel:DWORD dst_unused:UNUSED_PAD src0_sel:DWORD src1_sel:WORD_1
	v_add_u16_e32 v10, 0xf000, v10
	v_add_u16_e32 v3, 0xf000, v3
	v_perm_b32 v3, v3, v10, s16
	v_lshl_or_b32 v3, v3, 16, v9
	ds_write2_b32 v90, v7, v3 offset1:1
	s_waitcnt vmcnt(0)
	v_ashrrev_i32_e32 v2, v74, v2
	v_lshlrev_b32_e32 v7, 4, v2
	v_lshlrev_b32_e32 v9, 11, v2
	v_and_b32_e32 v3, 0xf0f0f0f, v4
	v_and_b32_e32 v7, 16, v7
	;; [unrolled: 1-line block ×3, first 2 shown]
	v_or3_b32 v7, v7, v3, v9
	v_lshlrev_b32_e32 v9, 18, v2
	v_lshlrev_b32_e32 v10, 25, v2
	v_and_b32_e32 v9, 0x100000, v9
	v_and_b32_e32 v10, 0x10000000, v10
	v_or3_b32 v3, v3, v9, v10
	v_and_b32_sdwa v9, v3, s11 dst_sel:DWORD dst_unused:UNUSED_PAD src0_sel:WORD_1 src1_sel:DWORD
	v_lshlrev_b16_sdwa v3, v143, v3 dst_sel:DWORD dst_unused:UNUSED_PAD src0_sel:DWORD src1_sel:WORD_1
	v_add_u16_e32 v9, 0xf000, v9
	v_add_u16_e32 v3, 0xf000, v3
	v_perm_b32 v3, v3, v9, s16
	v_lshlrev_b16_e32 v9, 8, v7
	v_add_u16_e32 v9, 0xf000, v9
	v_lshrrev_b16_e32 v9, 8, v9
	v_bitop3_b16 v7, v7, v9, s11 bitop3:0xec
	v_add_u16_e32 v7, 0xf000, v7
	v_lshl_or_b32 v3, v3, 16, v7
	v_lshrrev_b32_e32 v4, 4, v4
	v_lshrrev_b32_e32 v7, 12, v2
	;; [unrolled: 1-line block ×3, first 2 shown]
	v_and_b32_e32 v4, 0xf0f0f0f, v4
	v_and_b32_e32 v7, 16, v7
	;; [unrolled: 1-line block ×3, first 2 shown]
	v_or3_b32 v7, v7, v4, v9
	v_lshlrev_b32_e32 v9, 2, v2
	v_lshlrev_b32_e32 v2, 9, v2
	v_and_b32_e32 v9, 0x100000, v9
	v_and_b32_e32 v2, 0x10000000, v2
	v_or3_b32 v2, v4, v9, v2
	v_and_b32_e32 v4, 0x1f00, v7
	v_lshlrev_b16_e32 v7, 8, v7
	v_add_u16_e32 v4, 0xf000, v4
	v_add_u16_e32 v7, 0xf000, v7
	v_perm_b32 v4, v7, v4, s16
	v_and_b32_sdwa v7, v2, s11 dst_sel:DWORD dst_unused:UNUSED_PAD src0_sel:WORD_1 src1_sel:DWORD
	v_lshlrev_b16_sdwa v2, v143, v2 dst_sel:DWORD dst_unused:UNUSED_PAD src0_sel:DWORD src1_sel:WORD_1
	v_add_u16_e32 v7, 0xf000, v7
	v_add_u16_e32 v2, 0xf000, v2
	v_perm_b32 v2, v2, v7, s16
	v_lshl_or_b32 v2, v2, 16, v4
	ds_write2_b32 v94, v3, v2 offset1:1
	v_ashrrev_i32_e32 v2, v74, v6
	v_lshlrev_b32_e32 v4, 4, v2
	v_lshlrev_b32_e32 v6, 11, v2
	v_and_b32_e32 v3, 0xf0f0f0f, v5
	v_and_b32_e32 v4, 16, v4
	;; [unrolled: 1-line block ×3, first 2 shown]
	v_or3_b32 v4, v4, v3, v6
	v_lshlrev_b32_e32 v6, 18, v2
	v_lshlrev_b32_e32 v7, 25, v2
	v_and_b32_e32 v6, 0x100000, v6
	v_and_b32_e32 v7, 0x10000000, v7
	v_or3_b32 v3, v3, v6, v7
	v_and_b32_e32 v6, 0x1f00, v4
	v_lshlrev_b16_e32 v4, 8, v4
	v_add_u16_e32 v6, 0xf000, v6
	v_add_u16_e32 v4, 0xf000, v4
	v_perm_b32 v4, v4, v6, s16
	v_and_b32_sdwa v6, v3, s11 dst_sel:DWORD dst_unused:UNUSED_PAD src0_sel:WORD_1 src1_sel:DWORD
	v_lshlrev_b16_sdwa v3, v143, v3 dst_sel:DWORD dst_unused:UNUSED_PAD src0_sel:DWORD src1_sel:WORD_1
	v_add_u16_e32 v6, 0xf000, v6
	v_add_u16_e32 v3, 0xf000, v3
	v_perm_b32 v3, v3, v6, s16
	v_lshl_or_b32 v3, v3, 16, v4
	v_lshrrev_b32_e32 v4, 4, v5
	v_lshrrev_b32_e32 v5, 12, v2
	;; [unrolled: 1-line block ×3, first 2 shown]
	v_and_b32_e32 v4, 0xf0f0f0f, v4
	v_and_b32_e32 v5, 16, v5
	;; [unrolled: 1-line block ×3, first 2 shown]
	v_or3_b32 v5, v5, v4, v6
	v_lshlrev_b32_e32 v6, 2, v2
	v_lshlrev_b32_e32 v2, 9, v2
	v_and_b32_e32 v6, 0x100000, v6
	v_and_b32_e32 v2, 0x10000000, v2
	v_or3_b32 v2, v4, v6, v2
	v_and_b32_sdwa v4, v2, s11 dst_sel:DWORD dst_unused:UNUSED_PAD src0_sel:WORD_1 src1_sel:DWORD
	v_lshlrev_b16_sdwa v2, v143, v2 dst_sel:DWORD dst_unused:UNUSED_PAD src0_sel:DWORD src1_sel:WORD_1
	v_add_u16_e32 v4, 0xf000, v4
	v_add_u16_e32 v2, 0xf000, v2
	v_perm_b32 v2, v2, v4, s16
	v_lshlrev_b16_e32 v4, 8, v5
	v_add_u16_e32 v4, 0xf000, v4
	v_lshrrev_b16_e32 v4, 8, v4
	v_bitop3_b16 v4, v5, v4, s11 bitop3:0xec
	v_add_u16_e32 v4, 0xf000, v4
	v_lshl_or_b32 v2, v2, 16, v4
	v_ashrrev_i32_e32 v18, v74, v8
	ds_write2_b32 v98, v3, v2 offset1:1
	v_lshlrev_b32_e32 v3, 4, v18
	v_lshlrev_b32_e32 v4, 11, v18
	v_and_b32_e32 v2, 0xf0f0f0f, v25
	v_and_b32_e32 v3, 16, v3
	;; [unrolled: 1-line block ×3, first 2 shown]
	v_or3_b32 v3, v3, v2, v4
	v_lshlrev_b32_e32 v4, 18, v18
	v_lshlrev_b32_e32 v5, 25, v18
	v_and_b32_e32 v4, 0x100000, v4
	v_and_b32_e32 v5, 0x10000000, v5
	v_or3_b32 v19, v2, v4, v5
	v_and_b32_e32 v2, 0x1f00, v3
	v_add_u16_e32 v20, 0xf000, v2
	v_lshlrev_b16_e32 v21, 8, v3
	v_mad_i64_i32 v[2:3], s[18:19], v108, 22, v[0:1]
	v_mad_i64_i32 v[6:7], s[18:19], v112, 22, v[0:1]
	v_mad_i64_i32 v[14:15], s[18:19], v122, 22, v[0:1]
	v_lshl_add_u64 v[4:5], v[2:3], 0, v[74:75]
	v_lshl_add_u64 v[8:9], v[6:7], 0, v[74:75]
	v_mad_i64_i32 v[10:11], s[18:19], v116, 22, v[0:1]
	v_lshl_add_u64 v[16:17], v[14:15], 0, v[74:75]
	v_lshl_add_u64 v[12:13], v[10:11], 0, v[74:75]
	global_load_dword v4, v[4:5], off offset:6
	s_nop 0
	global_load_dword v5, v[8:9], off offset:6
	global_load_dword v22, v[12:13], off offset:6
	s_nop 0
	global_load_dword v16, v[16:17], off offset:6
	s_nop 0
	global_load_dword v17, v[14:15], off offset:2
	global_load_dword v8, v[10:11], off offset:2
	s_nop 0
	global_load_dword v6, v[6:7], off offset:2
	s_nop 0
	global_load_dword v2, v[2:3], off offset:2
	v_and_b32_sdwa v7, v19, s11 dst_sel:DWORD dst_unused:UNUSED_PAD src0_sel:WORD_1 src1_sel:DWORD
	v_lshlrev_b16_sdwa v9, v143, v19 dst_sel:DWORD dst_unused:UNUSED_PAD src0_sel:DWORD src1_sel:WORD_1
	v_add_u16_e32 v3, 0xf000, v21
	v_add_u16_e32 v7, 0xf000, v7
	v_add_u16_e32 v9, 0xf000, v9
	v_perm_b32 v3, v3, v20, s16
	v_perm_b32 v7, v9, v7, s16
	v_lshl_or_b32 v3, v7, 16, v3
	v_lshrrev_b32_e32 v7, 4, v25
	v_lshrrev_b32_e32 v9, 12, v18
	;; [unrolled: 1-line block ×3, first 2 shown]
	v_and_b32_e32 v7, 0xf0f0f0f, v7
	v_and_b32_e32 v9, 16, v9
	;; [unrolled: 1-line block ×3, first 2 shown]
	v_or3_b32 v9, v9, v7, v10
	v_lshlrev_b32_e32 v10, 2, v18
	v_lshlrev_b32_e32 v11, 9, v18
	v_and_b32_e32 v10, 0x100000, v10
	v_and_b32_e32 v11, 0x10000000, v11
	v_or3_b32 v7, v7, v10, v11
	v_and_b32_sdwa v10, v7, s11 dst_sel:DWORD dst_unused:UNUSED_PAD src0_sel:WORD_1 src1_sel:DWORD
	v_lshlrev_b16_sdwa v7, v143, v7 dst_sel:DWORD dst_unused:UNUSED_PAD src0_sel:DWORD src1_sel:WORD_1
	v_add_u16_e32 v10, 0xf000, v10
	v_add_u16_e32 v7, 0xf000, v7
	v_perm_b32 v7, v7, v10, s16
	v_lshlrev_b16_e32 v10, 8, v9
	v_add_u16_e32 v10, 0xf000, v10
	v_lshrrev_b16_e32 v10, 8, v10
	v_bitop3_b16 v9, v9, v10, s11 bitop3:0xec
	v_add_u16_e32 v9, 0xf000, v9
	v_lshl_or_b32 v7, v7, 16, v9
	ds_write2_b32 v102, v3, v7 offset1:1
	v_ashrrev_i32_e32 v3, v74, v27
	v_lshlrev_b32_e32 v9, 4, v3
	v_lshlrev_b32_e32 v10, 11, v3
	v_and_b32_e32 v7, 0xf0f0f0f, v26
	v_and_b32_e32 v9, 16, v9
	;; [unrolled: 1-line block ×3, first 2 shown]
	v_or3_b32 v9, v9, v7, v10
	v_lshlrev_b32_e32 v10, 18, v3
	v_lshlrev_b32_e32 v11, 25, v3
	v_and_b32_e32 v10, 0x100000, v10
	v_and_b32_e32 v11, 0x10000000, v11
	v_or3_b32 v7, v7, v10, v11
	v_and_b32_e32 v10, 0x1f00, v9
	v_lshlrev_b16_e32 v9, 8, v9
	v_add_u16_e32 v10, 0xf000, v10
	v_add_u16_e32 v9, 0xf000, v9
	v_perm_b32 v9, v9, v10, s16
	v_and_b32_sdwa v10, v7, s11 dst_sel:DWORD dst_unused:UNUSED_PAD src0_sel:WORD_1 src1_sel:DWORD
	v_lshlrev_b16_sdwa v7, v143, v7 dst_sel:DWORD dst_unused:UNUSED_PAD src0_sel:DWORD src1_sel:WORD_1
	v_add_u16_e32 v10, 0xf000, v10
	v_add_u16_e32 v7, 0xf000, v7
	v_perm_b32 v7, v7, v10, s16
	v_lshl_or_b32 v7, v7, 16, v9
	v_lshrrev_b32_e32 v9, 4, v26
	v_lshrrev_b32_e32 v10, 12, v3
	;; [unrolled: 1-line block ×3, first 2 shown]
	v_and_b32_e32 v9, 0xf0f0f0f, v9
	v_and_b32_e32 v10, 16, v10
	;; [unrolled: 1-line block ×3, first 2 shown]
	v_or3_b32 v10, v10, v9, v11
	v_lshlrev_b32_e32 v11, 2, v3
	v_lshlrev_b32_e32 v3, 9, v3
	v_and_b32_e32 v11, 0x100000, v11
	v_and_b32_e32 v3, 0x10000000, v3
	v_or3_b32 v3, v9, v11, v3
	v_and_b32_sdwa v9, v3, s11 dst_sel:DWORD dst_unused:UNUSED_PAD src0_sel:WORD_1 src1_sel:DWORD
	v_lshlrev_b16_sdwa v3, v143, v3 dst_sel:DWORD dst_unused:UNUSED_PAD src0_sel:DWORD src1_sel:WORD_1
	v_add_u16_e32 v9, 0xf000, v9
	v_add_u16_e32 v3, 0xf000, v3
	v_perm_b32 v3, v3, v9, s16
	v_lshlrev_b16_e32 v9, 8, v10
	v_add_u16_e32 v9, 0xf000, v9
	v_lshrrev_b16_e32 v9, 8, v9
	v_bitop3_b16 v9, v10, v9, s11 bitop3:0xec
	v_add_u16_e32 v9, 0xf000, v9
	v_lshl_or_b32 v3, v3, 16, v9
	ds_write2_b32 v106, v7, v3 offset1:1
	s_waitcnt vmcnt(0)
	v_ashrrev_i32_e32 v2, v74, v2
	v_lshlrev_b32_e32 v7, 4, v2
	v_lshlrev_b32_e32 v9, 11, v2
	v_and_b32_e32 v3, 0xf0f0f0f, v4
	v_and_b32_e32 v7, 16, v7
	;; [unrolled: 1-line block ×3, first 2 shown]
	v_or3_b32 v7, v7, v3, v9
	v_lshlrev_b32_e32 v9, 18, v2
	v_lshlrev_b32_e32 v10, 25, v2
	v_and_b32_e32 v9, 0x100000, v9
	v_and_b32_e32 v10, 0x10000000, v10
	v_or3_b32 v3, v3, v9, v10
	v_and_b32_e32 v9, 0x1f00, v7
	v_lshlrev_b16_e32 v7, 8, v7
	v_add_u16_e32 v9, 0xf000, v9
	v_add_u16_e32 v7, 0xf000, v7
	v_perm_b32 v7, v7, v9, s16
	v_and_b32_sdwa v9, v3, s11 dst_sel:DWORD dst_unused:UNUSED_PAD src0_sel:WORD_1 src1_sel:DWORD
	v_lshlrev_b16_sdwa v3, v143, v3 dst_sel:DWORD dst_unused:UNUSED_PAD src0_sel:DWORD src1_sel:WORD_1
	v_add_u16_e32 v9, 0xf000, v9
	v_add_u16_e32 v3, 0xf000, v3
	v_perm_b32 v3, v3, v9, s16
	v_lshl_or_b32 v3, v3, 16, v7
	v_lshrrev_b32_e32 v4, 4, v4
	v_lshrrev_b32_e32 v7, 12, v2
	;; [unrolled: 1-line block ×3, first 2 shown]
	v_and_b32_e32 v4, 0xf0f0f0f, v4
	v_and_b32_e32 v7, 16, v7
	;; [unrolled: 1-line block ×3, first 2 shown]
	v_or3_b32 v7, v7, v4, v9
	v_lshlrev_b32_e32 v9, 2, v2
	v_lshlrev_b32_e32 v2, 9, v2
	v_and_b32_e32 v9, 0x100000, v9
	v_and_b32_e32 v2, 0x10000000, v2
	v_or3_b32 v2, v4, v9, v2
	v_and_b32_sdwa v4, v2, s11 dst_sel:DWORD dst_unused:UNUSED_PAD src0_sel:WORD_1 src1_sel:DWORD
	v_lshlrev_b16_sdwa v2, v143, v2 dst_sel:DWORD dst_unused:UNUSED_PAD src0_sel:DWORD src1_sel:WORD_1
	v_add_u16_e32 v4, 0xf000, v4
	v_add_u16_e32 v2, 0xf000, v2
	v_perm_b32 v2, v2, v4, s16
	v_lshlrev_b16_e32 v4, 8, v7
	v_add_u16_e32 v4, 0xf000, v4
	v_lshrrev_b16_e32 v4, 8, v4
	v_bitop3_b16 v4, v7, v4, s11 bitop3:0xec
	v_add_u16_e32 v4, 0xf000, v4
	v_lshl_or_b32 v2, v2, 16, v4
	ds_write2_b32 v110, v3, v2 offset1:1
	v_ashrrev_i32_e32 v2, v74, v6
	v_lshlrev_b32_e32 v4, 4, v2
	v_lshlrev_b32_e32 v6, 11, v2
	v_and_b32_e32 v3, 0xf0f0f0f, v5
	v_and_b32_e32 v4, 16, v4
	;; [unrolled: 1-line block ×3, first 2 shown]
	v_or3_b32 v4, v4, v3, v6
	v_lshlrev_b32_e32 v6, 18, v2
	v_lshlrev_b32_e32 v7, 25, v2
	v_and_b32_e32 v6, 0x100000, v6
	v_and_b32_e32 v7, 0x10000000, v7
	v_or3_b32 v3, v3, v6, v7
	v_and_b32_e32 v6, 0x1f00, v4
	v_lshlrev_b16_e32 v4, 8, v4
	v_add_u16_e32 v6, 0xf000, v6
	v_add_u16_e32 v4, 0xf000, v4
	v_perm_b32 v4, v4, v6, s16
	v_and_b32_sdwa v6, v3, s11 dst_sel:DWORD dst_unused:UNUSED_PAD src0_sel:WORD_1 src1_sel:DWORD
	v_lshlrev_b16_sdwa v3, v143, v3 dst_sel:DWORD dst_unused:UNUSED_PAD src0_sel:DWORD src1_sel:WORD_1
	v_add_u16_e32 v6, 0xf000, v6
	v_add_u16_e32 v3, 0xf000, v3
	v_perm_b32 v3, v3, v6, s16
	v_lshl_or_b32 v3, v3, 16, v4
	v_lshrrev_b32_e32 v4, 4, v5
	v_lshrrev_b32_e32 v5, 12, v2
	;; [unrolled: 1-line block ×3, first 2 shown]
	v_and_b32_e32 v4, 0xf0f0f0f, v4
	v_and_b32_e32 v5, 16, v5
	v_and_b32_e32 v6, 0x1000, v6
	v_or3_b32 v5, v5, v4, v6
	v_lshlrev_b32_e32 v6, 2, v2
	v_lshlrev_b32_e32 v2, 9, v2
	v_and_b32_e32 v6, 0x100000, v6
	v_and_b32_e32 v2, 0x10000000, v2
	v_or3_b32 v2, v4, v6, v2
	v_and_b32_sdwa v4, v2, s11 dst_sel:DWORD dst_unused:UNUSED_PAD src0_sel:WORD_1 src1_sel:DWORD
	v_lshlrev_b16_sdwa v2, v143, v2 dst_sel:DWORD dst_unused:UNUSED_PAD src0_sel:DWORD src1_sel:WORD_1
	v_add_u16_e32 v4, 0xf000, v4
	v_add_u16_e32 v2, 0xf000, v2
	v_perm_b32 v2, v2, v4, s16
	v_lshlrev_b16_e32 v4, 8, v5
	v_add_u16_e32 v4, 0xf000, v4
	v_lshrrev_b16_e32 v4, 8, v4
	v_bitop3_b16 v4, v5, v4, s11 bitop3:0xec
	v_add_u16_e32 v4, 0xf000, v4
	v_lshl_or_b32 v2, v2, 16, v4
	v_ashrrev_i32_e32 v18, v74, v8
	ds_write2_b32 v114, v3, v2 offset1:1
	v_lshlrev_b32_e32 v3, 4, v18
	v_lshlrev_b32_e32 v4, 11, v18
	v_and_b32_e32 v2, 0xf0f0f0f, v22
	v_and_b32_e32 v3, 16, v3
	;; [unrolled: 1-line block ×3, first 2 shown]
	v_or3_b32 v3, v3, v2, v4
	v_lshlrev_b32_e32 v4, 18, v18
	v_lshlrev_b32_e32 v5, 25, v18
	v_and_b32_e32 v4, 0x100000, v4
	v_and_b32_e32 v5, 0x10000000, v5
	v_or3_b32 v19, v2, v4, v5
	v_and_b32_e32 v2, 0x1f00, v3
	v_add_u16_e32 v20, 0xf000, v2
	v_lshlrev_b16_e32 v21, 8, v3
	v_mad_i64_i32 v[2:3], s[18:19], v126, 22, v[0:1]
	v_mad_i64_i32 v[6:7], s[18:19], v130, 22, v[0:1]
	;; [unrolled: 1-line block ×3, first 2 shown]
	v_lshl_add_u64 v[4:5], v[2:3], 0, v[74:75]
	v_lshl_add_u64 v[8:9], v[6:7], 0, v[74:75]
	;; [unrolled: 1-line block ×3, first 2 shown]
	v_mad_i64_i32 v[0:1], s[18:19], v140, 22, v[0:1]
	v_lshl_add_u64 v[14:15], v[0:1], 0, v[74:75]
	global_load_dword v4, v[4:5], off offset:6
	s_nop 0
	global_load_dword v5, v[8:9], off offset:6
	s_nop 0
	global_load_dword v8, v[12:13], off offset:6
	global_load_dword v9, v[14:15], off offset:6
	s_nop 0
	global_load_dword v12, v[0:1], off offset:2
	s_nop 0
	global_load_dword v0, v[10:11], off offset:2
	global_load_dword v1, v[6:7], off offset:2
	s_nop 0
	global_load_dword v2, v[2:3], off offset:2
	v_and_b32_sdwa v6, v19, s11 dst_sel:DWORD dst_unused:UNUSED_PAD src0_sel:WORD_1 src1_sel:DWORD
	v_lshlrev_b16_sdwa v7, v143, v19 dst_sel:DWORD dst_unused:UNUSED_PAD src0_sel:DWORD src1_sel:WORD_1
	v_add_u16_e32 v3, 0xf000, v21
	v_add_u16_e32 v6, 0xf000, v6
	;; [unrolled: 1-line block ×3, first 2 shown]
	v_perm_b32 v3, v3, v20, s16
	v_perm_b32 v6, v7, v6, s16
	v_lshl_or_b32 v3, v6, 16, v3
	v_lshrrev_b32_e32 v6, 4, v22
	v_lshrrev_b32_e32 v7, 12, v18
	;; [unrolled: 1-line block ×3, first 2 shown]
	v_and_b32_e32 v6, 0xf0f0f0f, v6
	v_and_b32_e32 v7, 16, v7
	v_and_b32_e32 v10, 0x1000, v10
	v_or3_b32 v7, v7, v6, v10
	v_lshlrev_b32_e32 v10, 2, v18
	v_lshlrev_b32_e32 v11, 9, v18
	v_and_b32_e32 v10, 0x100000, v10
	v_and_b32_e32 v11, 0x10000000, v11
	v_or3_b32 v6, v6, v10, v11
	v_and_b32_sdwa v10, v6, s11 dst_sel:DWORD dst_unused:UNUSED_PAD src0_sel:WORD_1 src1_sel:DWORD
	v_lshlrev_b16_sdwa v6, v143, v6 dst_sel:DWORD dst_unused:UNUSED_PAD src0_sel:DWORD src1_sel:WORD_1
	v_add_u16_e32 v10, 0xf000, v10
	v_add_u16_e32 v6, 0xf000, v6
	v_perm_b32 v6, v6, v10, s16
	v_lshlrev_b16_e32 v10, 8, v7
	v_add_u16_e32 v10, 0xf000, v10
	v_lshrrev_b16_e32 v10, 8, v10
	v_bitop3_b16 v7, v7, v10, s11 bitop3:0xec
	v_add_u16_e32 v7, 0xf000, v7
	v_lshl_or_b32 v6, v6, 16, v7
	ds_write2_b32 v118, v3, v6 offset1:1
	v_ashrrev_i32_e32 v3, v74, v17
	v_lshlrev_b32_e32 v7, 4, v3
	v_lshlrev_b32_e32 v10, 11, v3
	v_and_b32_e32 v6, 0xf0f0f0f, v16
	v_and_b32_e32 v7, 16, v7
	;; [unrolled: 1-line block ×3, first 2 shown]
	v_or3_b32 v7, v7, v6, v10
	v_lshlrev_b32_e32 v10, 18, v3
	v_lshlrev_b32_e32 v11, 25, v3
	v_and_b32_e32 v10, 0x100000, v10
	v_and_b32_e32 v11, 0x10000000, v11
	v_or3_b32 v6, v6, v10, v11
	v_and_b32_e32 v10, 0x1f00, v7
	v_lshlrev_b16_e32 v7, 8, v7
	v_add_u16_e32 v10, 0xf000, v10
	v_add_u16_e32 v7, 0xf000, v7
	v_perm_b32 v7, v7, v10, s16
	v_and_b32_sdwa v10, v6, s11 dst_sel:DWORD dst_unused:UNUSED_PAD src0_sel:WORD_1 src1_sel:DWORD
	v_lshlrev_b16_sdwa v6, v143, v6 dst_sel:DWORD dst_unused:UNUSED_PAD src0_sel:DWORD src1_sel:WORD_1
	v_add_u16_e32 v10, 0xf000, v10
	v_add_u16_e32 v6, 0xf000, v6
	v_perm_b32 v6, v6, v10, s16
	v_lshl_or_b32 v6, v6, 16, v7
	v_lshrrev_b32_e32 v7, 4, v16
	v_lshrrev_b32_e32 v10, 12, v3
	;; [unrolled: 1-line block ×3, first 2 shown]
	v_and_b32_e32 v7, 0xf0f0f0f, v7
	v_and_b32_e32 v10, 16, v10
	;; [unrolled: 1-line block ×3, first 2 shown]
	v_or3_b32 v10, v10, v7, v11
	v_lshlrev_b32_e32 v11, 2, v3
	v_lshlrev_b32_e32 v3, 9, v3
	v_and_b32_e32 v11, 0x100000, v11
	v_and_b32_e32 v3, 0x10000000, v3
	v_or3_b32 v3, v7, v11, v3
	v_and_b32_sdwa v7, v3, s11 dst_sel:DWORD dst_unused:UNUSED_PAD src0_sel:WORD_1 src1_sel:DWORD
	v_lshlrev_b16_sdwa v3, v143, v3 dst_sel:DWORD dst_unused:UNUSED_PAD src0_sel:DWORD src1_sel:WORD_1
	v_add_u16_e32 v7, 0xf000, v7
	v_add_u16_e32 v3, 0xf000, v3
	v_perm_b32 v3, v3, v7, s16
	v_lshlrev_b16_e32 v7, 8, v10
	v_add_u16_e32 v7, 0xf000, v7
	v_lshrrev_b16_e32 v7, 8, v7
	v_bitop3_b16 v7, v10, v7, s11 bitop3:0xec
	v_add_u16_e32 v7, 0xf000, v7
	v_lshl_or_b32 v3, v3, 16, v7
	ds_write2_b32 v124, v6, v3 offset1:1
	s_waitcnt vmcnt(0)
	v_ashrrev_i32_e32 v2, v74, v2
	v_lshlrev_b32_e32 v6, 4, v2
	v_lshlrev_b32_e32 v7, 11, v2
	v_and_b32_e32 v3, 0xf0f0f0f, v4
	v_and_b32_e32 v6, 16, v6
	v_and_b32_e32 v7, 0x1000, v7
	v_or3_b32 v6, v6, v3, v7
	v_lshlrev_b32_e32 v7, 18, v2
	v_lshlrev_b32_e32 v10, 25, v2
	v_and_b32_e32 v7, 0x100000, v7
	v_and_b32_e32 v10, 0x10000000, v10
	v_or3_b32 v3, v3, v7, v10
	v_and_b32_e32 v7, 0x1f00, v6
	v_lshlrev_b16_e32 v6, 8, v6
	v_add_u16_e32 v7, 0xf000, v7
	v_add_u16_e32 v6, 0xf000, v6
	v_perm_b32 v6, v6, v7, s16
	v_and_b32_sdwa v7, v3, s11 dst_sel:DWORD dst_unused:UNUSED_PAD src0_sel:WORD_1 src1_sel:DWORD
	v_lshlrev_b16_sdwa v3, v143, v3 dst_sel:DWORD dst_unused:UNUSED_PAD src0_sel:DWORD src1_sel:WORD_1
	v_add_u16_e32 v7, 0xf000, v7
	v_add_u16_e32 v3, 0xf000, v3
	v_perm_b32 v3, v3, v7, s16
	v_lshl_or_b32 v3, v3, 16, v6
	v_lshrrev_b32_e32 v4, 4, v4
	v_lshrrev_b32_e32 v6, 12, v2
	;; [unrolled: 1-line block ×3, first 2 shown]
	v_and_b32_e32 v4, 0xf0f0f0f, v4
	v_and_b32_e32 v6, 16, v6
	;; [unrolled: 1-line block ×3, first 2 shown]
	v_or3_b32 v6, v6, v4, v7
	v_lshlrev_b32_e32 v7, 2, v2
	v_lshlrev_b32_e32 v2, 9, v2
	v_and_b32_e32 v7, 0x100000, v7
	v_and_b32_e32 v2, 0x10000000, v2
	v_or3_b32 v2, v4, v7, v2
	v_and_b32_sdwa v4, v2, s11 dst_sel:DWORD dst_unused:UNUSED_PAD src0_sel:WORD_1 src1_sel:DWORD
	v_lshlrev_b16_sdwa v2, v143, v2 dst_sel:DWORD dst_unused:UNUSED_PAD src0_sel:DWORD src1_sel:WORD_1
	v_add_u16_e32 v4, 0xf000, v4
	v_add_u16_e32 v2, 0xf000, v2
	v_perm_b32 v2, v2, v4, s16
	v_lshlrev_b16_e32 v4, 8, v6
	v_add_u16_e32 v4, 0xf000, v4
	v_lshrrev_b16_e32 v4, 8, v4
	v_bitop3_b16 v4, v6, v4, s11 bitop3:0xec
	v_add_u16_e32 v4, 0xf000, v4
	v_lshl_or_b32 v2, v2, 16, v4
	v_ashrrev_i32_e32 v1, v74, v1
	ds_write2_b32 v128, v3, v2 offset1:1
	v_lshlrev_b32_e32 v3, 4, v1
	v_lshlrev_b32_e32 v4, 11, v1
	v_and_b32_e32 v2, 0xf0f0f0f, v5
	v_and_b32_e32 v3, 16, v3
	;; [unrolled: 1-line block ×3, first 2 shown]
	v_or3_b32 v3, v3, v2, v4
	v_lshlrev_b32_e32 v4, 18, v1
	v_lshlrev_b32_e32 v6, 25, v1
	v_and_b32_e32 v4, 0x100000, v4
	v_and_b32_e32 v6, 0x10000000, v6
	v_or3_b32 v2, v2, v4, v6
	v_and_b32_e32 v4, 0x1f00, v3
	v_lshlrev_b16_e32 v3, 8, v3
	v_add_u16_e32 v4, 0xf000, v4
	v_add_u16_e32 v3, 0xf000, v3
	v_perm_b32 v3, v3, v4, s16
	v_and_b32_sdwa v4, v2, s11 dst_sel:DWORD dst_unused:UNUSED_PAD src0_sel:WORD_1 src1_sel:DWORD
	v_lshlrev_b16_sdwa v2, v143, v2 dst_sel:DWORD dst_unused:UNUSED_PAD src0_sel:DWORD src1_sel:WORD_1
	v_add_u16_e32 v4, 0xf000, v4
	v_add_u16_e32 v2, 0xf000, v2
	v_perm_b32 v2, v2, v4, s16
	v_lshl_or_b32 v2, v2, 16, v3
	v_lshrrev_b32_e32 v3, 4, v5
	v_lshrrev_b32_e32 v4, 12, v1
	;; [unrolled: 1-line block ×3, first 2 shown]
	v_and_b32_e32 v3, 0xf0f0f0f, v3
	v_and_b32_e32 v4, 16, v4
	;; [unrolled: 1-line block ×3, first 2 shown]
	v_or3_b32 v4, v4, v3, v5
	v_lshlrev_b32_e32 v5, 2, v1
	v_lshlrev_b32_e32 v1, 9, v1
	v_and_b32_e32 v5, 0x100000, v5
	v_and_b32_e32 v1, 0x10000000, v1
	v_or3_b32 v1, v3, v5, v1
	v_and_b32_sdwa v3, v1, s11 dst_sel:DWORD dst_unused:UNUSED_PAD src0_sel:WORD_1 src1_sel:DWORD
	v_lshlrev_b16_sdwa v1, v143, v1 dst_sel:DWORD dst_unused:UNUSED_PAD src0_sel:DWORD src1_sel:WORD_1
	v_add_u16_e32 v3, 0xf000, v3
	v_add_u16_e32 v1, 0xf000, v1
	v_perm_b32 v1, v1, v3, s16
	v_lshlrev_b16_e32 v3, 8, v4
	v_add_u16_e32 v3, 0xf000, v3
	v_lshrrev_b16_e32 v3, 8, v3
	v_bitop3_b16 v3, v4, v3, s11 bitop3:0xec
	v_add_u16_e32 v3, 0xf000, v3
	v_lshl_or_b32 v1, v1, 16, v3
	v_ashrrev_i32_e32 v10, v74, v0
	ds_write2_b32 v134, v2, v1 offset1:1
	v_lshlrev_b32_e32 v1, 4, v10
	v_lshlrev_b32_e32 v2, 11, v10
	v_and_b32_e32 v0, 0xf0f0f0f, v8
	v_and_b32_e32 v1, 16, v1
	;; [unrolled: 1-line block ×3, first 2 shown]
	v_or3_b32 v1, v1, v0, v2
	v_lshlrev_b32_e32 v2, 18, v10
	v_lshlrev_b32_e32 v3, 25, v10
	v_and_b32_e32 v2, 0x100000, v2
	v_and_b32_e32 v3, 0x10000000, v3
	v_or3_b32 v11, v0, v2, v3
	v_and_b32_e32 v0, 0x1f00, v1
	v_lshlrev_b16_e32 v1, 8, v1
	v_add_u16_e32 v0, 0xf000, v0
	v_add_u16_e32 v1, 0xf000, v1
	v_perm_b32 v13, v1, v0, s16
	v_and_b32_sdwa v0, v11, s11 dst_sel:DWORD dst_unused:UNUSED_PAD src0_sel:WORD_1 src1_sel:DWORD
	v_add_u16_e32 v14, 0xf000, v0
	v_mad_u64_u32 v[0:1], s[0:1], v146, 22, s[0:1]
	v_mad_i64_i32 v[2:3], s[0:1], v150, 22, v[0:1]
	v_mad_i64_i32 v[4:5], s[0:1], v152, 22, v[0:1]
	;; [unrolled: 1-line block ×4, first 2 shown]
	global_load_ushort v2, v[2:3], off
	s_nop 0
	global_load_ushort v3, v[4:5], off
	s_nop 0
	global_load_ushort v4, v[6:7], off
	v_lshrrev_b32_e32 v5, 4, v8
	global_load_ushort v0, v[0:1], off
	v_lshrrev_b32_e32 v6, 12, v10
	v_lshrrev_b32_e32 v7, 5, v10
	v_and_b32_e32 v5, 0xf0f0f0f, v5
	v_and_b32_e32 v6, 16, v6
	;; [unrolled: 1-line block ×3, first 2 shown]
	v_or3_b32 v6, v6, v5, v7
	v_lshlrev_b32_e32 v7, 2, v10
	v_lshlrev_b32_e32 v8, 9, v10
	v_and_b32_e32 v7, 0x100000, v7
	v_and_b32_e32 v8, 0x10000000, v8
	v_or3_b32 v5, v5, v7, v8
	v_and_b32_sdwa v7, v5, s11 dst_sel:DWORD dst_unused:UNUSED_PAD src0_sel:WORD_1 src1_sel:DWORD
	v_lshlrev_b16_sdwa v5, v143, v5 dst_sel:DWORD dst_unused:UNUSED_PAD src0_sel:DWORD src1_sel:WORD_1
	v_add_u16_e32 v7, 0xf000, v7
	v_add_u16_e32 v5, 0xf000, v5
	v_perm_b32 v5, v5, v7, s16
	v_lshlrev_b16_e32 v7, 8, v6
	v_add_u16_e32 v7, 0xf000, v7
	v_lshlrev_b16_sdwa v1, v143, v11 dst_sel:DWORD dst_unused:UNUSED_PAD src0_sel:DWORD src1_sel:WORD_1
	v_lshrrev_b16_e32 v7, 8, v7
	v_add_u16_e32 v1, 0xf000, v1
	v_bitop3_b16 v6, v6, v7, s11 bitop3:0xec
	v_perm_b32 v1, v1, v14, s16
	v_add_u16_e32 v6, 0xf000, v6
	v_lshl_or_b32 v1, v1, 16, v13
	v_lshl_or_b32 v5, v5, 16, v6
	ds_write2_b32 v138, v1, v5 offset1:1
	v_ashrrev_i32_e32 v1, v74, v12
	v_lshlrev_b32_e32 v6, 4, v1
	v_lshlrev_b32_e32 v7, 11, v1
	v_and_b32_e32 v5, 0xf0f0f0f, v9
	v_and_b32_e32 v6, 16, v6
	v_and_b32_e32 v7, 0x1000, v7
	v_or3_b32 v6, v6, v5, v7
	v_lshlrev_b32_e32 v7, 18, v1
	v_lshlrev_b32_e32 v8, 25, v1
	v_and_b32_e32 v7, 0x100000, v7
	v_and_b32_e32 v8, 0x10000000, v8
	v_or3_b32 v5, v5, v7, v8
	v_and_b32_e32 v7, 0x1f00, v6
	v_lshlrev_b16_e32 v6, 8, v6
	v_add_u16_e32 v7, 0xf000, v7
	v_add_u16_e32 v6, 0xf000, v6
	v_perm_b32 v6, v6, v7, s16
	v_and_b32_sdwa v7, v5, s11 dst_sel:DWORD dst_unused:UNUSED_PAD src0_sel:WORD_1 src1_sel:DWORD
	v_lshlrev_b16_sdwa v5, v143, v5 dst_sel:DWORD dst_unused:UNUSED_PAD src0_sel:DWORD src1_sel:WORD_1
	v_add_u16_e32 v7, 0xf000, v7
	v_add_u16_e32 v5, 0xf000, v5
	v_perm_b32 v5, v5, v7, s16
	v_lshl_or_b32 v5, v5, 16, v6
	v_lshrrev_b32_e32 v6, 4, v9
	v_lshrrev_b32_e32 v7, 12, v1
	;; [unrolled: 1-line block ×3, first 2 shown]
	v_and_b32_e32 v6, 0xf0f0f0f, v6
	v_and_b32_e32 v7, 16, v7
	;; [unrolled: 1-line block ×3, first 2 shown]
	v_or3_b32 v7, v7, v6, v8
	v_lshlrev_b32_e32 v8, 2, v1
	v_lshlrev_b32_e32 v1, 9, v1
	v_and_b32_e32 v8, 0x100000, v8
	v_and_b32_e32 v1, 0x10000000, v1
	v_or3_b32 v1, v6, v8, v1
	v_and_b32_sdwa v6, v1, s11 dst_sel:DWORD dst_unused:UNUSED_PAD src0_sel:WORD_1 src1_sel:DWORD
	v_lshlrev_b16_sdwa v1, v143, v1 dst_sel:DWORD dst_unused:UNUSED_PAD src0_sel:DWORD src1_sel:WORD_1
	v_add_u16_e32 v6, 0xf000, v6
	v_add_u16_e32 v1, 0xf000, v1
	v_perm_b32 v1, v1, v6, s16
	v_lshlrev_b16_e32 v6, 8, v7
	v_add_u16_e32 v6, 0xf000, v6
	v_lshrrev_b16_e32 v6, 8, v6
	v_bitop3_b16 v6, v7, v6, s11 bitop3:0xec
	v_add_u16_e32 v6, 0xf000, v6
	v_lshl_or_b32 v1, v1, 16, v6
	ds_write2_b32 v142, v5, v1 offset1:1
	s_waitcnt vmcnt(3)
	v_cvt_f32_f16_e32 v2, v2
	s_waitcnt vmcnt(2)
	v_cvt_f32_f16_e32 v1, v3
	;; [unrolled: 2-line block ×4, first 2 shown]
	ds_write_b32 v135, v2
	ds_write_b32 v137, v1
	;; [unrolled: 1-line block ×4, first 2 shown]
	s_cbranch_scc0 .LBB122_6
; %bb.8:                                ;   in Loop: Header=BB122_7 Depth=1
	v_add_u32_e32 v14, s9, v81
	v_add_u32_e32 v218, s9, v158
	v_add_u32_e32 v0, v14, v87
	v_add_u32_e32 v2, v14, v91
	v_add_u32_e32 v4, v14, v93
	v_add_u32_e32 v6, v14, v95
	v_mad_i64_i32 v[0:1], s[0:1], v0, 36, v[160:161]
	v_mad_i64_i32 v[2:3], s[0:1], v2, 36, v[160:161]
	v_mad_i64_i32 v[4:5], s[0:1], v4, 36, v[160:161]
	v_mad_i64_i32 v[6:7], s[0:1], v6, 36, v[160:161]
	v_add_u32_e32 v8, v14, v97
	v_add_u32_e32 v10, v14, v99
	;; [unrolled: 1-line block ×4, first 2 shown]
	v_mad_u64_u32 v[16:17], s[0:1], v218, 36, s[2:3]
	v_mad_i64_i32 v[8:9], s[0:1], v8, 36, v[160:161]
	v_mad_i64_i32 v[10:11], s[0:1], v10, 36, v[160:161]
	;; [unrolled: 1-line block ×4, first 2 shown]
	global_load_dword v16, v[16:17], off
	s_nop 0
	global_load_dword v0, v[0:1], off offset:4
	s_nop 0
	global_load_dword v1, v[2:3], off offset:4
	;; [unrolled: 2-line block ×3, first 2 shown]
	global_load_dword v3, v[6:7], off offset:4
	s_nop 0
	global_load_dword v4, v[8:9], off offset:4
	global_load_dword v5, v[10:11], off offset:4
	;; [unrolled: 1-line block ×4, first 2 shown]
	v_add_u32_e32 v219, v83, v89
	s_mov_b32 s0, -4
	v_mov_b32_e32 v220, v119
	v_mov_b32_e32 v221, v105
	v_mov_b32_e32 v222, v117
	v_mov_b32_e32 v223, v115
	v_mov_b32_e32 v224, v113
	v_mov_b32_e32 v225, v111
	v_mov_b32_e32 v226, v109
	s_waitcnt vmcnt(8)
	v_cvt_f32_f16_e32 v8, v16
	s_waitcnt vmcnt(7)
	ds_write_b32 v219, v0
	s_waitcnt vmcnt(6)
	ds_write_b32 v147, v1
	;; [unrolled: 2-line block ×8, first 2 shown]
	ds_write_b32 v85, v8
	s_waitcnt lgkmcnt(0)
	s_barrier
.LBB122_9:                              ;   Parent Loop BB122_7 Depth=1
                                        ; =>  This Inner Loop Header: Depth=2
	ds_read_b128 v[32:35], v220
	ds_read_b128 v[0:3], v220 offset:16
	ds_read2_b32 v[188:189], v222 offset1:32
	v_add_u32_e32 v170, 0x2080, v221
	v_add_u32_e32 v182, 0x4108, v221
	;; [unrolled: 1-line block ×5, first 2 shown]
	ds_read2_b32 v[168:169], v221 offset1:1
	ds_read2_b32 v[166:167], v221 offset0:2 offset1:3
	ds_read2_b32 v[164:165], v221 offset0:4 offset1:5
	ds_read2_b32 v[162:163], v221 offset0:6 offset1:7
	v_add_u32_e32 v171, 0x2088, v221
	v_add_u32_e32 v173, 0x2090, v221
	;; [unrolled: 1-line block ×4, first 2 shown]
	ds_read_b32 v172, v223
	ds_read_b32 v174, v224
	;; [unrolled: 1-line block ×4, first 2 shown]
	v_add_u32_e32 v186, 0x6188, v221
	v_add_u32_e32 v187, 0x6190, v221
	;; [unrolled: 1-line block ×3, first 2 shown]
	ds_read_b128 v[36:39], v220 offset:1024
	ds_read_b128 v[4:7], v220 offset:1040
	;; [unrolled: 1-line block ×4, first 2 shown]
	ds_read2_b32 v[192:193], v222 offset0:64 offset1:96
	ds_read_b128 v[44:47], v220 offset:3072
	ds_read_b128 v[12:15], v220 offset:3088
	;; [unrolled: 1-line block ×4, first 2 shown]
	ds_read2_b32 v[198:199], v222 offset0:128 offset1:160
	ds_read_b128 v[20:23], v220 offset:5120
	ds_read_b128 v[24:27], v220 offset:6144
	ds_read2_b32 v[216:217], v222 offset0:192 offset1:224
	ds_read2_b32 v[214:215], v170 offset1:1
	ds_read2_b32 v[208:209], v171 offset1:1
	ds_read2_b32 v[202:203], v173 offset1:1
	ds_read2_b32 v[180:181], v175 offset1:1
	ds_read2_b32 v[212:213], v177 offset1:1
	ds_read2_b32 v[206:207], v182 offset1:1
	ds_read2_b32 v[200:201], v183 offset1:1
	ds_read2_b32 v[182:183], v184 offset1:1
	ds_read2_b32 v[210:211], v185 offset1:1
	ds_read2_b32 v[204:205], v186 offset1:1
	ds_read2_b32 v[194:195], v187 offset1:1
	ds_read2_b32 v[184:185], v190 offset1:1
	v_mov_b32_e32 v228, 0
	v_mov_b32_e32 v227, 0
	;; [unrolled: 1-line block ×4, first 2 shown]
	s_waitcnt lgkmcnt(14)
	v_dot4c_i32_i8_e32 v228, v168, v32
	s_waitcnt lgkmcnt(11)
	v_dot4c_i32_i8_e32 v227, v214, v32
	;; [unrolled: 2-line block ×4, first 2 shown]
	v_dot4c_i32_i8_e32 v228, v169, v0
	v_dot4c_i32_i8_e32 v227, v215, v0
	;; [unrolled: 1-line block ×7, first 2 shown]
	s_waitcnt lgkmcnt(2)
	v_dot4c_i32_i8_e32 v230, v204, v33
	v_dot4c_i32_i8_e32 v228, v167, v1
	v_dot4c_i32_i8_e32 v227, v209, v1
	v_dot4c_i32_i8_e32 v229, v207, v1
	v_dot4c_i32_i8_e32 v230, v205, v1
	v_dot4c_i32_i8_e32 v228, v164, v34
	v_dot4c_i32_i8_e32 v227, v202, v34
	v_dot4c_i32_i8_e32 v229, v200, v34
	s_waitcnt lgkmcnt(1)
	v_dot4c_i32_i8_e32 v230, v194, v34
	v_mov_b32_e32 v240, 0
	v_mov_b32_e32 v242, 0
	;; [unrolled: 1-line block ×3, first 2 shown]
	v_dot4c_i32_i8_e32 v228, v165, v2
	v_dot4c_i32_i8_e32 v227, v203, v2
	;; [unrolled: 1-line block ×4, first 2 shown]
	v_mov_b32_e32 v2, 0
	v_mov_b32_e32 v232, 0
	v_mov_b32_e32 v231, 0
	v_mov_b32_e32 v233, 0
	v_mov_b32_e32 v234, 0
	v_mov_b32_e32 v236, 0
	v_mov_b32_e32 v235, 0
	v_mov_b32_e32 v237, 0
	v_mov_b32_e32 v238, 0
	v_dot4c_i32_i8_e32 v240, v168, v28
	v_dot4c_i32_i8_e32 v242, v214, v28
	;; [unrolled: 1-line block ×40, first 2 shown]
	v_mov_b32_e32 v239, 0
	v_mov_b32_e32 v243, 0
	v_mov_b32_e32 v245, 0
	v_mov_b32_e32 v246, 0
	v_dot4c_i32_i8_e32 v232, v167, v5
	v_dot4c_i32_i8_e32 v231, v209, v5
	;; [unrolled: 1-line block ×43, first 2 shown]
	s_waitcnt lgkmcnt(0)
	v_dot4c_i32_i8_e32 v2, v184, v31
	ds_read_b128 v[28:31], v220 offset:7168
	v_dot4c_i32_i8_e32 v228, v162, v35
	v_dot4c_i32_i8_e32 v227, v180, v35
	;; [unrolled: 1-line block ×16, first 2 shown]
	ds_read_b128 v[32:35], v220 offset:5136
	ds_read_b128 v[40:43], v220 offset:6160
	;; [unrolled: 1-line block ×3, first 2 shown]
	v_dot4c_i32_i8_e32 v239, v167, v13
	v_dot4c_i32_i8_e32 v243, v209, v13
	;; [unrolled: 1-line block ×8, first 2 shown]
	v_mov_b32_e32 v241, 0
	v_dot4c_i32_i8_e32 v239, v165, v14
	v_dot4c_i32_i8_e32 v243, v203, v14
	;; [unrolled: 1-line block ×4, first 2 shown]
	v_mov_b32_e32 v14, 0
	v_mov_b32_e32 v18, 0
	v_dot4c_i32_i8_e32 v241, v168, v20
	v_dot4c_i32_i8_e32 v14, v168, v24
	s_waitcnt lgkmcnt(3)
	v_dot4c_i32_i8_e32 v18, v168, v28
	v_pk_mul_f32 v[170:171], v[172:173], v[188:189] op_sel_hi:[0,1]
	v_pk_mul_f32 v[0:1], v[174:175], v[188:189] op_sel_hi:[0,1]
	;; [unrolled: 1-line block ×9, first 2 shown]
	v_dot4c_i32_i8_e32 v239, v162, v47
	v_dot4c_i32_i8_e32 v243, v180, v47
	;; [unrolled: 1-line block ×4, first 2 shown]
	v_pk_mul_f32 v[12:13], v[174:175], v[198:199] op_sel_hi:[0,1]
	v_pk_mul_f32 v[44:45], v[176:177], v[198:199] op_sel_hi:[0,1]
	;; [unrolled: 1-line block ×7, first 2 shown]
	s_waitcnt lgkmcnt(2)
	v_dot4c_i32_i8_e32 v241, v169, v32
	s_waitcnt lgkmcnt(1)
	v_dot4c_i32_i8_e32 v14, v169, v40
	;; [unrolled: 2-line block ×3, first 2 shown]
	v_mov_b32_e32 v168, 0
	v_mov_b32_e32 v169, 0
	v_mov_b32_e32 v178, 0
	v_dot4c_i32_i8_e32 v168, v214, v20
	v_dot4c_i32_i8_e32 v169, v214, v24
	v_dot4c_i32_i8_e32 v178, v214, v28
	v_dot4c_i32_i8_e32 v168, v215, v32
	v_dot4c_i32_i8_e32 v169, v215, v40
	v_dot4c_i32_i8_e32 v178, v215, v36
	v_mov_b32_e32 v214, 0
	v_mov_b32_e32 v215, 0
	v_mov_b32_e32 v216, 0
	v_dot4c_i32_i8_e32 v214, v212, v20
	v_dot4c_i32_i8_e32 v215, v212, v24
	v_dot4c_i32_i8_e32 v216, v212, v28
	v_dot4c_i32_i8_e32 v214, v213, v32
	v_dot4c_i32_i8_e32 v215, v213, v40
	v_dot4c_i32_i8_e32 v216, v213, v36
	;; [unrolled: 9-line block ×3, first 2 shown]
	v_dot4c_i32_i8_e32 v241, v166, v21
	v_dot4c_i32_i8_e32 v14, v166, v25
	;; [unrolled: 1-line block ×92, first 2 shown]
	v_cvt_f32_i32_e32 v17, v232
	v_cvt_f32_i32_e32 v16, v228
	;; [unrolled: 1-line block ×32, first 2 shown]
	s_add_i32 s0, s0, 4
	v_add_u32_e32 v226, 4, v226
	v_add_u32_e32 v225, 4, v225
	;; [unrolled: 1-line block ×7, first 2 shown]
	s_cmp_lt_u32 s0, 12
	v_pk_fma_f32 v[144:145], v[170:171], v[16:17], v[144:145]
	v_pk_fma_f32 v[70:71], v[190:191], v[6:7], v[70:71]
	;; [unrolled: 1-line block ×16, first 2 shown]
	s_cbranch_scc1 .LBB122_9
; %bb.10:                               ;   in Loop: Header=BB122_7 Depth=1
	s_and_b32 s0, s8, -4
	s_cmp_eq_u32 s0, 4
	s_barrier
	s_cbranch_scc1 .LBB122_6
; %bb.11:                               ;   in Loop: Header=BB122_7 Depth=1
	v_add_u32_e32 v14, s9, v107
	v_add_u32_e32 v0, v14, v87
	;; [unrolled: 1-line block ×8, first 2 shown]
	v_mad_i64_i32 v[0:1], s[0:1], v0, 36, v[160:161]
	v_mad_i64_i32 v[2:3], s[0:1], v2, 36, v[160:161]
	;; [unrolled: 1-line block ×6, first 2 shown]
	v_add_u32_e32 v12, v14, v101
	v_add_u32_e32 v14, v14, v103
	v_mad_u64_u32 v[16:17], s[0:1], v16, 36, s[2:3]
	v_mad_i64_i32 v[12:13], s[0:1], v12, 36, v[160:161]
	v_mad_i64_i32 v[14:15], s[0:1], v14, 36, v[160:161]
	global_load_dword v16, v[16:17], off
	s_nop 0
	global_load_dword v0, v[0:1], off offset:4
	s_nop 0
	global_load_dword v2, v[2:3], off offset:4
	;; [unrolled: 2-line block ×6, first 2 shown]
	global_load_dword v9, v[12:13], off offset:4
	s_nop 0
	global_load_dword v10, v[14:15], off offset:4
	s_mov_b32 s0, 12
	v_mov_b32_e32 v1, v117
	v_mov_b32_e32 v3, v119
	;; [unrolled: 1-line block ×7, first 2 shown]
	s_waitcnt vmcnt(8)
	v_cvt_f32_f16_e32 v11, v16
	s_waitcnt vmcnt(7)
	ds_write_b32 v219, v0
	s_waitcnt vmcnt(6)
	ds_write_b32 v147, v2
	s_waitcnt vmcnt(5)
	ds_write_b32 v151, v4
	s_waitcnt vmcnt(4)
	ds_write_b32 v153, v6
	s_waitcnt vmcnt(3)
	ds_write_b32 v155, v7
	s_waitcnt vmcnt(2)
	ds_write_b32 v157, v8
	s_waitcnt vmcnt(1)
	ds_write_b32 v159, v9
	s_waitcnt vmcnt(0)
	ds_write_b32 v179, v10
	ds_write_b32 v85, v11
	s_waitcnt lgkmcnt(0)
	s_barrier
.LBB122_12:                             ;   Parent Loop BB122_7 Depth=1
                                        ; =>  This Inner Loop Header: Depth=2
	v_add_u32_e32 v2, 0x2080, v5
	ds_read_b128 v[162:165], v3
	ds_read_b128 v[166:169], v3 offset:16
	ds_read2_b32 v[40:41], v1 offset1:32
	ds_read_b32 v4, v13
	ds_read2_b32 v[10:11], v5 offset1:1
	ds_read2_b32 v[20:21], v5 offset0:2 offset1:3
	ds_read2_b32 v[26:27], v5 offset0:4 offset1:5
	;; [unrolled: 1-line block ×3, first 2 shown]
	ds_read_b32 v0, v42
	ds_read2_b32 v[6:7], v2 offset1:1
	v_add_u32_e32 v2, 0x2088, v5
	ds_read2_b32 v[14:15], v2 offset1:1
	v_add_u32_e32 v2, 0x2090, v5
	;; [unrolled: 2-line block ×3, first 2 shown]
	v_add_u32_e32 v8, 0x4100, v5
	v_add_u32_e32 v12, 0x4108, v5
	ds_read2_b32 v[32:33], v2 offset1:1
	ds_read_b32 v2, v43
	ds_read2_b32 v[8:9], v8 offset1:1
	ds_read2_b32 v[18:19], v12 offset1:1
	v_add_u32_e32 v12, 0x4110, v5
	ds_read2_b32 v[28:29], v12 offset1:1
	v_add_u32_e32 v12, 0x4118, v5
	v_add_u32_e32 v16, 0x6180, v5
	ds_read2_b32 v[36:37], v12 offset1:1
	ds_read_b32 v12, v44
	ds_read2_b32 v[16:17], v16 offset1:1
	v_add_u32_e32 v24, 0x6188, v5
	ds_read2_b32 v[24:25], v24 offset1:1
	v_add_u32_e32 v34, 0x6190, v5
	v_mov_b32_e32 v45, 0
	v_mov_b32_e32 v172, 0
	;; [unrolled: 1-line block ×4, first 2 shown]
	ds_read2_b32 v[34:35], v34 offset1:1
	s_waitcnt lgkmcnt(14)
	v_dot4c_i32_i8_e32 v45, v10, v162
	s_waitcnt lgkmcnt(12)
	v_dot4c_i32_i8_e32 v172, v6, v162
	;; [unrolled: 2-line block ×4, first 2 shown]
	v_add_u32_e32 v38, 0x6198, v5
	v_dot4c_i32_i8_e32 v45, v11, v166
	v_dot4c_i32_i8_e32 v172, v7, v166
	;; [unrolled: 1-line block ×4, first 2 shown]
	ds_read2_b32 v[38:39], v38 offset1:1
	v_dot4c_i32_i8_e32 v45, v20, v163
	v_dot4c_i32_i8_e32 v172, v14, v163
	v_dot4c_i32_i8_e32 v173, v18, v163
	s_waitcnt lgkmcnt(2)
	v_dot4c_i32_i8_e32 v174, v24, v163
	v_dot4c_i32_i8_e32 v45, v21, v167
	v_dot4c_i32_i8_e32 v172, v15, v167
	v_dot4c_i32_i8_e32 v173, v19, v167
	v_dot4c_i32_i8_e32 v174, v25, v167
	v_dot4c_i32_i8_e32 v45, v26, v164
	v_dot4c_i32_i8_e32 v172, v22, v164
	v_dot4c_i32_i8_e32 v173, v28, v164
	s_waitcnt lgkmcnt(1)
	v_dot4c_i32_i8_e32 v174, v34, v164
	v_dot4c_i32_i8_e32 v45, v27, v168
	v_dot4c_i32_i8_e32 v172, v23, v168
	v_dot4c_i32_i8_e32 v173, v29, v168
	v_dot4c_i32_i8_e32 v174, v35, v168
	;; [unrolled: 9-line block ×3, first 2 shown]
	ds_read_b128 v[162:165], v3 offset:1024
	ds_read_b128 v[166:169], v3 offset:1040
	v_mov_b32_e32 v170, 0
	v_pk_mul_f32 v[46:47], v[4:5], v[40:41] op_sel_hi:[0,1]
	s_add_i32 s0, s0, 4
	s_waitcnt lgkmcnt(1)
	v_dot4c_i32_i8_e32 v170, v10, v162
	s_waitcnt lgkmcnt(0)
	v_dot4c_i32_i8_e32 v170, v11, v166
	v_dot4c_i32_i8_e32 v170, v20, v163
	;; [unrolled: 1-line block ×7, first 2 shown]
	v_add_u32_e32 v44, 4, v44
	v_add_u32_e32 v43, 4, v43
	;; [unrolled: 1-line block ×3, first 2 shown]
	v_cvt_f32_i32_e32 v171, v170
	v_cvt_f32_i32_e32 v170, v45
	v_mov_b32_e32 v45, 0
	v_dot4c_i32_i8_e32 v45, v6, v162
	v_dot4c_i32_i8_e32 v45, v7, v166
	v_dot4c_i32_i8_e32 v45, v14, v163
	v_dot4c_i32_i8_e32 v45, v15, v167
	v_dot4c_i32_i8_e32 v45, v22, v164
	v_dot4c_i32_i8_e32 v45, v23, v168
	v_dot4c_i32_i8_e32 v45, v32, v165
	v_dot4c_i32_i8_e32 v45, v33, v169
	v_pk_fma_f32 v[144:145], v[46:47], v[170:171], v[144:145]
	v_cvt_f32_i32_e32 v170, v172
	v_pk_mul_f32 v[46:47], v[0:1], v[40:41] op_sel_hi:[0,1]
	v_cvt_f32_i32_e32 v171, v45
	v_mov_b32_e32 v45, 0
	v_dot4c_i32_i8_e32 v45, v8, v162
	v_dot4c_i32_i8_e32 v45, v9, v166
	v_dot4c_i32_i8_e32 v45, v18, v163
	v_dot4c_i32_i8_e32 v45, v19, v167
	v_dot4c_i32_i8_e32 v45, v28, v164
	v_dot4c_i32_i8_e32 v45, v29, v168
	v_dot4c_i32_i8_e32 v45, v36, v165
	v_dot4c_i32_i8_e32 v45, v37, v169
	v_pk_fma_f32 v[148:149], v[46:47], v[170:171], v[148:149]
	v_cvt_f32_i32_e32 v170, v173
	v_pk_mul_f32 v[46:47], v[2:3], v[40:41] op_sel_hi:[0,1]
	v_cvt_f32_i32_e32 v171, v45
	v_mov_b32_e32 v45, 0
	v_dot4c_i32_i8_e32 v45, v16, v162
	v_dot4c_i32_i8_e32 v45, v17, v166
	v_dot4c_i32_i8_e32 v45, v24, v163
	v_dot4c_i32_i8_e32 v45, v25, v167
	v_dot4c_i32_i8_e32 v45, v34, v164
	v_dot4c_i32_i8_e32 v45, v35, v168
	v_dot4c_i32_i8_e32 v45, v38, v165
	v_dot4c_i32_i8_e32 v45, v39, v169
	v_pk_fma_f32 v[132:133], v[46:47], v[170:171], v[132:133]
	v_cvt_f32_i32_e32 v46, v174
	v_pk_mul_f32 v[40:41], v[12:13], v[40:41] op_sel_hi:[0,1]
	v_cvt_f32_i32_e32 v47, v45
	v_mov_b32_e32 v45, 0
	v_mov_b32_e32 v172, 0
	v_mov_b32_e32 v173, 0
	v_pk_fma_f32 v[120:121], v[40:41], v[46:47], v[120:121]
	ds_read_b128 v[162:165], v3 offset:2048
	ds_read_b128 v[166:169], v3 offset:2064
	ds_read2_b32 v[40:41], v1 offset0:64 offset1:96
	v_mov_b32_e32 v174, 0
	v_mov_b32_e32 v170, 0
	s_waitcnt lgkmcnt(2)
	v_dot4c_i32_i8_e32 v45, v10, v162
	v_dot4c_i32_i8_e32 v172, v6, v162
	;; [unrolled: 1-line block ×4, first 2 shown]
	s_waitcnt lgkmcnt(1)
	v_dot4c_i32_i8_e32 v45, v11, v166
	v_dot4c_i32_i8_e32 v172, v7, v166
	;; [unrolled: 1-line block ×28, first 2 shown]
	ds_read_b128 v[162:165], v3 offset:3072
	ds_read_b128 v[166:169], v3 offset:3088
	s_waitcnt lgkmcnt(2)
	v_pk_mul_f32 v[46:47], v[4:5], v[40:41] op_sel_hi:[0,1]
	s_cmp_lt_u32 s0, 28
	s_waitcnt lgkmcnt(1)
	v_dot4c_i32_i8_e32 v170, v10, v162
	s_waitcnt lgkmcnt(0)
	v_dot4c_i32_i8_e32 v170, v11, v166
	v_dot4c_i32_i8_e32 v170, v20, v163
	;; [unrolled: 1-line block ×7, first 2 shown]
	s_nop 2
	v_cvt_f32_i32_e32 v171, v170
	v_cvt_f32_i32_e32 v170, v45
	v_mov_b32_e32 v45, 0
	v_dot4c_i32_i8_e32 v45, v6, v162
	v_dot4c_i32_i8_e32 v45, v7, v166
	v_dot4c_i32_i8_e32 v45, v14, v163
	v_dot4c_i32_i8_e32 v45, v15, v167
	v_dot4c_i32_i8_e32 v45, v22, v164
	v_dot4c_i32_i8_e32 v45, v23, v168
	v_dot4c_i32_i8_e32 v45, v32, v165
	v_dot4c_i32_i8_e32 v45, v33, v169
	v_pk_fma_f32 v[70:71], v[46:47], v[170:171], v[70:71]
	v_cvt_f32_i32_e32 v170, v172
	v_pk_mul_f32 v[46:47], v[0:1], v[40:41] op_sel_hi:[0,1]
	v_cvt_f32_i32_e32 v171, v45
	v_mov_b32_e32 v45, 0
	v_dot4c_i32_i8_e32 v45, v8, v162
	v_dot4c_i32_i8_e32 v45, v9, v166
	v_dot4c_i32_i8_e32 v45, v18, v163
	v_dot4c_i32_i8_e32 v45, v19, v167
	v_dot4c_i32_i8_e32 v45, v28, v164
	v_dot4c_i32_i8_e32 v45, v29, v168
	v_dot4c_i32_i8_e32 v45, v36, v165
	v_dot4c_i32_i8_e32 v45, v37, v169
	v_pk_fma_f32 v[68:69], v[46:47], v[170:171], v[68:69]
	v_cvt_f32_i32_e32 v170, v173
	v_pk_mul_f32 v[46:47], v[2:3], v[40:41] op_sel_hi:[0,1]
	;; [unrolled: 13-line block ×3, first 2 shown]
	v_cvt_f32_i32_e32 v47, v45
	v_mov_b32_e32 v45, 0
	v_mov_b32_e32 v172, 0
	;; [unrolled: 1-line block ×3, first 2 shown]
	v_pk_fma_f32 v[64:65], v[40:41], v[46:47], v[64:65]
	ds_read_b128 v[162:165], v3 offset:4096
	ds_read_b128 v[166:169], v3 offset:4112
	ds_read2_b32 v[40:41], v1 offset0:128 offset1:160
	v_mov_b32_e32 v174, 0
	v_mov_b32_e32 v170, 0
	s_waitcnt lgkmcnt(2)
	v_dot4c_i32_i8_e32 v45, v10, v162
	v_dot4c_i32_i8_e32 v172, v6, v162
	;; [unrolled: 1-line block ×4, first 2 shown]
	s_waitcnt lgkmcnt(1)
	v_dot4c_i32_i8_e32 v45, v11, v166
	v_dot4c_i32_i8_e32 v172, v7, v166
	;; [unrolled: 1-line block ×28, first 2 shown]
	ds_read_b128 v[162:165], v3 offset:5120
	ds_read_b128 v[166:169], v3 offset:5136
	s_waitcnt lgkmcnt(2)
	v_pk_mul_f32 v[46:47], v[4:5], v[40:41] op_sel_hi:[0,1]
	s_waitcnt lgkmcnt(1)
	v_dot4c_i32_i8_e32 v170, v10, v162
	s_waitcnt lgkmcnt(0)
	v_dot4c_i32_i8_e32 v170, v11, v166
	v_dot4c_i32_i8_e32 v170, v20, v163
	;; [unrolled: 1-line block ×7, first 2 shown]
	s_nop 2
	v_cvt_f32_i32_e32 v171, v170
	v_cvt_f32_i32_e32 v170, v45
	v_mov_b32_e32 v45, 0
	v_dot4c_i32_i8_e32 v45, v6, v162
	v_dot4c_i32_i8_e32 v45, v7, v166
	v_dot4c_i32_i8_e32 v45, v14, v163
	v_dot4c_i32_i8_e32 v45, v15, v167
	v_dot4c_i32_i8_e32 v45, v22, v164
	v_dot4c_i32_i8_e32 v45, v23, v168
	v_dot4c_i32_i8_e32 v45, v32, v165
	v_dot4c_i32_i8_e32 v45, v33, v169
	v_pk_fma_f32 v[62:63], v[46:47], v[170:171], v[62:63]
	v_cvt_f32_i32_e32 v170, v172
	v_pk_mul_f32 v[46:47], v[0:1], v[40:41] op_sel_hi:[0,1]
	v_cvt_f32_i32_e32 v171, v45
	v_mov_b32_e32 v45, 0
	v_dot4c_i32_i8_e32 v45, v8, v162
	v_dot4c_i32_i8_e32 v45, v9, v166
	v_dot4c_i32_i8_e32 v45, v18, v163
	v_dot4c_i32_i8_e32 v45, v19, v167
	v_dot4c_i32_i8_e32 v45, v28, v164
	v_dot4c_i32_i8_e32 v45, v29, v168
	v_dot4c_i32_i8_e32 v45, v36, v165
	v_dot4c_i32_i8_e32 v45, v37, v169
	v_pk_fma_f32 v[60:61], v[46:47], v[170:171], v[60:61]
	v_cvt_f32_i32_e32 v170, v173
	v_pk_mul_f32 v[46:47], v[2:3], v[40:41] op_sel_hi:[0,1]
	;; [unrolled: 13-line block ×3, first 2 shown]
	v_cvt_f32_i32_e32 v47, v45
	v_mov_b32_e32 v45, 0
	v_mov_b32_e32 v170, 0
	;; [unrolled: 1-line block ×3, first 2 shown]
	v_pk_fma_f32 v[56:57], v[40:41], v[46:47], v[56:57]
	ds_read_b128 v[162:165], v3 offset:6144
	ds_read_b128 v[166:169], v3 offset:6160
	ds_read2_b32 v[40:41], v1 offset0:192 offset1:224
	v_mov_b32_e32 v46, 0
	v_mov_b32_e32 v47, 0
	s_waitcnt lgkmcnt(2)
	v_dot4c_i32_i8_e32 v45, v10, v162
	v_dot4c_i32_i8_e32 v46, v6, v162
	;; [unrolled: 1-line block ×4, first 2 shown]
	s_waitcnt lgkmcnt(1)
	v_dot4c_i32_i8_e32 v45, v11, v166
	v_dot4c_i32_i8_e32 v46, v7, v166
	;; [unrolled: 1-line block ×28, first 2 shown]
	ds_read_b128 v[162:165], v3 offset:7168
	ds_read_b128 v[166:169], v3 offset:7184
	s_waitcnt lgkmcnt(1)
	v_dot4c_i32_i8_e32 v171, v10, v162
	s_waitcnt lgkmcnt(0)
	v_dot4c_i32_i8_e32 v171, v11, v166
	v_pk_mul_f32 v[10:11], v[4:5], v[40:41] op_sel_hi:[0,1]
	v_mov_b32_e32 v4, 0
	v_dot4c_i32_i8_e32 v4, v6, v162
	v_dot4c_i32_i8_e32 v4, v7, v166
	v_pk_mul_f32 v[6:7], v[0:1], v[40:41] op_sel_hi:[0,1]
	v_mov_b32_e32 v0, 0
	v_dot4c_i32_i8_e32 v0, v8, v162
	v_dot4c_i32_i8_e32 v0, v9, v166
	;; [unrolled: 1-line block ×16, first 2 shown]
	v_cvt_f32_i32_e32 v20, v45
	v_cvt_f32_i32_e32 v21, v171
	v_dot4c_i32_i8_e32 v4, v22, v164
	v_cvt_f32_i32_e32 v9, v0
	v_mov_b32_e32 v0, 0
	v_dot4c_i32_i8_e32 v4, v23, v168
	v_dot4c_i32_i8_e32 v0, v16, v162
	;; [unrolled: 1-line block ×6, first 2 shown]
	v_pk_fma_f32 v[54:55], v[10:11], v[20:21], v[54:55]
	v_cvt_f32_i32_e32 v10, v46
	v_cvt_f32_i32_e32 v11, v4
	v_dot4c_i32_i8_e32 v0, v25, v167
	v_cvt_f32_i32_e32 v8, v47
	v_dot4c_i32_i8_e32 v0, v34, v164
	v_dot4c_i32_i8_e32 v0, v35, v168
	;; [unrolled: 1-line block ×3, first 2 shown]
	v_pk_fma_f32 v[52:53], v[6:7], v[10:11], v[52:53]
	v_pk_mul_f32 v[6:7], v[2:3], v[40:41] op_sel_hi:[0,1]
	v_dot4c_i32_i8_e32 v0, v39, v169
	v_pk_fma_f32 v[50:51], v[6:7], v[8:9], v[50:51]
	v_cvt_f32_i32_e32 v8, v170
	v_pk_mul_f32 v[6:7], v[12:13], v[40:41] op_sel_hi:[0,1]
	v_cvt_f32_i32_e32 v9, v0
	v_add_u32_e32 v13, 4, v13
	v_add_u32_e32 v5, 32, v5
	;; [unrolled: 1-line block ×3, first 2 shown]
	v_pk_fma_f32 v[48:49], v[6:7], v[8:9], v[48:49]
	v_add_u32_e32 v1, 4, v1
	s_cbranch_scc1 .LBB122_12
; %bb.13:                               ;   in Loop: Header=BB122_7 Depth=1
	s_barrier
	s_branch .LBB122_6
.LBB122_14:
	v_mov_b32_e32 v1, v77
	v_cmp_gt_u32_e32 vcc, s10, v79
	s_and_saveexec_b64 s[0:1], vcc
	s_cbranch_execz .LBB122_3
.LBB122_15:
	v_add_u32_e32 v0, s4, v73
	v_mul_lo_u32 v5, v79, s14
	v_cmp_gt_u32_e32 vcc, s14, v0
	s_and_saveexec_b64 s[0:1], vcc
	s_cbranch_execz .LBB122_17
; %bb.16:
	v_add_u32_e32 v2, v0, v5
	v_mov_b32_e32 v3, 0
	s_waitcnt lgkmcnt(0)
	v_lshl_add_u64 v[2:3], v[2:3], 2, s[12:13]
	global_store_dword v[2:3], v144, off
.LBB122_17:
	s_or_b64 exec, exec, s[0:1]
	v_add_u32_e32 v2, 32, v0
	v_cmp_gt_u32_e64 s[0:1], s14, v2
	s_and_saveexec_b64 s[2:3], s[0:1]
	s_cbranch_execz .LBB122_19
; %bb.18:
	v_add_u32_e32 v6, v2, v5
	v_mov_b32_e32 v7, 0
	s_waitcnt lgkmcnt(0)
	v_lshl_add_u64 v[6:7], v[6:7], 2, s[12:13]
	global_store_dword v[6:7], v148, off
.LBB122_19:
	s_or_b64 exec, exec, s[2:3]
	v_add_u32_e32 v3, 64, v0
	v_cmp_gt_u32_e64 s[2:3], s14, v3
	s_and_saveexec_b64 s[4:5], s[2:3]
	;; [unrolled: 12-line block ×3, first 2 shown]
	s_cbranch_execz .LBB122_23
; %bb.22:
	v_add_u32_e32 v6, v4, v5
	v_mov_b32_e32 v7, 0
	s_waitcnt lgkmcnt(0)
	v_lshl_add_u64 v[6:7], v[6:7], 2, s[12:13]
	global_store_dword v[6:7], v120, off
.LBB122_23:
	s_or_b64 exec, exec, s[6:7]
	v_add3_u32 v5, v1, s15, 8
	v_cmp_gt_u32_e64 s[6:7], s10, v5
	s_and_b64 exec, exec, s[6:7]
	s_cbranch_execz .LBB122_3
; %bb.24:
	v_mul_lo_u32 v5, v5, s14
	s_and_saveexec_b64 s[6:7], vcc
	s_cbranch_execnz .LBB122_64
; %bb.25:
	s_or_b64 exec, exec, s[6:7]
	s_and_saveexec_b64 s[6:7], s[0:1]
	s_cbranch_execnz .LBB122_65
.LBB122_26:
	s_or_b64 exec, exec, s[6:7]
	s_and_saveexec_b64 s[6:7], s[2:3]
	s_cbranch_execnz .LBB122_66
.LBB122_27:
	s_or_b64 exec, exec, s[6:7]
	s_and_saveexec_b64 s[6:7], s[4:5]
	s_cbranch_execz .LBB122_29
.LBB122_28:
	v_add_u32_e32 v6, v5, v4
	v_mov_b32_e32 v7, 0
	s_waitcnt lgkmcnt(0)
	v_lshl_add_u64 v[6:7], v[6:7], 2, s[12:13]
	global_store_dword v[6:7], v121, off
.LBB122_29:
	s_or_b64 exec, exec, s[6:7]
	v_add3_u32 v5, v1, s15, 16
	v_cmp_gt_u32_e64 s[6:7], s10, v5
	s_and_b64 exec, exec, s[6:7]
	s_cbranch_execz .LBB122_3
; %bb.30:
	v_mul_lo_u32 v5, v5, s14
	s_and_saveexec_b64 s[6:7], vcc
	s_cbranch_execnz .LBB122_67
; %bb.31:
	s_or_b64 exec, exec, s[6:7]
	s_and_saveexec_b64 s[6:7], s[0:1]
	s_cbranch_execnz .LBB122_68
.LBB122_32:
	s_or_b64 exec, exec, s[6:7]
	s_and_saveexec_b64 s[6:7], s[2:3]
	s_cbranch_execnz .LBB122_69
.LBB122_33:
	s_or_b64 exec, exec, s[6:7]
	s_and_saveexec_b64 s[6:7], s[4:5]
	s_cbranch_execz .LBB122_35
.LBB122_34:
	v_add_u32_e32 v6, v5, v4
	v_mov_b32_e32 v7, 0
	s_waitcnt lgkmcnt(0)
	v_lshl_add_u64 v[6:7], v[6:7], 2, s[12:13]
	global_store_dword v[6:7], v64, off
.LBB122_35:
	s_or_b64 exec, exec, s[6:7]
	v_add3_u32 v5, v1, s15, 24
	v_cmp_gt_u32_e64 s[6:7], s10, v5
	s_and_b64 exec, exec, s[6:7]
	s_cbranch_execz .LBB122_3
; %bb.36:
	v_mul_lo_u32 v5, v5, s14
	s_and_saveexec_b64 s[6:7], vcc
	s_cbranch_execnz .LBB122_70
; %bb.37:
	s_or_b64 exec, exec, s[6:7]
	s_and_saveexec_b64 s[6:7], s[0:1]
	s_cbranch_execnz .LBB122_71
.LBB122_38:
	s_or_b64 exec, exec, s[6:7]
	s_and_saveexec_b64 s[6:7], s[2:3]
	s_cbranch_execnz .LBB122_72
.LBB122_39:
	s_or_b64 exec, exec, s[6:7]
	s_and_saveexec_b64 s[6:7], s[4:5]
	s_cbranch_execz .LBB122_41
.LBB122_40:
	v_add_u32_e32 v6, v5, v4
	v_mov_b32_e32 v7, 0
	s_waitcnt lgkmcnt(0)
	v_lshl_add_u64 v[6:7], v[6:7], 2, s[12:13]
	global_store_dword v[6:7], v65, off
.LBB122_41:
	s_or_b64 exec, exec, s[6:7]
	v_add3_u32 v5, v1, s15, 32
	v_cmp_gt_u32_e64 s[6:7], s10, v5
	s_and_b64 exec, exec, s[6:7]
	s_cbranch_execz .LBB122_3
; %bb.42:
	v_mul_lo_u32 v5, v5, s14
	s_and_saveexec_b64 s[6:7], vcc
	s_cbranch_execnz .LBB122_73
; %bb.43:
	s_or_b64 exec, exec, s[6:7]
	s_and_saveexec_b64 s[6:7], s[0:1]
	s_cbranch_execnz .LBB122_74
.LBB122_44:
	s_or_b64 exec, exec, s[6:7]
	s_and_saveexec_b64 s[6:7], s[2:3]
	s_cbranch_execnz .LBB122_75
.LBB122_45:
	s_or_b64 exec, exec, s[6:7]
	s_and_saveexec_b64 s[6:7], s[4:5]
	s_cbranch_execz .LBB122_47
.LBB122_46:
	v_add_u32_e32 v6, v5, v4
	v_mov_b32_e32 v7, 0
	s_waitcnt lgkmcnt(0)
	v_lshl_add_u64 v[6:7], v[6:7], 2, s[12:13]
	global_store_dword v[6:7], v56, off
.LBB122_47:
	s_or_b64 exec, exec, s[6:7]
	v_add3_u32 v5, v1, s15, 40
	v_cmp_gt_u32_e64 s[6:7], s10, v5
	s_and_b64 exec, exec, s[6:7]
	s_cbranch_execz .LBB122_3
; %bb.48:
	v_mul_lo_u32 v5, v5, s14
	s_and_saveexec_b64 s[6:7], vcc
	s_cbranch_execnz .LBB122_76
; %bb.49:
	s_or_b64 exec, exec, s[6:7]
	s_and_saveexec_b64 s[6:7], s[0:1]
	s_cbranch_execnz .LBB122_77
.LBB122_50:
	s_or_b64 exec, exec, s[6:7]
	s_and_saveexec_b64 s[6:7], s[2:3]
	s_cbranch_execnz .LBB122_78
.LBB122_51:
	s_or_b64 exec, exec, s[6:7]
	s_and_saveexec_b64 s[6:7], s[4:5]
	s_cbranch_execz .LBB122_53
.LBB122_52:
	v_add_u32_e32 v6, v5, v4
	v_mov_b32_e32 v7, 0
	s_waitcnt lgkmcnt(0)
	v_lshl_add_u64 v[6:7], v[6:7], 2, s[12:13]
	global_store_dword v[6:7], v57, off
.LBB122_53:
	s_or_b64 exec, exec, s[6:7]
	v_add3_u32 v5, v1, s15, 48
	v_cmp_gt_u32_e64 s[6:7], s10, v5
	s_and_b64 exec, exec, s[6:7]
	s_cbranch_execz .LBB122_3
; %bb.54:
	v_mul_lo_u32 v5, v5, s14
	s_and_saveexec_b64 s[6:7], vcc
	s_cbranch_execnz .LBB122_79
; %bb.55:
	s_or_b64 exec, exec, s[6:7]
	s_and_saveexec_b64 s[6:7], s[0:1]
	s_cbranch_execnz .LBB122_80
.LBB122_56:
	s_or_b64 exec, exec, s[6:7]
	s_and_saveexec_b64 s[6:7], s[2:3]
	s_cbranch_execnz .LBB122_81
.LBB122_57:
	s_or_b64 exec, exec, s[6:7]
	s_and_saveexec_b64 s[6:7], s[4:5]
	s_cbranch_execz .LBB122_59
.LBB122_58:
	v_add_u32_e32 v6, v5, v4
	v_mov_b32_e32 v7, 0
	s_waitcnt lgkmcnt(0)
	v_lshl_add_u64 v[6:7], v[6:7], 2, s[12:13]
	global_store_dword v[6:7], v48, off
.LBB122_59:
	s_or_b64 exec, exec, s[6:7]
	v_add3_u32 v1, v1, s15, 56
	v_cmp_gt_u32_e64 s[6:7], s10, v1
	s_and_b64 exec, exec, s[6:7]
	s_cbranch_execz .LBB122_3
; %bb.60:
	v_mul_lo_u32 v1, v1, s14
	s_and_saveexec_b64 s[6:7], vcc
	s_cbranch_execnz .LBB122_82
; %bb.61:
	s_or_b64 exec, exec, s[6:7]
	s_and_saveexec_b64 s[6:7], s[0:1]
	s_cbranch_execnz .LBB122_83
.LBB122_62:
	s_or_b64 exec, exec, s[6:7]
	s_and_saveexec_b64 s[0:1], s[2:3]
	s_cbranch_execnz .LBB122_84
.LBB122_63:
	s_or_b64 exec, exec, s[0:1]
	s_and_b64 exec, exec, s[4:5]
	s_cbranch_execz .LBB122_3
	s_branch .LBB122_85
.LBB122_64:
	v_add_u32_e32 v6, v5, v0
	v_mov_b32_e32 v7, 0
	s_waitcnt lgkmcnt(0)
	v_lshl_add_u64 v[6:7], v[6:7], 2, s[12:13]
	global_store_dword v[6:7], v145, off
	s_or_b64 exec, exec, s[6:7]
	s_and_saveexec_b64 s[6:7], s[0:1]
	s_cbranch_execz .LBB122_26
.LBB122_65:
	v_add_u32_e32 v6, v5, v2
	v_mov_b32_e32 v7, 0
	s_waitcnt lgkmcnt(0)
	v_lshl_add_u64 v[6:7], v[6:7], 2, s[12:13]
	global_store_dword v[6:7], v149, off
	s_or_b64 exec, exec, s[6:7]
	s_and_saveexec_b64 s[6:7], s[2:3]
	s_cbranch_execz .LBB122_27
.LBB122_66:
	v_add_u32_e32 v6, v5, v3
	v_mov_b32_e32 v7, 0
	s_waitcnt lgkmcnt(0)
	v_lshl_add_u64 v[6:7], v[6:7], 2, s[12:13]
	global_store_dword v[6:7], v133, off
	s_or_b64 exec, exec, s[6:7]
	s_and_saveexec_b64 s[6:7], s[4:5]
	s_cbranch_execnz .LBB122_28
	s_branch .LBB122_29
.LBB122_67:
	v_add_u32_e32 v6, v5, v0
	v_mov_b32_e32 v7, 0
	s_waitcnt lgkmcnt(0)
	v_lshl_add_u64 v[6:7], v[6:7], 2, s[12:13]
	global_store_dword v[6:7], v70, off
	s_or_b64 exec, exec, s[6:7]
	s_and_saveexec_b64 s[6:7], s[0:1]
	s_cbranch_execz .LBB122_32
.LBB122_68:
	v_add_u32_e32 v6, v5, v2
	v_mov_b32_e32 v7, 0
	s_waitcnt lgkmcnt(0)
	v_lshl_add_u64 v[6:7], v[6:7], 2, s[12:13]
	global_store_dword v[6:7], v68, off
	s_or_b64 exec, exec, s[6:7]
	s_and_saveexec_b64 s[6:7], s[2:3]
	s_cbranch_execz .LBB122_33
.LBB122_69:
	v_add_u32_e32 v6, v5, v3
	v_mov_b32_e32 v7, 0
	s_waitcnt lgkmcnt(0)
	v_lshl_add_u64 v[6:7], v[6:7], 2, s[12:13]
	global_store_dword v[6:7], v66, off
	s_or_b64 exec, exec, s[6:7]
	s_and_saveexec_b64 s[6:7], s[4:5]
	s_cbranch_execnz .LBB122_34
	s_branch .LBB122_35
.LBB122_70:
	v_add_u32_e32 v6, v5, v0
	v_mov_b32_e32 v7, 0
	s_waitcnt lgkmcnt(0)
	v_lshl_add_u64 v[6:7], v[6:7], 2, s[12:13]
	global_store_dword v[6:7], v71, off
	s_or_b64 exec, exec, s[6:7]
	s_and_saveexec_b64 s[6:7], s[0:1]
	s_cbranch_execz .LBB122_38
.LBB122_71:
	v_add_u32_e32 v6, v5, v2
	v_mov_b32_e32 v7, 0
	s_waitcnt lgkmcnt(0)
	v_lshl_add_u64 v[6:7], v[6:7], 2, s[12:13]
	global_store_dword v[6:7], v69, off
	s_or_b64 exec, exec, s[6:7]
	s_and_saveexec_b64 s[6:7], s[2:3]
	s_cbranch_execz .LBB122_39
.LBB122_72:
	v_add_u32_e32 v6, v5, v3
	v_mov_b32_e32 v7, 0
	s_waitcnt lgkmcnt(0)
	v_lshl_add_u64 v[6:7], v[6:7], 2, s[12:13]
	global_store_dword v[6:7], v67, off
	s_or_b64 exec, exec, s[6:7]
	s_and_saveexec_b64 s[6:7], s[4:5]
	s_cbranch_execnz .LBB122_40
	s_branch .LBB122_41
.LBB122_73:
	v_add_u32_e32 v6, v5, v0
	v_mov_b32_e32 v7, 0
	s_waitcnt lgkmcnt(0)
	v_lshl_add_u64 v[6:7], v[6:7], 2, s[12:13]
	global_store_dword v[6:7], v62, off
	s_or_b64 exec, exec, s[6:7]
	s_and_saveexec_b64 s[6:7], s[0:1]
	s_cbranch_execz .LBB122_44
.LBB122_74:
	v_add_u32_e32 v6, v5, v2
	v_mov_b32_e32 v7, 0
	s_waitcnt lgkmcnt(0)
	v_lshl_add_u64 v[6:7], v[6:7], 2, s[12:13]
	global_store_dword v[6:7], v60, off
	s_or_b64 exec, exec, s[6:7]
	s_and_saveexec_b64 s[6:7], s[2:3]
	s_cbranch_execz .LBB122_45
.LBB122_75:
	v_add_u32_e32 v6, v5, v3
	v_mov_b32_e32 v7, 0
	s_waitcnt lgkmcnt(0)
	v_lshl_add_u64 v[6:7], v[6:7], 2, s[12:13]
	global_store_dword v[6:7], v58, off
	s_or_b64 exec, exec, s[6:7]
	s_and_saveexec_b64 s[6:7], s[4:5]
	s_cbranch_execnz .LBB122_46
	s_branch .LBB122_47
.LBB122_76:
	v_add_u32_e32 v6, v5, v0
	v_mov_b32_e32 v7, 0
	s_waitcnt lgkmcnt(0)
	v_lshl_add_u64 v[6:7], v[6:7], 2, s[12:13]
	global_store_dword v[6:7], v63, off
	s_or_b64 exec, exec, s[6:7]
	s_and_saveexec_b64 s[6:7], s[0:1]
	s_cbranch_execz .LBB122_50
.LBB122_77:
	v_add_u32_e32 v6, v5, v2
	v_mov_b32_e32 v7, 0
	s_waitcnt lgkmcnt(0)
	v_lshl_add_u64 v[6:7], v[6:7], 2, s[12:13]
	global_store_dword v[6:7], v61, off
	s_or_b64 exec, exec, s[6:7]
	s_and_saveexec_b64 s[6:7], s[2:3]
	s_cbranch_execz .LBB122_51
.LBB122_78:
	v_add_u32_e32 v6, v5, v3
	v_mov_b32_e32 v7, 0
	s_waitcnt lgkmcnt(0)
	v_lshl_add_u64 v[6:7], v[6:7], 2, s[12:13]
	global_store_dword v[6:7], v59, off
	s_or_b64 exec, exec, s[6:7]
	s_and_saveexec_b64 s[6:7], s[4:5]
	s_cbranch_execnz .LBB122_52
	s_branch .LBB122_53
.LBB122_79:
	v_add_u32_e32 v6, v5, v0
	v_mov_b32_e32 v7, 0
	s_waitcnt lgkmcnt(0)
	v_lshl_add_u64 v[6:7], v[6:7], 2, s[12:13]
	global_store_dword v[6:7], v54, off
	s_or_b64 exec, exec, s[6:7]
	s_and_saveexec_b64 s[6:7], s[0:1]
	s_cbranch_execz .LBB122_56
.LBB122_80:
	v_add_u32_e32 v6, v5, v2
	v_mov_b32_e32 v7, 0
	s_waitcnt lgkmcnt(0)
	v_lshl_add_u64 v[6:7], v[6:7], 2, s[12:13]
	global_store_dword v[6:7], v52, off
	s_or_b64 exec, exec, s[6:7]
	s_and_saveexec_b64 s[6:7], s[2:3]
	s_cbranch_execz .LBB122_57
.LBB122_81:
	v_add_u32_e32 v6, v5, v3
	v_mov_b32_e32 v7, 0
	s_waitcnt lgkmcnt(0)
	v_lshl_add_u64 v[6:7], v[6:7], 2, s[12:13]
	global_store_dword v[6:7], v50, off
	s_or_b64 exec, exec, s[6:7]
	s_and_saveexec_b64 s[6:7], s[4:5]
	s_cbranch_execnz .LBB122_58
	s_branch .LBB122_59
.LBB122_82:
	v_add_u32_e32 v6, v1, v0
	v_mov_b32_e32 v7, 0
	s_waitcnt lgkmcnt(0)
	v_lshl_add_u64 v[6:7], v[6:7], 2, s[12:13]
	global_store_dword v[6:7], v55, off
	s_or_b64 exec, exec, s[6:7]
	s_and_saveexec_b64 s[6:7], s[0:1]
	s_cbranch_execz .LBB122_62
.LBB122_83:
	v_add_u32_e32 v6, v1, v2
	v_mov_b32_e32 v7, 0
	s_waitcnt lgkmcnt(0)
	v_lshl_add_u64 v[6:7], v[6:7], 2, s[12:13]
	global_store_dword v[6:7], v53, off
	s_or_b64 exec, exec, s[6:7]
	s_and_saveexec_b64 s[0:1], s[2:3]
	s_cbranch_execz .LBB122_63
.LBB122_84:
	v_add_u32_e32 v2, v1, v3
	v_mov_b32_e32 v3, 0
	s_waitcnt lgkmcnt(0)
	v_lshl_add_u64 v[2:3], v[2:3], 2, s[12:13]
	global_store_dword v[2:3], v51, off
	s_or_b64 exec, exec, s[0:1]
	s_and_b64 exec, exec, s[4:5]
	s_cbranch_execz .LBB122_3
.LBB122_85:
	v_add_u32_e32 v0, v1, v4
	v_mov_b32_e32 v1, 0
	s_waitcnt lgkmcnt(0)
	v_lshl_add_u64 v[0:1], v[0:1], 2, s[12:13]
	global_store_dword v[0:1], v49, off
	s_endpgm
	.section	.rodata,"a",@progbits
	.p2align	6, 0x0
	.amdhsa_kernel _ZL12mul_mat_q5_0IfLb1EEvPKvS1_PT_iiiii
		.amdhsa_group_segment_fixed_size 46720
		.amdhsa_private_segment_fixed_size 0
		.amdhsa_kernarg_size 44
		.amdhsa_user_sgpr_count 2
		.amdhsa_user_sgpr_dispatch_ptr 0
		.amdhsa_user_sgpr_queue_ptr 0
		.amdhsa_user_sgpr_kernarg_segment_ptr 1
		.amdhsa_user_sgpr_dispatch_id 0
		.amdhsa_user_sgpr_kernarg_preload_length 0
		.amdhsa_user_sgpr_kernarg_preload_offset 0
		.amdhsa_user_sgpr_private_segment_size 0
		.amdhsa_uses_dynamic_stack 0
		.amdhsa_enable_private_segment 0
		.amdhsa_system_sgpr_workgroup_id_x 1
		.amdhsa_system_sgpr_workgroup_id_y 1
		.amdhsa_system_sgpr_workgroup_id_z 0
		.amdhsa_system_sgpr_workgroup_info 0
		.amdhsa_system_vgpr_workitem_id 1
		.amdhsa_next_free_vgpr 247
		.amdhsa_next_free_sgpr 96
		.amdhsa_accum_offset 248
		.amdhsa_reserve_vcc 1
		.amdhsa_float_round_mode_32 0
		.amdhsa_float_round_mode_16_64 0
		.amdhsa_float_denorm_mode_32 3
		.amdhsa_float_denorm_mode_16_64 3
		.amdhsa_dx10_clamp 1
		.amdhsa_ieee_mode 1
		.amdhsa_fp16_overflow 0
		.amdhsa_tg_split 0
		.amdhsa_exception_fp_ieee_invalid_op 0
		.amdhsa_exception_fp_denorm_src 0
		.amdhsa_exception_fp_ieee_div_zero 0
		.amdhsa_exception_fp_ieee_overflow 0
		.amdhsa_exception_fp_ieee_underflow 0
		.amdhsa_exception_fp_ieee_inexact 0
		.amdhsa_exception_int_div_zero 0
	.end_amdhsa_kernel
	.section	.text._ZL12mul_mat_q5_0IfLb1EEvPKvS1_PT_iiiii,"axG",@progbits,_ZL12mul_mat_q5_0IfLb1EEvPKvS1_PT_iiiii,comdat
.Lfunc_end122:
	.size	_ZL12mul_mat_q5_0IfLb1EEvPKvS1_PT_iiiii, .Lfunc_end122-_ZL12mul_mat_q5_0IfLb1EEvPKvS1_PT_iiiii
                                        ; -- End function
	.set _ZL12mul_mat_q5_0IfLb1EEvPKvS1_PT_iiiii.num_vgpr, 247
	.set _ZL12mul_mat_q5_0IfLb1EEvPKvS1_PT_iiiii.num_agpr, 0
	.set _ZL12mul_mat_q5_0IfLb1EEvPKvS1_PT_iiiii.numbered_sgpr, 20
	.set _ZL12mul_mat_q5_0IfLb1EEvPKvS1_PT_iiiii.num_named_barrier, 0
	.set _ZL12mul_mat_q5_0IfLb1EEvPKvS1_PT_iiiii.private_seg_size, 0
	.set _ZL12mul_mat_q5_0IfLb1EEvPKvS1_PT_iiiii.uses_vcc, 1
	.set _ZL12mul_mat_q5_0IfLb1EEvPKvS1_PT_iiiii.uses_flat_scratch, 0
	.set _ZL12mul_mat_q5_0IfLb1EEvPKvS1_PT_iiiii.has_dyn_sized_stack, 0
	.set _ZL12mul_mat_q5_0IfLb1EEvPKvS1_PT_iiiii.has_recursion, 0
	.set _ZL12mul_mat_q5_0IfLb1EEvPKvS1_PT_iiiii.has_indirect_call, 0
	.section	.AMDGPU.csdata,"",@progbits
; Kernel info:
; codeLenInByte = 14148
; TotalNumSgprs: 26
; NumVgprs: 247
; NumAgprs: 0
; TotalNumVgprs: 247
; ScratchSize: 0
; MemoryBound: 0
; FloatMode: 240
; IeeeMode: 1
; LDSByteSize: 46720 bytes/workgroup (compile time only)
; SGPRBlocks: 12
; VGPRBlocks: 30
; NumSGPRsForWavesPerEU: 102
; NumVGPRsForWavesPerEU: 247
; AccumOffset: 248
; Occupancy: 2
; WaveLimiterHint : 0
; COMPUTE_PGM_RSRC2:SCRATCH_EN: 0
; COMPUTE_PGM_RSRC2:USER_SGPR: 2
; COMPUTE_PGM_RSRC2:TRAP_HANDLER: 0
; COMPUTE_PGM_RSRC2:TGID_X_EN: 1
; COMPUTE_PGM_RSRC2:TGID_Y_EN: 1
; COMPUTE_PGM_RSRC2:TGID_Z_EN: 0
; COMPUTE_PGM_RSRC2:TIDIG_COMP_CNT: 1
; COMPUTE_PGM_RSRC3_GFX90A:ACCUM_OFFSET: 61
; COMPUTE_PGM_RSRC3_GFX90A:TG_SPLIT: 0
	.section	.text._ZL12mul_mat_q5_1IfLb0EEvPKvS1_PT_iiiii,"axG",@progbits,_ZL12mul_mat_q5_1IfLb0EEvPKvS1_PT_iiiii,comdat
	.globl	_ZL12mul_mat_q5_1IfLb0EEvPKvS1_PT_iiiii ; -- Begin function _ZL12mul_mat_q5_1IfLb0EEvPKvS1_PT_iiiii
	.p2align	8
	.type	_ZL12mul_mat_q5_1IfLb0EEvPKvS1_PT_iiiii,@function
_ZL12mul_mat_q5_1IfLb0EEvPKvS1_PT_iiiii: ; @_ZL12mul_mat_q5_1IfLb0EEvPKvS1_PT_iiiii
; %bb.0:
	s_load_dword s6, s[0:1], 0x18
	s_load_dwordx4 s[8:11], s[0:1], 0x20
	s_waitcnt lgkmcnt(0)
	s_lshl_b32 s11, s3, 6
	v_bfe_u32 v81, v0, 10, 10
	s_cmp_gt_i32 s6, 31
	s_cbranch_scc1 .LBB123_4
; %bb.1:
	v_bfe_u32 v1, v0, 10, 10
	v_and_b32_e32 v77, 0x3ff, v0
	v_add_u32_e32 v83, s11, v1
	s_load_dwordx2 s[12:13], s[0:1], 0x10
	s_lshl_b32 s4, s2, 7
	s_cbranch_execz .LBB123_5
; %bb.2:
	v_mov_b32_e32 v52, 0
	v_mov_b32_e32 v53, v52
	v_mov_b64_e32 v[60:61], v[52:53]
	v_mov_b64_e32 v[68:69], v[52:53]
	;; [unrolled: 1-line block ×15, first 2 shown]
	v_cmp_gt_u32_e32 vcc, s8, v83
	s_and_saveexec_b64 s[0:1], vcc
	s_cbranch_execnz .LBB123_15
.LBB123_3:
	s_endpgm
.LBB123_4:
                                        ; implicit-def: $vgpr1
                                        ; implicit-def: $vgpr77
                                        ; implicit-def: $vgpr83
	s_load_dwordx2 s[12:13], s[0:1], 0x10
	s_lshl_b32 s4, s2, 7
.LBB123_5:
	s_ashr_i32 s5, s6, 31
	s_lshr_b32 s5, s5, 27
	s_load_dwordx4 s[0:3], s[0:1], 0x0
	s_add_i32 s14, s6, s5
	s_ashr_i32 s6, s9, 31
	s_lshr_b32 s6, s6, 27
	s_ashr_i32 s5, s14, 5
	s_add_i32 s6, s9, s6
	s_ashr_i32 s15, s6, 5
	s_mul_i32 s6, s5, s4
	s_mul_hi_i32 s7, s6, 24
	s_mul_i32 s6, s6, 24
	s_waitcnt lgkmcnt(0)
	s_add_u32 s6, s0, s6
	s_addc_u32 s7, s1, s7
	v_mul_lo_u32 v80, s5, v81
	s_lshl_b32 s0, s5, 3
	v_add_u32_e32 v82, s0, v80
	v_add_u32_e32 v86, s0, v82
	;; [unrolled: 1-line block ×11, first 2 shown]
	v_and_b32_e32 v77, 0x3ff, v0
	v_add_u32_e32 v112, s0, v108
	v_lshlrev_b32_e32 v1, 3, v77
	s_movk_i32 s16, 0x104
	v_add_u32_e32 v114, s0, v112
	v_bfe_u32 v125, v0, 3, 7
	v_mad_u32_u24 v87, v81, s16, v1
	v_add_u32_e32 v116, s0, v114
	v_and_b32_e32 v120, 7, v0
	v_lshl_add_u32 v1, v81, 2, v125
	v_add_u32_e32 v118, s0, v116
	v_and_b32_e32 v3, 0x7fc, v1
	v_lshlrev_b32_e32 v4, 2, v120
	s_mov_b32 s0, 0xa200
	v_add3_u32 v8, v3, v4, s0
	v_add_u32_e32 v3, 32, v1
	v_mul_lo_u32 v122, s5, v1
	v_lshlrev_b32_e32 v9, 5, v1
	v_and_b32_e32 v5, 0xffc, v3
	v_lshlrev_b32_e32 v11, 5, v3
	v_add_u32_e32 v3, 64, v1
	v_add_u32_e32 v1, 0x60, v1
	v_add3_u32 v10, v5, v4, s0
	v_and_b32_e32 v5, 0xffc, v3
	v_lshlrev_b32_e32 v13, 5, v3
	v_and_b32_e32 v3, 0xffc, v1
	v_bfe_u32 v76, v0, 2, 8
	v_add3_u32 v14, v3, v4, s0
	v_and_b32_e32 v3, 31, v0
	v_mov_b32_e32 v15, 0x8200
	v_lshl_or_b32 v15, v3, 2, v15
	v_lshl_add_u32 v3, v81, 3, v76
	v_and_b32_e32 v3, 63, v3
	v_and_b32_e32 v2, 3, v0
	v_add3_u32 v12, v5, v4, s0
	s_add_i32 s0, s8, -1
	v_or_b32_e32 v16, s11, v3
	v_lshlrev_b32_e32 v78, 2, v2
	v_min_i32_e32 v16, s0, v16
	v_add_u32_e32 v83, s11, v81
	v_cvt_f64_i32_e32 v[4:5], s0
	v_mad_u64_u32 v[130:131], s[0:1], v16, s15, v[2:3]
	v_lshl_or_b32 v2, v3, 4, v78
	v_add_u32_e32 v127, 0xb280, v2
	v_cvt_f64_u32_e32 v[2:3], v83
	v_min_f64 v[2:3], v[2:3], v[4:5]
	v_cvt_i32_f64_e32 v2, v[2:3]
	v_mul_lo_u32 v129, s15, v2
	v_add_u32_e32 v2, 8, v83
	v_cvt_f64_u32_e32 v[2:3], v2
	v_min_f64 v[2:3], v[2:3], v[4:5]
	v_cvt_i32_f64_e32 v2, v[2:3]
	v_mul_lo_u32 v131, s15, v2
	;; [unrolled: 5-line block ×7, first 2 shown]
	v_add_u32_e32 v2, 56, v83
	v_mov_b32_e32 v79, 0
	v_lshlrev_b32_e32 v6, 2, v77
	v_cvt_f64_u32_e32 v[2:3], v2
	v_and_b32_e32 v6, 28, v6
	v_mov_b32_e32 v7, v79
	v_min_f64 v[2:3], v[2:3], v[4:5]
	s_andn2_b32 s14, s14, 31
	v_cvt_i32_f64_e32 v2, v[2:3]
	v_add_u32_e32 v3, 32, v77
	v_add_u32_e32 v4, 64, v77
	;; [unrolled: 1-line block ×3, first 2 shown]
	v_lshl_add_u64 v[132:133], s[2:3], 0, v[6:7]
	v_lshlrev_b32_e32 v6, 5, v77
	v_and_b32_e32 v0, 0xfc, v0
	v_add_u32_e32 v124, s14, v122
	v_lshlrev_b32_e32 v16, 7, v81
	v_lshrrev_b32_e32 v179, 3, v3
	v_and_b32_e32 v5, 0x1fc, v5
	v_and_b32_e32 v4, 0x1fc, v4
	;; [unrolled: 1-line block ×3, first 2 shown]
	v_add_u32_e32 v0, v6, v0
	v_add_u32_e32 v126, s14, v124
	v_lshlrev_b32_e32 v1, 5, v1
	v_add_u32_e32 v17, 0x400, v16
	v_add_u32_e32 v18, 0x800, v16
	;; [unrolled: 1-line block ×6, first 2 shown]
	v_mul_lo_u32 v177, s15, v2
	v_add_u32_e32 v2, 0x1c00, v16
	v_add_u32_e32 v5, v6, v5
	;; [unrolled: 1-line block ×5, first 2 shown]
	v_mov_b32_e32 v6, 0xb280
	v_add_u32_e32 v189, 0xa210, v0
	v_mov_b32_e32 v0, 0x80
	v_mov_b32_e32 v106, v79
	;; [unrolled: 1-line block ×3, first 2 shown]
	v_add_u32_e32 v89, 0x820, v87
	v_add_u32_e32 v91, 0x1040, v87
	;; [unrolled: 1-line block ×16, first 2 shown]
	s_add_i32 s9, s5, 3
	v_mul_u32_u24_e32 v178, 0x104, v77
	v_add_u32_e32 v180, 0xae00, v5
	v_add_u32_e32 v181, 0xaa00, v4
	;; [unrolled: 1-line block ×3, first 2 shown]
	v_lshl_add_u32 v184, v81, 4, v6
	v_add_u32_e32 v185, 0x8200, v16
	v_add_u32_e32 v186, 0xae10, v5
	;; [unrolled: 1-line block ×4, first 2 shown]
	v_mad_u32_u24 v190, v77, s16, v0
	s_mov_b32 s14, 0
	v_add_u32_e32 v191, v8, v9
	v_add_u32_e32 v192, v10, v11
	;; [unrolled: 1-line block ×12, first 2 shown]
	v_mov_b64_e32 v[74:75], v[106:107]
	v_mov_b64_e32 v[66:67], v[106:107]
	;; [unrolled: 1-line block ×15, first 2 shown]
	s_branch .LBB123_7
.LBB123_6:                              ;   in Loop: Header=BB123_7 Depth=1
	s_add_i32 s14, s14, 8
	s_add_i32 s9, s9, -8
	s_cmp_ge_i32 s14, s5
	s_cbranch_scc1 .LBB123_14
.LBB123_7:                              ; =>This Loop Header: Depth=1
                                        ;     Child Loop BB123_9 Depth 2
                                        ;     Child Loop BB123_12 Depth 2
	s_mul_i32 s0, s14, 24
	s_mul_hi_u32 s1, s14, 24
	s_add_u32 s0, s6, s0
	s_addc_u32 s1, s7, s1
	v_mad_u64_u32 v[0:1], s[16:17], v76, 24, s[0:1]
	v_mad_u64_u32 v[2:3], s[16:17], v80, 24, v[0:1]
	;; [unrolled: 1-line block ×3, first 2 shown]
	v_lshl_add_u64 v[4:5], v[2:3], 0, v[78:79]
	v_mad_u64_u32 v[6:7], s[16:17], v82, 24, v[0:1]
	v_mad_u64_u32 v[8:9], s[16:17], v86, 24, v[0:1]
	global_load_dword v18, v[10:11], off offset:4
	global_load_dword v19, v[8:9], off offset:4
	global_load_dword v20, v[6:7], off offset:4
	global_load_dword v21, v[2:3], off offset:4
	global_load_dword v22, v[4:5], off offset:8
	v_lshl_add_u64 v[2:3], v[6:7], 0, v[78:79]
	global_load_dword v23, v[2:3], off offset:8
	v_lshl_add_u64 v[2:3], v[8:9], 0, v[78:79]
	v_lshl_add_u64 v[4:5], v[10:11], 0, v[78:79]
	global_load_dword v24, v[2:3], off offset:8
	global_load_dword v25, v[4:5], off offset:8
	v_mad_u64_u32 v[2:3], s[16:17], v90, 24, v[0:1]
	v_mad_u64_u32 v[4:5], s[16:17], v92, 24, v[0:1]
	;; [unrolled: 1-line block ×4, first 2 shown]
	v_lshl_add_u64 v[10:11], v[2:3], 0, v[78:79]
	v_lshl_add_u64 v[12:13], v[4:5], 0, v[78:79]
	;; [unrolled: 1-line block ×4, first 2 shown]
	global_load_dword v10, v[10:11], off offset:8
	s_nop 0
	global_load_dword v11, v[12:13], off offset:8
	global_load_dword v26, v[14:15], off offset:8
	;; [unrolled: 1-line block ×5, first 2 shown]
	s_nop 0
	global_load_dword v4, v[4:5], off offset:4
	s_nop 0
	global_load_dword v2, v[2:3], off offset:4
	s_cmp_gt_u32 s9, 3
	s_waitcnt vmcnt(13)
	v_ashrrev_i32_e32 v7, v78, v20
	s_waitcnt vmcnt(12)
	v_ashrrev_i32_e32 v3, v78, v21
	s_waitcnt vmcnt(11)
	v_lshrrev_b32_e32 v5, 4, v22
	v_lshlrev_b32_e32 v12, 4, v3
	v_lshrrev_b32_e32 v14, 12, v3
	v_and_b32_e32 v6, 0xf0f0f0f, v22
	v_lshlrev_b32_e32 v13, 11, v3
	v_lshrrev_b32_e32 v15, 5, v3
	v_and_b32_e32 v5, 0xf0f0f0f, v5
	v_and_b32_e32 v14, 16, v14
	;; [unrolled: 1-line block ×3, first 2 shown]
	v_lshlrev_b32_e32 v16, 2, v3
	v_lshlrev_b32_e32 v17, 18, v3
	v_and_b32_e32 v15, 0x1000, v15
	v_and_b32_e32 v13, 0x1000, v13
	v_or_b32_e32 v5, v14, v5
	v_or_b32_e32 v6, v12, v6
	s_waitcnt vmcnt(10)
	v_lshrrev_b32_e32 v8, 4, v23
	v_and_b32_e32 v9, 0xf0f0f0f, v23
	v_lshlrev_b32_e32 v20, 9, v3
	v_lshlrev_b32_e32 v3, 25, v3
	;; [unrolled: 1-line block ×3, first 2 shown]
	v_lshrrev_b32_e32 v23, 12, v7
	v_and_b32_e32 v16, 0x100000, v16
	v_and_b32_e32 v17, 0x100000, v17
	v_or_b32_e32 v5, v5, v15
	v_or_b32_e32 v6, v6, v13
	v_lshlrev_b32_e32 v22, 11, v7
	v_lshrrev_b32_e32 v30, 5, v7
	v_and_b32_e32 v8, 0xf0f0f0f, v8
	v_and_b32_e32 v20, 0x10000000, v20
	v_and_b32_e32 v3, 0x10000000, v3
	v_and_b32_e32 v23, 16, v23
	v_and_b32_e32 v21, 16, v21
	v_or_b32_e32 v5, v5, v16
	v_or_b32_e32 v6, v6, v17
	v_lshlrev_b32_e32 v31, 2, v7
	v_lshlrev_b32_e32 v32, 18, v7
	v_and_b32_e32 v30, 0x1000, v30
	v_and_b32_e32 v22, 0x1000, v22
	v_or_b32_e32 v8, v23, v8
	v_or_b32_e32 v9, v21, v9
	;; [unrolled: 1-line block ×4, first 2 shown]
	v_and_b32_e32 v31, 0x100000, v31
	v_or_b32_e32 v8, v8, v30
	v_or_b32_e32 v9, v9, v22
	ds_write2_b32 v87, v3, v5 offset1:1
	v_and_b32_e32 v3, 0x100000, v32
	v_lshlrev_b32_e32 v6, 9, v7
	v_lshlrev_b32_e32 v7, 25, v7
	v_or_b32_e32 v5, v8, v31
	v_or_b32_e32 v3, v9, v3
	v_and_b32_e32 v6, 0x10000000, v6
	v_and_b32_e32 v7, 0x10000000, v7
	v_or_b32_e32 v5, v5, v6
	v_or_b32_e32 v3, v3, v7
	ds_write2_b32 v89, v3, v5 offset1:1
	v_ashrrev_i32_e32 v3, v78, v19
	v_lshlrev_b32_e32 v5, 4, v3
	v_lshlrev_b32_e32 v6, 11, v3
	s_waitcnt vmcnt(9)
	v_lshrrev_b32_e32 v7, 4, v24
	v_lshrrev_b32_e32 v8, 12, v3
	v_and_b32_e32 v12, 0xf0f0f0f, v24
	v_and_b32_e32 v5, 16, v5
	v_lshrrev_b32_e32 v9, 5, v3
	v_and_b32_e32 v7, 0xf0f0f0f, v7
	v_and_b32_e32 v8, 16, v8
	v_or_b32_e32 v5, v5, v12
	v_and_b32_e32 v6, 0x1000, v6
	v_or_b32_e32 v7, v8, v7
	;; [unrolled: 2-line block ×3, first 2 shown]
	v_lshlrev_b32_e32 v6, 2, v3
	v_or_b32_e32 v7, v7, v8
	v_lshlrev_b32_e32 v8, 18, v3
	v_and_b32_e32 v6, 0x100000, v6
	v_and_b32_e32 v8, 0x100000, v8
	v_or_b32_e32 v6, v7, v6
	v_lshlrev_b32_e32 v7, 9, v3
	v_lshlrev_b32_e32 v3, 25, v3
	v_or_b32_e32 v5, v5, v8
	v_and_b32_e32 v7, 0x10000000, v7
	v_and_b32_e32 v3, 0x10000000, v3
	v_or_b32_e32 v6, v6, v7
	v_or_b32_e32 v3, v5, v3
	ds_write2_b32 v91, v3, v6 offset1:1
	v_ashrrev_i32_e32 v3, v78, v18
	v_lshlrev_b32_e32 v5, 4, v3
	v_lshlrev_b32_e32 v6, 11, v3
	s_waitcnt vmcnt(8)
	v_lshrrev_b32_e32 v7, 4, v25
	v_lshrrev_b32_e32 v8, 12, v3
	v_and_b32_e32 v12, 0xf0f0f0f, v25
	v_and_b32_e32 v5, 16, v5
	v_lshrrev_b32_e32 v9, 5, v3
	v_and_b32_e32 v7, 0xf0f0f0f, v7
	v_and_b32_e32 v8, 16, v8
	v_or_b32_e32 v5, v5, v12
	v_and_b32_e32 v6, 0x1000, v6
	v_or_b32_e32 v7, v8, v7
	;; [unrolled: 2-line block ×3, first 2 shown]
	v_lshlrev_b32_e32 v6, 2, v3
	v_or_b32_e32 v7, v7, v8
	v_lshlrev_b32_e32 v8, 18, v3
	v_and_b32_e32 v6, 0x100000, v6
	v_and_b32_e32 v8, 0x100000, v8
	v_or_b32_e32 v6, v7, v6
	v_lshlrev_b32_e32 v7, 9, v3
	v_lshlrev_b32_e32 v3, 25, v3
	v_or_b32_e32 v5, v5, v8
	v_and_b32_e32 v7, 0x10000000, v7
	v_and_b32_e32 v3, 0x10000000, v3
	v_or_b32_e32 v6, v6, v7
	v_or_b32_e32 v3, v5, v3
	s_waitcnt vmcnt(0)
	v_ashrrev_i32_e32 v2, v78, v2
	ds_write2_b32 v93, v3, v6 offset1:1
	v_lshlrev_b32_e32 v3, 4, v2
	v_lshlrev_b32_e32 v5, 11, v2
	v_lshrrev_b32_e32 v6, 4, v10
	v_lshrrev_b32_e32 v7, 12, v2
	v_and_b32_e32 v9, 0xf0f0f0f, v10
	v_and_b32_e32 v3, 16, v3
	v_lshrrev_b32_e32 v8, 5, v2
	v_and_b32_e32 v6, 0xf0f0f0f, v6
	v_and_b32_e32 v7, 16, v7
	v_or_b32_e32 v3, v3, v9
	v_and_b32_e32 v5, 0x1000, v5
	v_or_b32_e32 v6, v7, v6
	;; [unrolled: 2-line block ×3, first 2 shown]
	v_lshlrev_b32_e32 v5, 2, v2
	v_or_b32_e32 v6, v6, v7
	v_lshlrev_b32_e32 v7, 18, v2
	v_and_b32_e32 v5, 0x100000, v5
	v_and_b32_e32 v7, 0x100000, v7
	v_or_b32_e32 v5, v6, v5
	v_lshlrev_b32_e32 v6, 9, v2
	v_lshlrev_b32_e32 v2, 25, v2
	v_or_b32_e32 v3, v3, v7
	v_and_b32_e32 v6, 0x10000000, v6
	v_and_b32_e32 v2, 0x10000000, v2
	v_or_b32_e32 v5, v5, v6
	v_or_b32_e32 v2, v3, v2
	ds_write2_b32 v95, v2, v5 offset1:1
	v_lshrrev_b32_e32 v2, 4, v11
	v_and_b32_e32 v23, 0xf0f0f0f, v2
	v_mad_u64_u32 v[2:3], s[16:17], v100, 24, v[0:1]
	v_mad_u64_u32 v[14:15], s[16:17], v108, 24, v[0:1]
	v_ashrrev_i32_e32 v18, v78, v4
	v_and_b32_e32 v24, 0xf0f0f0f, v11
	v_lshl_add_u64 v[4:5], v[2:3], 0, v[78:79]
	v_mad_u64_u32 v[6:7], s[16:17], v102, 24, v[0:1]
	v_mad_u64_u32 v[10:11], s[16:17], v104, 24, v[0:1]
	v_lshl_add_u64 v[16:17], v[14:15], 0, v[78:79]
	v_lshl_add_u64 v[8:9], v[6:7], 0, v[78:79]
	;; [unrolled: 1-line block ×3, first 2 shown]
	global_load_dword v4, v[4:5], off offset:8
	s_nop 0
	global_load_dword v5, v[8:9], off offset:8
	global_load_dword v25, v[12:13], off offset:8
	s_nop 0
	global_load_dword v16, v[16:17], off offset:8
	s_nop 0
	global_load_dword v17, v[14:15], off offset:4
	global_load_dword v30, v[10:11], off offset:4
	s_nop 0
	global_load_dword v6, v[6:7], off offset:4
	s_nop 0
	global_load_dword v2, v[2:3], off offset:4
	v_lshlrev_b32_e32 v19, 4, v18
	v_lshrrev_b32_e32 v21, 12, v18
	v_lshlrev_b32_e32 v20, 11, v18
	v_lshrrev_b32_e32 v22, 5, v18
	v_and_b32_e32 v3, 16, v21
	v_and_b32_e32 v7, 16, v19
	v_or_b32_e32 v3, v3, v23
	v_or_b32_e32 v7, v7, v24
	v_and_b32_e32 v8, 0x1000, v22
	v_and_b32_e32 v9, 0x1000, v20
	v_or_b32_e32 v3, v3, v8
	v_or_b32_e32 v7, v7, v9
	v_lshlrev_b32_e32 v8, 2, v18
	v_lshlrev_b32_e32 v9, 18, v18
	v_and_b32_e32 v8, 0x100000, v8
	v_and_b32_e32 v9, 0x100000, v9
	v_or_b32_e32 v3, v3, v8
	v_or_b32_e32 v7, v7, v9
	v_lshlrev_b32_e32 v8, 9, v18
	v_lshlrev_b32_e32 v9, 25, v18
	v_and_b32_e32 v8, 0x10000000, v8
	v_and_b32_e32 v9, 0x10000000, v9
	v_or_b32_e32 v3, v3, v8
	v_or_b32_e32 v7, v7, v9
	ds_write2_b32 v99, v7, v3 offset1:1
	v_ashrrev_i32_e32 v3, v78, v29
	v_lshlrev_b32_e32 v7, 4, v3
	v_lshlrev_b32_e32 v8, 11, v3
	v_lshrrev_b32_e32 v9, 4, v26
	v_lshrrev_b32_e32 v10, 12, v3
	v_and_b32_e32 v12, 0xf0f0f0f, v26
	v_and_b32_e32 v7, 16, v7
	v_lshrrev_b32_e32 v11, 5, v3
	v_and_b32_e32 v9, 0xf0f0f0f, v9
	v_and_b32_e32 v10, 16, v10
	v_or_b32_e32 v7, v7, v12
	v_and_b32_e32 v8, 0x1000, v8
	v_or_b32_e32 v9, v10, v9
	;; [unrolled: 2-line block ×3, first 2 shown]
	v_lshlrev_b32_e32 v8, 2, v3
	v_or_b32_e32 v9, v9, v10
	v_lshlrev_b32_e32 v10, 18, v3
	v_and_b32_e32 v8, 0x100000, v8
	v_and_b32_e32 v10, 0x100000, v10
	v_or_b32_e32 v8, v9, v8
	v_lshlrev_b32_e32 v9, 9, v3
	v_lshlrev_b32_e32 v3, 25, v3
	v_or_b32_e32 v7, v7, v10
	v_and_b32_e32 v9, 0x10000000, v9
	v_and_b32_e32 v3, 0x10000000, v3
	v_or_b32_e32 v8, v8, v9
	v_or_b32_e32 v3, v7, v3
	ds_write2_b32 v101, v3, v8 offset1:1
	v_ashrrev_i32_e32 v3, v78, v28
	v_lshlrev_b32_e32 v7, 4, v3
	v_lshlrev_b32_e32 v8, 11, v3
	v_lshrrev_b32_e32 v9, 4, v27
	v_lshrrev_b32_e32 v10, 12, v3
	v_and_b32_e32 v12, 0xf0f0f0f, v27
	v_and_b32_e32 v7, 16, v7
	v_lshrrev_b32_e32 v11, 5, v3
	v_and_b32_e32 v9, 0xf0f0f0f, v9
	v_and_b32_e32 v10, 16, v10
	v_or_b32_e32 v7, v7, v12
	v_and_b32_e32 v8, 0x1000, v8
	v_or_b32_e32 v9, v10, v9
	;; [unrolled: 2-line block ×3, first 2 shown]
	v_lshlrev_b32_e32 v8, 2, v3
	v_or_b32_e32 v9, v9, v10
	v_lshlrev_b32_e32 v10, 18, v3
	v_and_b32_e32 v8, 0x100000, v8
	v_and_b32_e32 v10, 0x100000, v10
	v_or_b32_e32 v8, v9, v8
	v_lshlrev_b32_e32 v9, 9, v3
	v_lshlrev_b32_e32 v3, 25, v3
	v_or_b32_e32 v7, v7, v10
	v_and_b32_e32 v9, 0x10000000, v9
	v_and_b32_e32 v3, 0x10000000, v3
	v_or_b32_e32 v8, v8, v9
	v_or_b32_e32 v3, v7, v3
	s_waitcnt vmcnt(0)
	v_ashrrev_i32_e32 v2, v78, v2
	ds_write2_b32 v103, v3, v8 offset1:1
	v_lshlrev_b32_e32 v3, 4, v2
	v_lshlrev_b32_e32 v7, 11, v2
	v_lshrrev_b32_e32 v8, 4, v4
	v_lshrrev_b32_e32 v9, 12, v2
	v_and_b32_e32 v4, 0xf0f0f0f, v4
	v_and_b32_e32 v3, 16, v3
	v_lshrrev_b32_e32 v10, 5, v2
	v_and_b32_e32 v8, 0xf0f0f0f, v8
	v_and_b32_e32 v9, 16, v9
	v_or_b32_e32 v3, v3, v4
	v_and_b32_e32 v7, 0x1000, v7
	v_or_b32_e32 v8, v9, v8
	;; [unrolled: 2-line block ×3, first 2 shown]
	v_lshlrev_b32_e32 v7, 2, v2
	v_or_b32_e32 v4, v8, v4
	v_lshlrev_b32_e32 v8, 18, v2
	v_and_b32_e32 v7, 0x100000, v7
	v_and_b32_e32 v8, 0x100000, v8
	v_or_b32_e32 v4, v4, v7
	v_lshlrev_b32_e32 v7, 9, v2
	v_lshlrev_b32_e32 v2, 25, v2
	v_or_b32_e32 v3, v3, v8
	v_and_b32_e32 v7, 0x10000000, v7
	v_and_b32_e32 v2, 0x10000000, v2
	v_or_b32_e32 v4, v4, v7
	v_or_b32_e32 v2, v3, v2
	ds_write2_b32 v105, v2, v4 offset1:1
	v_lshrrev_b32_e32 v2, 4, v5
	v_ashrrev_i32_e32 v18, v78, v6
	v_and_b32_e32 v23, 0xf0f0f0f, v2
	v_mad_u64_u32 v[2:3], s[16:17], v112, 24, v[0:1]
	v_mad_u64_u32 v[6:7], s[16:17], v114, 24, v[0:1]
	;; [unrolled: 1-line block ×3, first 2 shown]
	v_and_b32_e32 v24, 0xf0f0f0f, v5
	v_lshl_add_u64 v[4:5], v[2:3], 0, v[78:79]
	v_lshl_add_u64 v[8:9], v[6:7], 0, v[78:79]
	;; [unrolled: 1-line block ×3, first 2 shown]
	v_mad_u64_u32 v[0:1], s[16:17], v118, 24, v[0:1]
	v_lshl_add_u64 v[14:15], v[0:1], 0, v[78:79]
	global_load_dword v4, v[4:5], off offset:8
	s_nop 0
	global_load_dword v5, v[8:9], off offset:8
	s_nop 0
	global_load_dword v8, v[12:13], off offset:8
	global_load_dword v9, v[14:15], off offset:8
	s_nop 0
	global_load_dword v12, v[0:1], off offset:4
	s_nop 0
	;; [unrolled: 2-line block ×3, first 2 shown]
	global_load_dword v0, v[6:7], off offset:4
	global_load_dword v1, v[2:3], off offset:4
	v_lshlrev_b32_e32 v19, 4, v18
	v_lshrrev_b32_e32 v21, 12, v18
	v_lshlrev_b32_e32 v20, 11, v18
	v_lshrrev_b32_e32 v22, 5, v18
	v_and_b32_e32 v2, 16, v21
	v_and_b32_e32 v3, 16, v19
	v_or_b32_e32 v2, v2, v23
	v_or_b32_e32 v3, v3, v24
	v_and_b32_e32 v6, 0x1000, v22
	v_and_b32_e32 v7, 0x1000, v20
	v_or_b32_e32 v2, v2, v6
	v_or_b32_e32 v3, v3, v7
	v_lshlrev_b32_e32 v6, 2, v18
	v_lshlrev_b32_e32 v7, 18, v18
	v_and_b32_e32 v6, 0x100000, v6
	v_and_b32_e32 v7, 0x100000, v7
	v_or_b32_e32 v2, v2, v6
	v_or_b32_e32 v3, v3, v7
	v_lshlrev_b32_e32 v6, 9, v18
	v_lshlrev_b32_e32 v7, 25, v18
	v_and_b32_e32 v6, 0x10000000, v6
	v_and_b32_e32 v7, 0x10000000, v7
	v_or_b32_e32 v2, v2, v6
	v_or_b32_e32 v3, v3, v7
	ds_write2_b32 v109, v3, v2 offset1:1
	v_ashrrev_i32_e32 v2, v78, v30
	v_lshlrev_b32_e32 v3, 4, v2
	v_lshlrev_b32_e32 v6, 11, v2
	v_lshrrev_b32_e32 v7, 4, v25
	v_lshrrev_b32_e32 v11, 12, v2
	v_and_b32_e32 v14, 0xf0f0f0f, v25
	v_and_b32_e32 v3, 16, v3
	v_lshrrev_b32_e32 v13, 5, v2
	v_and_b32_e32 v7, 0xf0f0f0f, v7
	v_and_b32_e32 v11, 16, v11
	v_or_b32_e32 v3, v3, v14
	v_and_b32_e32 v6, 0x1000, v6
	v_or_b32_e32 v7, v11, v7
	;; [unrolled: 2-line block ×3, first 2 shown]
	v_lshlrev_b32_e32 v6, 2, v2
	v_or_b32_e32 v7, v7, v11
	v_lshlrev_b32_e32 v11, 18, v2
	v_and_b32_e32 v6, 0x100000, v6
	v_and_b32_e32 v11, 0x100000, v11
	v_or_b32_e32 v6, v7, v6
	v_lshlrev_b32_e32 v7, 9, v2
	v_lshlrev_b32_e32 v2, 25, v2
	v_or_b32_e32 v3, v3, v11
	v_and_b32_e32 v7, 0x10000000, v7
	v_and_b32_e32 v2, 0x10000000, v2
	v_or_b32_e32 v6, v6, v7
	v_or_b32_e32 v2, v3, v2
	ds_write2_b32 v113, v2, v6 offset1:1
	v_ashrrev_i32_e32 v2, v78, v17
	v_lshlrev_b32_e32 v3, 4, v2
	v_lshlrev_b32_e32 v6, 11, v2
	v_lshrrev_b32_e32 v7, 4, v16
	v_lshrrev_b32_e32 v11, 12, v2
	v_and_b32_e32 v14, 0xf0f0f0f, v16
	v_and_b32_e32 v3, 16, v3
	v_lshrrev_b32_e32 v13, 5, v2
	v_and_b32_e32 v7, 0xf0f0f0f, v7
	v_and_b32_e32 v11, 16, v11
	v_or_b32_e32 v3, v3, v14
	v_and_b32_e32 v6, 0x1000, v6
	v_or_b32_e32 v7, v11, v7
	;; [unrolled: 2-line block ×3, first 2 shown]
	v_lshlrev_b32_e32 v6, 2, v2
	v_or_b32_e32 v7, v7, v11
	v_lshlrev_b32_e32 v11, 18, v2
	v_and_b32_e32 v6, 0x100000, v6
	v_and_b32_e32 v11, 0x100000, v11
	v_or_b32_e32 v6, v7, v6
	v_lshlrev_b32_e32 v7, 9, v2
	v_lshlrev_b32_e32 v2, 25, v2
	v_or_b32_e32 v3, v3, v11
	v_and_b32_e32 v7, 0x10000000, v7
	v_and_b32_e32 v2, 0x10000000, v2
	v_or_b32_e32 v6, v6, v7
	v_or_b32_e32 v2, v3, v2
	s_waitcnt vmcnt(0)
	v_ashrrev_i32_e32 v1, v78, v1
	ds_write2_b32 v115, v2, v6 offset1:1
	v_lshlrev_b32_e32 v2, 4, v1
	v_lshlrev_b32_e32 v3, 11, v1
	v_lshrrev_b32_e32 v6, 4, v4
	v_lshrrev_b32_e32 v7, 12, v1
	v_and_b32_e32 v4, 0xf0f0f0f, v4
	v_and_b32_e32 v2, 16, v2
	v_lshrrev_b32_e32 v11, 5, v1
	v_and_b32_e32 v6, 0xf0f0f0f, v6
	v_and_b32_e32 v7, 16, v7
	v_or_b32_e32 v2, v2, v4
	v_and_b32_e32 v3, 0x1000, v3
	v_or_b32_e32 v6, v7, v6
	v_and_b32_e32 v4, 0x1000, v11
	v_or_b32_e32 v2, v2, v3
	v_lshlrev_b32_e32 v3, 2, v1
	v_or_b32_e32 v4, v6, v4
	v_lshlrev_b32_e32 v6, 18, v1
	v_and_b32_e32 v3, 0x100000, v3
	v_and_b32_e32 v6, 0x100000, v6
	v_or_b32_e32 v3, v4, v3
	v_lshlrev_b32_e32 v4, 9, v1
	v_lshlrev_b32_e32 v1, 25, v1
	v_or_b32_e32 v2, v2, v6
	v_and_b32_e32 v4, 0x10000000, v4
	v_and_b32_e32 v1, 0x10000000, v1
	v_or_b32_e32 v3, v3, v4
	v_or_b32_e32 v1, v2, v1
	v_ashrrev_i32_e32 v11, v78, v0
	ds_write2_b32 v117, v1, v3 offset1:1
	v_lshlrev_b32_e32 v0, 4, v11
	v_lshrrev_b32_e32 v1, 4, v5
	v_lshrrev_b32_e32 v2, 12, v11
	v_and_b32_e32 v1, 0xf0f0f0f, v1
	v_and_b32_e32 v3, 0xf0f0f0f, v5
	;; [unrolled: 1-line block ×4, first 2 shown]
	v_or_b32_e32 v15, v2, v1
	v_or_b32_e32 v16, v0, v3
	v_mad_u64_u32 v[0:1], s[0:1], v120, 24, s[0:1]
	v_mad_u64_u32 v[2:3], s[0:1], v122, 24, v[0:1]
	;; [unrolled: 1-line block ×5, first 2 shown]
	global_load_dword v2, v[2:3], off
	s_nop 0
	global_load_dword v3, v[4:5], off
	s_nop 0
	global_load_dword v4, v[6:7], off
	v_lshlrev_b32_e32 v13, 11, v11
	global_load_dword v0, v[0:1], off
	v_lshrrev_b32_e32 v14, 5, v11
	v_and_b32_e32 v1, 0x1000, v14
	v_and_b32_e32 v5, 0x1000, v13
	v_lshlrev_b32_e32 v6, 2, v11
	v_lshlrev_b32_e32 v7, 18, v11
	v_or_b32_e32 v1, v15, v1
	v_or_b32_e32 v5, v16, v5
	v_and_b32_e32 v6, 0x100000, v6
	v_and_b32_e32 v7, 0x100000, v7
	v_or_b32_e32 v1, v1, v6
	v_or_b32_e32 v5, v5, v7
	v_lshlrev_b32_e32 v6, 9, v11
	v_lshlrev_b32_e32 v7, 25, v11
	v_and_b32_e32 v6, 0x10000000, v6
	v_and_b32_e32 v7, 0x10000000, v7
	v_or_b32_e32 v1, v1, v6
	v_or_b32_e32 v5, v5, v7
	ds_write2_b32 v119, v5, v1 offset1:1
	v_ashrrev_i32_e32 v1, v78, v10
	v_lshlrev_b32_e32 v5, 4, v1
	v_lshlrev_b32_e32 v6, 11, v1
	v_lshrrev_b32_e32 v7, 4, v8
	v_lshrrev_b32_e32 v10, 12, v1
	v_and_b32_e32 v8, 0xf0f0f0f, v8
	v_and_b32_e32 v5, 16, v5
	v_lshrrev_b32_e32 v11, 5, v1
	v_and_b32_e32 v7, 0xf0f0f0f, v7
	v_and_b32_e32 v10, 16, v10
	v_or_b32_e32 v5, v5, v8
	v_and_b32_e32 v6, 0x1000, v6
	v_or_b32_e32 v7, v10, v7
	;; [unrolled: 2-line block ×3, first 2 shown]
	v_lshlrev_b32_e32 v6, 2, v1
	v_or_b32_e32 v7, v7, v8
	v_lshlrev_b32_e32 v8, 18, v1
	v_and_b32_e32 v6, 0x100000, v6
	v_and_b32_e32 v8, 0x100000, v8
	v_or_b32_e32 v6, v7, v6
	v_lshlrev_b32_e32 v7, 9, v1
	v_lshlrev_b32_e32 v1, 25, v1
	v_or_b32_e32 v5, v5, v8
	v_and_b32_e32 v7, 0x10000000, v7
	v_and_b32_e32 v1, 0x10000000, v1
	v_or_b32_e32 v6, v6, v7
	v_or_b32_e32 v1, v5, v1
	ds_write2_b32 v121, v1, v6 offset1:1
	v_ashrrev_i32_e32 v1, v78, v12
	v_lshlrev_b32_e32 v5, 4, v1
	v_lshlrev_b32_e32 v6, 11, v1
	v_lshrrev_b32_e32 v7, 4, v9
	v_lshrrev_b32_e32 v8, 12, v1
	v_and_b32_e32 v9, 0xf0f0f0f, v9
	v_and_b32_e32 v5, 16, v5
	v_lshrrev_b32_e32 v10, 5, v1
	v_and_b32_e32 v7, 0xf0f0f0f, v7
	v_and_b32_e32 v8, 16, v8
	v_or_b32_e32 v5, v5, v9
	v_and_b32_e32 v6, 0x1000, v6
	v_or_b32_e32 v7, v8, v7
	;; [unrolled: 2-line block ×3, first 2 shown]
	v_lshlrev_b32_e32 v6, 2, v1
	v_or_b32_e32 v7, v7, v8
	v_lshlrev_b32_e32 v8, 18, v1
	v_and_b32_e32 v6, 0x100000, v6
	v_and_b32_e32 v8, 0x100000, v8
	v_or_b32_e32 v6, v7, v6
	v_lshlrev_b32_e32 v7, 9, v1
	v_lshlrev_b32_e32 v1, 25, v1
	v_or_b32_e32 v5, v5, v8
	v_and_b32_e32 v7, 0x10000000, v7
	v_and_b32_e32 v1, 0x10000000, v1
	v_or_b32_e32 v6, v6, v7
	v_or_b32_e32 v1, v5, v1
	ds_write2_b32 v123, v1, v6 offset1:1
	s_waitcnt vmcnt(3)
	ds_write_b32 v191, v2
	s_waitcnt vmcnt(2)
	ds_write_b32 v192, v3
	;; [unrolled: 2-line block ×4, first 2 shown]
	s_cbranch_scc0 .LBB123_6
; %bb.8:                                ;   in Loop: Header=BB123_7 Depth=1
	v_add_u32_e32 v14, s14, v125
	v_add_u32_e32 v203, s14, v130
	;; [unrolled: 1-line block ×6, first 2 shown]
	v_mad_i64_i32 v[0:1], s[0:1], v0, 36, v[132:133]
	v_mad_i64_i32 v[2:3], s[0:1], v2, 36, v[132:133]
	;; [unrolled: 1-line block ×4, first 2 shown]
	v_add_u32_e32 v8, v14, v174
	v_add_u32_e32 v10, v14, v175
	;; [unrolled: 1-line block ×4, first 2 shown]
	v_mad_u64_u32 v[16:17], s[0:1], v203, 36, s[2:3]
	v_mad_i64_i32 v[8:9], s[0:1], v8, 36, v[132:133]
	v_mad_i64_i32 v[10:11], s[0:1], v10, 36, v[132:133]
	;; [unrolled: 1-line block ×4, first 2 shown]
	global_load_dword v16, v[16:17], off
	s_nop 0
	global_load_dword v0, v[0:1], off offset:4
	s_nop 0
	global_load_dword v1, v[2:3], off offset:4
	;; [unrolled: 2-line block ×3, first 2 shown]
	global_load_dword v3, v[6:7], off offset:4
	s_nop 0
	global_load_dword v4, v[8:9], off offset:4
	global_load_dword v5, v[10:11], off offset:4
	;; [unrolled: 1-line block ×3, first 2 shown]
                                        ; kill: killed $vgpr10_vgpr11
                                        ; kill: killed $vgpr12_vgpr13
	global_load_dword v7, v[14:15], off offset:4
	s_mov_b32 s0, -4
	v_mov_b32_e32 v204, v185
	v_mov_b32_e32 v205, v178
	;; [unrolled: 1-line block ×7, first 2 shown]
	s_waitcnt vmcnt(8)
	ds_write_b32 v127, v16
	s_waitcnt vmcnt(7)
	ds_write_b32 v195, v0
	;; [unrolled: 2-line block ×9, first 2 shown]
	s_waitcnt lgkmcnt(0)
	s_barrier
.LBB123_9:                              ;   Parent Loop BB123_7 Depth=1
                                        ; =>  This Inner Loop Header: Depth=2
	ds_read_b128 v[12:15], v204
	ds_read_b128 v[8:11], v204 offset:16
	ds_read2_b32 v[148:149], v206 offset1:32
	v_add_u32_e32 v136, 0x2080, v205
	v_add_u32_e32 v137, 0x2088, v205
	;; [unrolled: 1-line block ×10, first 2 shown]
	ds_read2_b32 v[146:147], v205 offset1:1
	ds_read2_b32 v[144:145], v205 offset0:2 offset1:3
	ds_read2_b32 v[142:143], v205 offset0:4 offset1:5
	;; [unrolled: 1-line block ×3, first 2 shown]
	ds_read_b32 v238, v207
	ds_read_b32 v237, v208
	;; [unrolled: 1-line block ×4, first 2 shown]
	v_add_u32_e32 v233, 0x6190, v205
	v_add_u32_e32 v234, 0x6198, v205
	ds_read_b128 v[44:47], v204 offset:1024
	ds_read_b128 v[16:19], v204 offset:1040
	ds_read_b128 v[36:39], v204 offset:2048
	ds_read_b128 v[20:23], v204 offset:2064
	ds_read2_b32 v[170:171], v206 offset0:64 offset1:96
	ds_read_b128 v[40:43], v204 offset:3072
	ds_read_b128 v[24:27], v204 offset:3088
	;; [unrolled: 1-line block ×4, first 2 shown]
	ds_read2_b32 v[150:151], v206 offset0:128 offset1:160
	ds_read_b128 v[28:31], v204 offset:5120
	ds_read_b128 v[4:7], v204 offset:5136
	;; [unrolled: 1-line block ×3, first 2 shown]
	ds_read2_b32 v[168:169], v136 offset1:1
	ds_read2_b32 v[158:159], v137 offset1:1
	;; [unrolled: 1-line block ×12, first 2 shown]
	v_mov_b32_e32 v231, 0
	v_mov_b32_e32 v211, 0
	;; [unrolled: 1-line block ×4, first 2 shown]
	s_waitcnt lgkmcnt(14)
	v_dot4c_i32_i8_e32 v231, v146, v12
	s_waitcnt lgkmcnt(11)
	v_dot4c_i32_i8_e32 v211, v168, v12
	;; [unrolled: 2-line block ×4, first 2 shown]
	v_dot4c_i32_i8_e32 v231, v147, v8
	v_dot4c_i32_i8_e32 v211, v169, v8
	v_dot4c_i32_i8_e32 v212, v167, v8
	v_dot4c_i32_i8_e32 v213, v165, v8
	v_dot4c_i32_i8_e32 v231, v144, v13
	v_dot4c_i32_i8_e32 v211, v158, v13
	v_dot4c_i32_i8_e32 v212, v160, v13
	s_waitcnt lgkmcnt(2)
	v_dot4c_i32_i8_e32 v213, v162, v13
	v_mov_b32_e32 v224, 0
	v_mov_b32_e32 v223, 0
	;; [unrolled: 1-line block ×4, first 2 shown]
	v_dot4c_i32_i8_e32 v231, v145, v9
	v_dot4c_i32_i8_e32 v211, v159, v9
	;; [unrolled: 1-line block ×4, first 2 shown]
	v_mov_b32_e32 v239, 0
	v_mov_b32_e32 v217, 0
	;; [unrolled: 1-line block ×4, first 2 shown]
	v_dot4c_i32_i8_e32 v231, v142, v14
	v_dot4c_i32_i8_e32 v211, v156, v14
	;; [unrolled: 1-line block ×3, first 2 shown]
	s_waitcnt lgkmcnt(1)
	v_dot4c_i32_i8_e32 v213, v152, v14
	v_dot4c_i32_i8_e32 v224, v146, v48
	;; [unrolled: 1-line block ×17, first 2 shown]
	v_mov_b32_e32 v227, 0
	v_mov_b32_e32 v228, 0
	;; [unrolled: 1-line block ×4, first 2 shown]
	v_dot4c_i32_i8_e32 v231, v134, v15
	v_dot4c_i32_i8_e32 v211, v136, v15
	;; [unrolled: 1-line block ×3, first 2 shown]
	s_waitcnt lgkmcnt(0)
	v_dot4c_i32_i8_e32 v213, v140, v15
	ds_read_b128 v[12:15], v204 offset:6160
	v_dot4c_i32_i8_e32 v239, v147, v20
	v_dot4c_i32_i8_e32 v217, v169, v20
	;; [unrolled: 1-line block ×20, first 2 shown]
	v_mov_b32_e32 v241, 0
	v_mov_b32_e32 v220, 0
	;; [unrolled: 1-line block ×4, first 2 shown]
	v_dot4c_i32_i8_e32 v239, v145, v21
	v_dot4c_i32_i8_e32 v217, v159, v21
	;; [unrolled: 1-line block ×12, first 2 shown]
	v_mov_b32_e32 v234, 0
	v_mov_b32_e32 v233, 0
	;; [unrolled: 1-line block ×3, first 2 shown]
	v_dot4c_i32_i8_e32 v239, v142, v38
	v_dot4c_i32_i8_e32 v217, v156, v38
	;; [unrolled: 1-line block ×12, first 2 shown]
	v_mov_b32_e32 v2, 0
	v_dot4c_i32_i8_e32 v227, v144, v29
	v_dot4c_i32_i8_e32 v228, v158, v29
	;; [unrolled: 1-line block ×32, first 2 shown]
	ds_read_b128 v[38:41], v204 offset:7168
	s_waitcnt lgkmcnt(1)
	v_dot4c_i32_i8_e32 v234, v147, v12
	v_dot4c_i32_i8_e32 v233, v169, v12
	;; [unrolled: 1-line block ×20, first 2 shown]
	ds_read_b128 v[28:31], v204 offset:7184
	v_dot4c_i32_i8_e32 v241, v145, v25
	v_dot4c_i32_i8_e32 v220, v159, v25
	;; [unrolled: 1-line block ×8, first 2 shown]
	v_mov_b32_e32 v232, 0
	v_mov_b32_e32 v214, 0
	;; [unrolled: 1-line block ×4, first 2 shown]
	v_dot4c_i32_i8_e32 v241, v142, v42
	v_dot4c_i32_i8_e32 v220, v156, v42
	;; [unrolled: 1-line block ×8, first 2 shown]
	v_mov_b32_e32 v14, 0
	v_dot4c_i32_i8_e32 v232, v146, v44
	v_dot4c_i32_i8_e32 v214, v168, v44
	;; [unrolled: 1-line block ×8, first 2 shown]
	v_pk_mul_f16 v36, v238, v170
	v_pk_mul_f16 v26, v237, v170
	;; [unrolled: 1-line block ×4, first 2 shown]
	v_mov_b32_e32 v170, 0
	v_mov_b32_e32 v6, 0
	s_waitcnt lgkmcnt(1)
	v_dot4c_i32_i8_e32 v14, v166, v38
	v_mov_b32_e32 v166, 0
	v_dot4c_i32_i8_e32 v232, v147, v16
	v_dot4c_i32_i8_e32 v170, v146, v38
	;; [unrolled: 1-line block ×8, first 2 shown]
	s_waitcnt lgkmcnt(0)
	v_dot4c_i32_i8_e32 v170, v147, v28
	v_dot4c_i32_i8_e32 v6, v169, v28
	;; [unrolled: 1-line block ×8, first 2 shown]
	ds_read2_b32 v[0:1], v206 offset0:192 offset1:224
	v_dot4c_i32_i8_e32 v170, v144, v39
	v_dot4c_i32_i8_e32 v6, v158, v39
	;; [unrolled: 1-line block ×32, first 2 shown]
	v_pk_mul_f16 v8, v148, v238
	v_pk_mul_f16 v9, v238, v149
	v_dot4c_i32_i8_e32 v220, v136, v43
	v_dot4c_i32_i8_e32 v221, v138, v43
	v_dot4c_i32_i8_e32 v222, v140, v43
	v_dot4c_i32_i8_e32 v224, v134, v51
	v_dot4c_i32_i8_e32 v223, v136, v51
	v_dot4c_i32_i8_e32 v225, v138, v51
	v_dot4c_i32_i8_e32 v226, v140, v51
	v_pk_mul_f16 v42, v238, v171
	v_dot4c_i32_i8_e32 v234, v134, v35
	v_dot4c_i32_i8_e32 v233, v136, v35
	;; [unrolled: 1-line block ×12, first 2 shown]
	v_pk_mul_f16 v16, v148, v237
	v_pk_mul_f16 v18, v148, v236
	;; [unrolled: 1-line block ×17, first 2 shown]
	s_waitcnt lgkmcnt(0)
	v_pk_mul_f16 v242, v238, v0
	v_pk_mul_f16 v238, v238, v1
	;; [unrolled: 1-line block ×8, first 2 shown]
	v_cvt_f32_f16_e32 v1, v9
	v_cvt_f32_f16_e32 v0, v8
	v_cvt_f32_f16_sdwa v9, v9 dst_sel:DWORD dst_unused:UNUSED_PAD src0_sel:WORD_1
	v_cvt_f32_f16_sdwa v8, v8 dst_sel:DWORD dst_unused:UNUSED_PAD src0_sel:WORD_1
	v_cvt_f32_f16_e32 v35, v42
	v_cvt_f32_f16_e32 v34, v36
	v_cvt_f32_f16_sdwa v39, v42 dst_sel:DWORD dst_unused:UNUSED_PAD src0_sel:WORD_1
	v_cvt_f32_f16_sdwa v38, v36 dst_sel:DWORD dst_unused:UNUSED_PAD src0_sel:WORD_1
	v_dot4c_i32_i8_e32 v211, v137, v11
	v_dot4c_i32_i8_e32 v212, v139, v11
	;; [unrolled: 1-line block ×16, first 2 shown]
	v_cvt_f32_i32_e32 v161, v232
	v_cvt_f32_i32_e32 v160, v231
	;; [unrolled: 1-line block ×4, first 2 shown]
	v_dot4c_i32_i8_e32 v223, v137, v3
	v_dot4c_i32_i8_e32 v225, v139, v3
	;; [unrolled: 1-line block ×12, first 2 shown]
	v_cvt_f32_f16_e32 v5, v17
	v_cvt_f32_f16_e32 v4, v16
	v_cvt_f32_f16_sdwa v13, v17 dst_sel:DWORD dst_unused:UNUSED_PAD src0_sel:WORD_1
	v_cvt_f32_f16_sdwa v12, v16 dst_sel:DWORD dst_unused:UNUSED_PAD src0_sel:WORD_1
	v_cvt_f32_f16_e32 v17, v20
	v_cvt_f32_f16_e32 v16, v18
	v_cvt_f32_f16_sdwa v21, v20 dst_sel:DWORD dst_unused:UNUSED_PAD src0_sel:WORD_1
	v_cvt_f32_f16_sdwa v20, v18 dst_sel:DWORD dst_unused:UNUSED_PAD src0_sel:WORD_1
	;; [unrolled: 4-line block ×14, first 2 shown]
	v_cvt_f32_i32_e32 v165, v227
	v_cvt_f32_i32_e32 v164, v224
	;; [unrolled: 1-line block ×28, first 2 shown]
	v_pk_fma_f32 v[0:1], v[0:1], v[160:161], v[8:9]
	v_pk_fma_f32 v[8:9], v[162:163], v[34:35], v[38:39]
	s_add_i32 s0, s0, 4
	v_pk_fma_f32 v[34:35], v[164:165], v[50:51], v[144:145]
	v_pk_fma_f32 v[38:39], v[168:169], v[154:155], v[156:157]
	v_pk_add_f32 v[106:107], v[106:107], v[0:1]
	v_pk_fma_f32 v[0:1], v[4:5], v[30:31], v[12:13]
	v_pk_fma_f32 v[4:5], v[16:17], v[136:137], v[20:21]
	;; [unrolled: 1-line block ×3, first 2 shown]
	v_pk_add_f32 v[74:75], v[74:75], v[8:9]
	v_pk_fma_f32 v[8:9], v[140:141], v[32:33], v[36:37]
	v_pk_fma_f32 v[16:17], v[170:171], v[40:41], v[42:43]
	;; [unrolled: 1-line block ×9, first 2 shown]
	v_add_u32_e32 v210, 4, v210
	v_add_u32_e32 v209, 4, v209
	;; [unrolled: 1-line block ×7, first 2 shown]
	s_cmp_lt_u32 s0, 12
	v_pk_add_f32 v[66:67], v[66:67], v[34:35]
	v_pk_add_f32 v[58:59], v[58:59], v[38:39]
	;; [unrolled: 1-line block ×14, first 2 shown]
	s_cbranch_scc1 .LBB123_9
; %bb.10:                               ;   in Loop: Header=BB123_7 Depth=1
	s_and_b32 s0, s9, -4
	s_cmp_eq_u32 s0, 4
	s_barrier
	s_cbranch_scc1 .LBB123_6
; %bb.11:                               ;   in Loop: Header=BB123_7 Depth=1
	v_add_u32_e32 v14, s14, v179
	v_add_u32_e32 v0, v14, v129
	;; [unrolled: 1-line block ×6, first 2 shown]
	v_mad_i64_i32 v[0:1], s[0:1], v0, 36, v[132:133]
	v_mad_i64_i32 v[2:3], s[0:1], v2, 36, v[132:133]
	;; [unrolled: 1-line block ×4, first 2 shown]
	v_add_u32_e32 v8, v14, v174
	v_add_u32_e32 v10, v14, v175
	;; [unrolled: 1-line block ×4, first 2 shown]
	v_mad_u64_u32 v[16:17], s[0:1], v16, 36, s[2:3]
	v_mad_i64_i32 v[8:9], s[0:1], v8, 36, v[132:133]
	v_mad_i64_i32 v[10:11], s[0:1], v10, 36, v[132:133]
	;; [unrolled: 1-line block ×4, first 2 shown]
	global_load_dword v16, v[16:17], off
	s_nop 0
	global_load_dword v0, v[0:1], off offset:4
	s_nop 0
	global_load_dword v1, v[2:3], off offset:4
	;; [unrolled: 2-line block ×3, first 2 shown]
	global_load_dword v3, v[6:7], off offset:4
	s_nop 0
	global_load_dword v4, v[8:9], off offset:4
	global_load_dword v5, v[10:11], off offset:4
                                        ; kill: killed $vgpr8_vgpr9
                                        ; kill: killed $vgpr10_vgpr11
	global_load_dword v6, v[12:13], off offset:4
	global_load_dword v7, v[14:15], off offset:4
	s_mov_b32 s0, 12
	v_mov_b32_e32 v42, v184
	v_mov_b32_e32 v43, v185
	;; [unrolled: 1-line block ×7, first 2 shown]
	s_waitcnt vmcnt(8)
	ds_write_b32 v127, v16
	s_waitcnt vmcnt(7)
	ds_write_b32 v195, v0
	;; [unrolled: 2-line block ×9, first 2 shown]
	s_waitcnt lgkmcnt(0)
	s_barrier
.LBB123_12:                             ;   Parent Loop BB123_7 Depth=1
                                        ; =>  This Inner Loop Header: Depth=2
	v_add_u32_e32 v8, 0x2080, v44
	ds_read_b128 v[0:3], v43
	ds_read_b128 v[4:7], v43 offset:16
	ds_read2_b32 v[40:41], v42 offset1:32
	ds_read_b32 v134, v45
	ds_read2_b32 v[26:27], v44 offset1:1
	ds_read2_b32 v[32:33], v44 offset0:2 offset1:3
	ds_read2_b32 v[36:37], v44 offset0:4 offset1:5
	;; [unrolled: 1-line block ×3, first 2 shown]
	ds_read_b32 v51, v46
	ds_read2_b32 v[14:15], v8 offset1:1
	v_add_u32_e32 v8, 0x2088, v44
	ds_read2_b32 v[22:23], v8 offset1:1
	v_add_u32_e32 v8, 0x2090, v44
	ds_read2_b32 v[30:31], v8 offset1:1
	v_add_u32_e32 v8, 0x2098, v44
	ds_read2_b32 v[34:35], v8 offset1:1
	v_add_u32_e32 v8, 0x4100, v44
	ds_read_b32 v50, v47
	ds_read2_b32 v[10:11], v8 offset1:1
	v_add_u32_e32 v8, 0x4108, v44
	ds_read2_b32 v[16:17], v8 offset1:1
	v_add_u32_e32 v8, 0x4110, v44
	ds_read2_b32 v[20:21], v8 offset1:1
	v_add_u32_e32 v8, 0x4118, v44
	ds_read2_b32 v[28:29], v8 offset1:1
	v_add_u32_e32 v8, 0x6180, v44
	ds_read_b32 v49, v48
	ds_read2_b32 v[8:9], v8 offset1:1
	v_mov_b32_e32 v135, 0
	v_mov_b32_e32 v142, 0
	;; [unrolled: 1-line block ×4, first 2 shown]
	s_waitcnt lgkmcnt(14)
	v_dot4c_i32_i8_e32 v135, v26, v0
	s_waitcnt lgkmcnt(10)
	v_dot4c_i32_i8_e32 v142, v14, v0
	;; [unrolled: 2-line block ×4, first 2 shown]
	v_add_u32_e32 v0, 0x6188, v44
	ds_read2_b32 v[12:13], v0 offset1:1
	v_add_u32_e32 v0, 0x6190, v44
	ds_read2_b32 v[18:19], v0 offset1:1
	v_add_u32_e32 v0, 0x6198, v44
	v_dot4c_i32_i8_e32 v135, v27, v4
	v_dot4c_i32_i8_e32 v142, v15, v4
	;; [unrolled: 1-line block ×4, first 2 shown]
	ds_read2_b32 v[24:25], v0 offset1:1
	v_dot4c_i32_i8_e32 v135, v32, v1
	v_dot4c_i32_i8_e32 v142, v22, v1
	v_dot4c_i32_i8_e32 v144, v16, v1
	s_waitcnt lgkmcnt(2)
	v_dot4c_i32_i8_e32 v146, v12, v1
	v_dot4c_i32_i8_e32 v135, v33, v5
	v_dot4c_i32_i8_e32 v142, v23, v5
	v_dot4c_i32_i8_e32 v144, v17, v5
	v_dot4c_i32_i8_e32 v146, v13, v5
	v_dot4c_i32_i8_e32 v135, v36, v2
	v_dot4c_i32_i8_e32 v142, v30, v2
	v_dot4c_i32_i8_e32 v144, v20, v2
	s_waitcnt lgkmcnt(1)
	v_dot4c_i32_i8_e32 v146, v18, v2
	v_dot4c_i32_i8_e32 v135, v37, v6
	v_dot4c_i32_i8_e32 v142, v31, v6
	v_dot4c_i32_i8_e32 v144, v21, v6
	v_dot4c_i32_i8_e32 v146, v19, v6
	;; [unrolled: 9-line block ×3, first 2 shown]
	ds_read_b128 v[0:3], v43 offset:1024
	ds_read_b128 v[4:7], v43 offset:1040
	v_mov_b32_e32 v140, 0
	v_pk_mul_f16 v138, v40, v134
	v_pk_mul_f16 v139, v134, v41
	s_waitcnt lgkmcnt(1)
	v_dot4c_i32_i8_e32 v140, v26, v0
	s_waitcnt lgkmcnt(0)
	v_dot4c_i32_i8_e32 v140, v27, v4
	v_dot4c_i32_i8_e32 v140, v32, v1
	;; [unrolled: 1-line block ×7, first 2 shown]
	v_cvt_f32_f16_e32 v137, v139
	v_cvt_f32_f16_e32 v136, v138
	v_cvt_f32_f16_sdwa v139, v139 dst_sel:DWORD dst_unused:UNUSED_PAD src0_sel:WORD_1
	v_cvt_f32_i32_e32 v141, v140
	v_cvt_f32_i32_e32 v140, v135
	v_mov_b32_e32 v135, 0
	v_dot4c_i32_i8_e32 v135, v14, v0
	v_dot4c_i32_i8_e32 v135, v15, v4
	v_dot4c_i32_i8_e32 v135, v22, v1
	v_dot4c_i32_i8_e32 v135, v23, v5
	v_cvt_f32_f16_sdwa v138, v138 dst_sel:DWORD dst_unused:UNUSED_PAD src0_sel:WORD_1
	v_dot4c_i32_i8_e32 v135, v30, v2
	v_dot4c_i32_i8_e32 v135, v31, v6
	;; [unrolled: 1-line block ×4, first 2 shown]
	v_pk_fma_f32 v[136:137], v[136:137], v[140:141], v[138:139]
	v_pk_mul_f16 v143, v40, v51
	v_pk_mul_f16 v138, v51, v41
	v_cvt_f32_i32_e32 v141, v135
	v_mov_b32_e32 v135, 0
	v_dot4c_i32_i8_e32 v135, v10, v0
	v_dot4c_i32_i8_e32 v135, v11, v4
	;; [unrolled: 1-line block ×4, first 2 shown]
	v_pk_add_f32 v[106:107], v[106:107], v[136:137]
	v_cvt_f32_f16_e32 v137, v138
	v_cvt_f32_f16_e32 v136, v143
	v_cvt_f32_f16_sdwa v139, v138 dst_sel:DWORD dst_unused:UNUSED_PAD src0_sel:WORD_1
	v_cvt_f32_f16_sdwa v138, v143 dst_sel:DWORD dst_unused:UNUSED_PAD src0_sel:WORD_1
	v_cvt_f32_i32_e32 v140, v142
	v_dot4c_i32_i8_e32 v135, v20, v2
	v_dot4c_i32_i8_e32 v135, v21, v6
	;; [unrolled: 1-line block ×4, first 2 shown]
	v_pk_fma_f32 v[136:137], v[136:137], v[140:141], v[138:139]
	v_pk_mul_f16 v145, v40, v50
	v_pk_mul_f16 v40, v40, v49
	v_cvt_f32_i32_e32 v141, v135
	v_mov_b32_e32 v135, 0
	v_dot4c_i32_i8_e32 v135, v8, v0
	v_dot4c_i32_i8_e32 v135, v9, v4
	;; [unrolled: 1-line block ×8, first 2 shown]
	v_pk_mul_f16 v2, v49, v41
	v_cvt_f32_f16_e32 v0, v40
	v_cvt_f32_f16_e32 v1, v2
	v_cvt_f32_f16_sdwa v3, v2 dst_sel:DWORD dst_unused:UNUSED_PAD src0_sel:WORD_1
	v_cvt_f32_f16_sdwa v2, v40 dst_sel:DWORD dst_unused:UNUSED_PAD src0_sel:WORD_1
	v_cvt_f32_i32_e32 v5, v135
	v_cvt_f32_i32_e32 v4, v146
	v_pk_mul_f16 v138, v50, v41
	v_cvt_f32_i32_e32 v140, v144
	v_mov_b32_e32 v135, 0
	v_pk_fma_f32 v[0:1], v[0:1], v[4:5], v[2:3]
	v_mov_b32_e32 v142, 0
	v_pk_add_f32 v[84:85], v[84:85], v[0:1]
	ds_read_b128 v[0:3], v43 offset:2048
	ds_read_b128 v[4:7], v43 offset:2064
	ds_read2_b32 v[40:41], v42 offset0:64 offset1:96
	v_mov_b32_e32 v144, 0
	v_mov_b32_e32 v146, 0
	s_waitcnt lgkmcnt(2)
	v_dot4c_i32_i8_e32 v135, v26, v0
	v_dot4c_i32_i8_e32 v142, v14, v0
	;; [unrolled: 1-line block ×4, first 2 shown]
	s_waitcnt lgkmcnt(1)
	v_dot4c_i32_i8_e32 v135, v27, v4
	v_dot4c_i32_i8_e32 v142, v15, v4
	v_dot4c_i32_i8_e32 v144, v11, v4
	v_dot4c_i32_i8_e32 v146, v9, v4
	v_dot4c_i32_i8_e32 v135, v32, v1
	v_dot4c_i32_i8_e32 v142, v22, v1
	v_dot4c_i32_i8_e32 v144, v16, v1
	v_dot4c_i32_i8_e32 v146, v12, v1
	v_dot4c_i32_i8_e32 v135, v33, v5
	v_dot4c_i32_i8_e32 v142, v23, v5
	v_dot4c_i32_i8_e32 v144, v17, v5
	v_dot4c_i32_i8_e32 v146, v13, v5
	v_dot4c_i32_i8_e32 v135, v36, v2
	v_dot4c_i32_i8_e32 v142, v30, v2
	v_dot4c_i32_i8_e32 v144, v20, v2
	v_dot4c_i32_i8_e32 v146, v18, v2
	v_dot4c_i32_i8_e32 v135, v37, v6
	v_dot4c_i32_i8_e32 v142, v31, v6
	v_dot4c_i32_i8_e32 v144, v21, v6
	v_dot4c_i32_i8_e32 v146, v19, v6
	v_pk_add_f32 v[110:111], v[110:111], v[136:137]
	v_cvt_f32_f16_e32 v137, v138
	v_cvt_f32_f16_e32 v136, v145
	v_cvt_f32_f16_sdwa v139, v138 dst_sel:DWORD dst_unused:UNUSED_PAD src0_sel:WORD_1
	v_cvt_f32_f16_sdwa v138, v145 dst_sel:DWORD dst_unused:UNUSED_PAD src0_sel:WORD_1
	v_dot4c_i32_i8_e32 v135, v38, v3
	v_dot4c_i32_i8_e32 v142, v34, v3
	;; [unrolled: 1-line block ×8, first 2 shown]
	ds_read_b128 v[0:3], v43 offset:3072
	ds_read_b128 v[4:7], v43 offset:3088
	v_pk_fma_f32 v[136:137], v[136:137], v[140:141], v[138:139]
	v_mov_b32_e32 v140, 0
	s_waitcnt lgkmcnt(2)
	v_pk_mul_f16 v138, v134, v40
	s_waitcnt lgkmcnt(1)
	v_dot4c_i32_i8_e32 v140, v26, v0
	s_waitcnt lgkmcnt(0)
	v_dot4c_i32_i8_e32 v140, v27, v4
	v_dot4c_i32_i8_e32 v140, v32, v1
	;; [unrolled: 1-line block ×7, first 2 shown]
	v_pk_mul_f16 v139, v134, v41
	v_pk_add_f32 v[96:97], v[96:97], v[136:137]
	v_cvt_f32_f16_e32 v137, v139
	v_cvt_f32_i32_e32 v141, v140
	v_cvt_f32_i32_e32 v140, v135
	v_mov_b32_e32 v135, 0
	v_dot4c_i32_i8_e32 v135, v14, v0
	v_dot4c_i32_i8_e32 v135, v15, v4
	;; [unrolled: 1-line block ×4, first 2 shown]
	v_cvt_f32_f16_e32 v136, v138
	v_cvt_f32_f16_sdwa v139, v139 dst_sel:DWORD dst_unused:UNUSED_PAD src0_sel:WORD_1
	v_cvt_f32_f16_sdwa v138, v138 dst_sel:DWORD dst_unused:UNUSED_PAD src0_sel:WORD_1
	v_dot4c_i32_i8_e32 v135, v30, v2
	v_dot4c_i32_i8_e32 v135, v31, v6
	;; [unrolled: 1-line block ×4, first 2 shown]
	v_pk_fma_f32 v[136:137], v[140:141], v[136:137], v[138:139]
	v_pk_mul_f16 v143, v51, v40
	v_pk_mul_f16 v138, v51, v41
	v_cvt_f32_i32_e32 v141, v135
	v_mov_b32_e32 v135, 0
	v_dot4c_i32_i8_e32 v135, v10, v0
	v_dot4c_i32_i8_e32 v135, v11, v4
	;; [unrolled: 1-line block ×4, first 2 shown]
	v_pk_add_f32 v[74:75], v[74:75], v[136:137]
	v_cvt_f32_f16_e32 v137, v138
	v_cvt_f32_f16_e32 v136, v143
	v_cvt_f32_f16_sdwa v139, v138 dst_sel:DWORD dst_unused:UNUSED_PAD src0_sel:WORD_1
	v_cvt_f32_f16_sdwa v138, v143 dst_sel:DWORD dst_unused:UNUSED_PAD src0_sel:WORD_1
	v_cvt_f32_i32_e32 v140, v142
	v_dot4c_i32_i8_e32 v135, v20, v2
	v_dot4c_i32_i8_e32 v135, v21, v6
	;; [unrolled: 1-line block ×4, first 2 shown]
	v_pk_fma_f32 v[136:137], v[140:141], v[136:137], v[138:139]
	v_pk_mul_f16 v145, v50, v40
	v_pk_mul_f16 v40, v49, v40
	v_cvt_f32_i32_e32 v141, v135
	v_mov_b32_e32 v135, 0
	v_dot4c_i32_i8_e32 v135, v8, v0
	v_dot4c_i32_i8_e32 v135, v9, v4
	;; [unrolled: 1-line block ×8, first 2 shown]
	v_pk_mul_f16 v2, v49, v41
	v_cvt_f32_f16_e32 v0, v40
	v_cvt_f32_f16_e32 v1, v2
	v_cvt_f32_f16_sdwa v3, v2 dst_sel:DWORD dst_unused:UNUSED_PAD src0_sel:WORD_1
	v_cvt_f32_f16_sdwa v2, v40 dst_sel:DWORD dst_unused:UNUSED_PAD src0_sel:WORD_1
	v_cvt_f32_i32_e32 v5, v135
	v_cvt_f32_i32_e32 v4, v146
	v_pk_mul_f16 v138, v50, v41
	v_cvt_f32_i32_e32 v140, v144
	v_mov_b32_e32 v135, 0
	v_pk_fma_f32 v[0:1], v[4:5], v[0:1], v[2:3]
	v_mov_b32_e32 v142, 0
	v_pk_add_f32 v[68:69], v[68:69], v[0:1]
	ds_read_b128 v[0:3], v43 offset:4096
	ds_read_b128 v[4:7], v43 offset:4112
	ds_read2_b32 v[40:41], v42 offset0:128 offset1:160
	v_mov_b32_e32 v144, 0
	v_mov_b32_e32 v146, 0
	s_waitcnt lgkmcnt(2)
	v_dot4c_i32_i8_e32 v135, v26, v0
	v_dot4c_i32_i8_e32 v142, v14, v0
	;; [unrolled: 1-line block ×4, first 2 shown]
	s_waitcnt lgkmcnt(1)
	v_dot4c_i32_i8_e32 v135, v27, v4
	v_dot4c_i32_i8_e32 v142, v15, v4
	;; [unrolled: 1-line block ×20, first 2 shown]
	v_pk_add_f32 v[72:73], v[72:73], v[136:137]
	v_cvt_f32_f16_e32 v137, v138
	v_cvt_f32_f16_e32 v136, v145
	v_cvt_f32_f16_sdwa v139, v138 dst_sel:DWORD dst_unused:UNUSED_PAD src0_sel:WORD_1
	v_cvt_f32_f16_sdwa v138, v145 dst_sel:DWORD dst_unused:UNUSED_PAD src0_sel:WORD_1
	v_dot4c_i32_i8_e32 v135, v38, v3
	v_dot4c_i32_i8_e32 v142, v34, v3
	;; [unrolled: 1-line block ×8, first 2 shown]
	ds_read_b128 v[0:3], v43 offset:5120
	ds_read_b128 v[4:7], v43 offset:5136
	v_pk_fma_f32 v[136:137], v[140:141], v[136:137], v[138:139]
	v_mov_b32_e32 v140, 0
	s_waitcnt lgkmcnt(2)
	v_pk_mul_f16 v138, v134, v40
	s_waitcnt lgkmcnt(1)
	v_dot4c_i32_i8_e32 v140, v26, v0
	s_waitcnt lgkmcnt(0)
	v_dot4c_i32_i8_e32 v140, v27, v4
	v_dot4c_i32_i8_e32 v140, v32, v1
	;; [unrolled: 1-line block ×7, first 2 shown]
	v_pk_mul_f16 v139, v134, v41
	v_pk_add_f32 v[70:71], v[70:71], v[136:137]
	v_cvt_f32_f16_e32 v137, v139
	v_cvt_f32_i32_e32 v141, v140
	v_cvt_f32_i32_e32 v140, v135
	v_mov_b32_e32 v135, 0
	v_dot4c_i32_i8_e32 v135, v14, v0
	v_dot4c_i32_i8_e32 v135, v15, v4
	;; [unrolled: 1-line block ×4, first 2 shown]
	v_cvt_f32_f16_e32 v136, v138
	v_cvt_f32_f16_sdwa v139, v139 dst_sel:DWORD dst_unused:UNUSED_PAD src0_sel:WORD_1
	v_cvt_f32_f16_sdwa v138, v138 dst_sel:DWORD dst_unused:UNUSED_PAD src0_sel:WORD_1
	v_dot4c_i32_i8_e32 v135, v30, v2
	v_dot4c_i32_i8_e32 v135, v31, v6
	v_dot4c_i32_i8_e32 v135, v34, v3
	v_dot4c_i32_i8_e32 v135, v35, v7
	v_pk_fma_f32 v[136:137], v[140:141], v[136:137], v[138:139]
	v_pk_mul_f16 v143, v51, v40
	v_pk_mul_f16 v138, v51, v41
	v_cvt_f32_i32_e32 v141, v135
	v_mov_b32_e32 v135, 0
	v_dot4c_i32_i8_e32 v135, v10, v0
	v_dot4c_i32_i8_e32 v135, v11, v4
	;; [unrolled: 1-line block ×4, first 2 shown]
	v_pk_add_f32 v[66:67], v[66:67], v[136:137]
	v_cvt_f32_f16_e32 v137, v138
	v_cvt_f32_f16_e32 v136, v143
	v_cvt_f32_f16_sdwa v139, v138 dst_sel:DWORD dst_unused:UNUSED_PAD src0_sel:WORD_1
	v_cvt_f32_f16_sdwa v138, v143 dst_sel:DWORD dst_unused:UNUSED_PAD src0_sel:WORD_1
	v_cvt_f32_i32_e32 v140, v142
	v_dot4c_i32_i8_e32 v135, v20, v2
	v_dot4c_i32_i8_e32 v135, v21, v6
	;; [unrolled: 1-line block ×4, first 2 shown]
	v_pk_fma_f32 v[136:137], v[140:141], v[136:137], v[138:139]
	v_pk_mul_f16 v145, v50, v40
	v_pk_mul_f16 v40, v49, v40
	v_cvt_f32_i32_e32 v141, v135
	v_mov_b32_e32 v135, 0
	v_dot4c_i32_i8_e32 v135, v8, v0
	v_dot4c_i32_i8_e32 v135, v9, v4
	;; [unrolled: 1-line block ×8, first 2 shown]
	v_pk_mul_f16 v2, v49, v41
	v_cvt_f32_f16_e32 v0, v40
	v_cvt_f32_f16_e32 v1, v2
	v_cvt_f32_f16_sdwa v3, v2 dst_sel:DWORD dst_unused:UNUSED_PAD src0_sel:WORD_1
	v_cvt_f32_f16_sdwa v2, v40 dst_sel:DWORD dst_unused:UNUSED_PAD src0_sel:WORD_1
	v_cvt_f32_i32_e32 v5, v135
	v_cvt_f32_i32_e32 v4, v146
	v_pk_mul_f16 v138, v50, v41
	v_pk_add_f32 v[64:65], v[64:65], v[136:137]
	v_cvt_f32_f16_e32 v137, v138
	v_cvt_f32_f16_e32 v136, v145
	v_cvt_f32_f16_sdwa v139, v138 dst_sel:DWORD dst_unused:UNUSED_PAD src0_sel:WORD_1
	v_cvt_f32_f16_sdwa v138, v145 dst_sel:DWORD dst_unused:UNUSED_PAD src0_sel:WORD_1
	v_cvt_f32_i32_e32 v140, v144
	v_pk_fma_f32 v[0:1], v[4:5], v[0:1], v[2:3]
	v_mov_b32_e32 v135, 0
	v_pk_add_f32 v[60:61], v[60:61], v[0:1]
	ds_read_b128 v[0:3], v43 offset:6144
	ds_read_b128 v[4:7], v43 offset:6160
	ds_read2_b32 v[40:41], v42 offset0:192 offset1:224
	v_pk_fma_f32 v[136:137], v[140:141], v[136:137], v[138:139]
	v_mov_b32_e32 v139, 0
	v_pk_add_f32 v[62:63], v[62:63], v[136:137]
	v_mov_b32_e32 v137, 0
	v_mov_b32_e32 v141, 0
	s_waitcnt lgkmcnt(2)
	v_dot4c_i32_i8_e32 v135, v26, v0
	v_dot4c_i32_i8_e32 v137, v14, v0
	;; [unrolled: 1-line block ×4, first 2 shown]
	s_waitcnt lgkmcnt(1)
	v_dot4c_i32_i8_e32 v135, v27, v4
	v_dot4c_i32_i8_e32 v137, v15, v4
	;; [unrolled: 1-line block ×28, first 2 shown]
	ds_read_b128 v[0:3], v43 offset:7168
	ds_read_b128 v[4:7], v43 offset:7184
	v_mov_b32_e32 v142, 0
	s_waitcnt lgkmcnt(2)
	v_pk_mul_f16 v136, v134, v40
	v_pk_mul_f16 v138, v51, v40
	s_waitcnt lgkmcnt(1)
	v_dot4c_i32_i8_e32 v142, v26, v0
	s_waitcnt lgkmcnt(0)
	v_dot4c_i32_i8_e32 v142, v27, v4
	v_dot4c_i32_i8_e32 v142, v32, v1
	v_dot4c_i32_i8_e32 v142, v33, v5
	v_dot4c_i32_i8_e32 v142, v36, v2
	v_dot4c_i32_i8_e32 v142, v37, v6
	v_dot4c_i32_i8_e32 v142, v38, v3
	v_dot4c_i32_i8_e32 v142, v39, v7
	v_pk_mul_f16 v32, v134, v41
	v_cvt_f32_f16_e32 v26, v136
	v_cvt_f32_f16_e32 v27, v32
	v_cvt_f32_f16_sdwa v33, v32 dst_sel:DWORD dst_unused:UNUSED_PAD src0_sel:WORD_1
	v_cvt_f32_f16_sdwa v32, v136 dst_sel:DWORD dst_unused:UNUSED_PAD src0_sel:WORD_1
	v_cvt_f32_i32_e32 v37, v142
	v_cvt_f32_i32_e32 v36, v135
	v_pk_mul_f16 v140, v50, v40
	v_pk_mul_f16 v40, v49, v40
	s_add_i32 s0, s0, 4
	v_pk_fma_f32 v[26:27], v[36:37], v[26:27], v[32:33]
	v_add_u32_e32 v48, 4, v48
	v_pk_add_f32 v[58:59], v[58:59], v[26:27]
	v_mov_b32_e32 v26, 0
	v_dot4c_i32_i8_e32 v26, v14, v0
	v_dot4c_i32_i8_e32 v26, v15, v4
	;; [unrolled: 1-line block ×8, first 2 shown]
	v_pk_mul_f16 v22, v51, v41
	v_cvt_f32_f16_e32 v14, v138
	v_cvt_f32_f16_e32 v15, v22
	v_cvt_f32_f16_sdwa v23, v22 dst_sel:DWORD dst_unused:UNUSED_PAD src0_sel:WORD_1
	v_cvt_f32_f16_sdwa v22, v138 dst_sel:DWORD dst_unused:UNUSED_PAD src0_sel:WORD_1
	v_cvt_f32_i32_e32 v27, v26
	v_cvt_f32_i32_e32 v26, v137
	v_add_u32_e32 v47, 4, v47
	v_add_u32_e32 v46, 4, v46
	v_add_u32_e32 v45, 4, v45
	v_pk_fma_f32 v[14:15], v[26:27], v[14:15], v[22:23]
	v_mov_b32_e32 v22, 0
	v_dot4c_i32_i8_e32 v22, v10, v0
	v_dot4c_i32_i8_e32 v22, v11, v4
	;; [unrolled: 1-line block ×7, first 2 shown]
	v_pk_add_f32 v[56:57], v[56:57], v[14:15]
	v_dot4c_i32_i8_e32 v22, v29, v7
	v_pk_mul_f16 v14, v50, v41
	v_cvt_f32_f16_e32 v10, v140
	v_cvt_f32_f16_e32 v11, v14
	v_cvt_f32_f16_sdwa v15, v14 dst_sel:DWORD dst_unused:UNUSED_PAD src0_sel:WORD_1
	v_cvt_f32_f16_sdwa v14, v140 dst_sel:DWORD dst_unused:UNUSED_PAD src0_sel:WORD_1
	v_cvt_f32_i32_e32 v17, v22
	v_cvt_f32_i32_e32 v16, v139
	v_add_u32_e32 v44, 32, v44
	v_add_u32_e32 v43, 32, v43
	;; [unrolled: 1-line block ×3, first 2 shown]
	v_pk_fma_f32 v[10:11], v[16:17], v[10:11], v[14:15]
	s_cmp_lt_u32 s0, 28
	v_pk_add_f32 v[54:55], v[54:55], v[10:11]
	v_mov_b32_e32 v10, 0
	v_dot4c_i32_i8_e32 v10, v8, v0
	v_dot4c_i32_i8_e32 v10, v9, v4
	;; [unrolled: 1-line block ×8, first 2 shown]
	v_pk_mul_f16 v2, v49, v41
	v_cvt_f32_f16_e32 v0, v40
	v_cvt_f32_f16_e32 v1, v2
	v_cvt_f32_f16_sdwa v3, v2 dst_sel:DWORD dst_unused:UNUSED_PAD src0_sel:WORD_1
	v_cvt_f32_f16_sdwa v2, v40 dst_sel:DWORD dst_unused:UNUSED_PAD src0_sel:WORD_1
	v_cvt_f32_i32_e32 v5, v10
	v_cvt_f32_i32_e32 v4, v141
	v_pk_fma_f32 v[0:1], v[4:5], v[0:1], v[2:3]
	s_nop 0
	v_pk_add_f32 v[52:53], v[52:53], v[0:1]
	s_cbranch_scc1 .LBB123_12
; %bb.13:                               ;   in Loop: Header=BB123_7 Depth=1
	s_barrier
	s_branch .LBB123_6
.LBB123_14:
	v_mov_b32_e32 v1, v81
	v_cmp_gt_u32_e32 vcc, s8, v83
	s_and_saveexec_b64 s[0:1], vcc
	s_cbranch_execz .LBB123_3
.LBB123_15:
	v_add_u32_e32 v0, s4, v77
	v_mul_lo_u32 v5, v83, s10
	v_cmp_gt_u32_e32 vcc, s10, v0
	s_and_saveexec_b64 s[0:1], vcc
	s_cbranch_execz .LBB123_17
; %bb.16:
	v_add_u32_e32 v2, v0, v5
	v_mov_b32_e32 v3, 0
	s_waitcnt lgkmcnt(0)
	v_lshl_add_u64 v[2:3], v[2:3], 2, s[12:13]
	global_store_dword v[2:3], v106, off
.LBB123_17:
	s_or_b64 exec, exec, s[0:1]
	v_add_u32_e32 v2, 32, v0
	v_cmp_gt_u32_e64 s[0:1], s10, v2
	s_and_saveexec_b64 s[2:3], s[0:1]
	s_cbranch_execz .LBB123_19
; %bb.18:
	v_add_u32_e32 v6, v2, v5
	v_mov_b32_e32 v7, 0
	s_waitcnt lgkmcnt(0)
	v_lshl_add_u64 v[6:7], v[6:7], 2, s[12:13]
	global_store_dword v[6:7], v110, off
.LBB123_19:
	s_or_b64 exec, exec, s[2:3]
	v_add_u32_e32 v3, 64, v0
	v_cmp_gt_u32_e64 s[2:3], s10, v3
	s_and_saveexec_b64 s[4:5], s[2:3]
	;; [unrolled: 12-line block ×3, first 2 shown]
	s_cbranch_execz .LBB123_23
; %bb.22:
	v_add_u32_e32 v6, v4, v5
	v_mov_b32_e32 v7, 0
	s_waitcnt lgkmcnt(0)
	v_lshl_add_u64 v[6:7], v[6:7], 2, s[12:13]
	global_store_dword v[6:7], v84, off
.LBB123_23:
	s_or_b64 exec, exec, s[6:7]
	v_add3_u32 v5, v1, s11, 8
	v_cmp_gt_u32_e64 s[6:7], s8, v5
	s_and_b64 exec, exec, s[6:7]
	s_cbranch_execz .LBB123_3
; %bb.24:
	v_mul_lo_u32 v5, v5, s10
	s_and_saveexec_b64 s[6:7], vcc
	s_cbranch_execnz .LBB123_64
; %bb.25:
	s_or_b64 exec, exec, s[6:7]
	s_and_saveexec_b64 s[6:7], s[0:1]
	s_cbranch_execnz .LBB123_65
.LBB123_26:
	s_or_b64 exec, exec, s[6:7]
	s_and_saveexec_b64 s[6:7], s[2:3]
	s_cbranch_execnz .LBB123_66
.LBB123_27:
	s_or_b64 exec, exec, s[6:7]
	s_and_saveexec_b64 s[6:7], s[4:5]
	s_cbranch_execz .LBB123_29
.LBB123_28:
	v_add_u32_e32 v6, v5, v4
	v_mov_b32_e32 v7, 0
	s_waitcnt lgkmcnt(0)
	v_lshl_add_u64 v[6:7], v[6:7], 2, s[12:13]
	global_store_dword v[6:7], v85, off
.LBB123_29:
	s_or_b64 exec, exec, s[6:7]
	v_add3_u32 v5, v1, s11, 16
	v_cmp_gt_u32_e64 s[6:7], s8, v5
	s_and_b64 exec, exec, s[6:7]
	s_cbranch_execz .LBB123_3
; %bb.30:
	v_mul_lo_u32 v5, v5, s10
	s_and_saveexec_b64 s[6:7], vcc
	s_cbranch_execnz .LBB123_67
; %bb.31:
	s_or_b64 exec, exec, s[6:7]
	s_and_saveexec_b64 s[6:7], s[0:1]
	s_cbranch_execnz .LBB123_68
.LBB123_32:
	s_or_b64 exec, exec, s[6:7]
	s_and_saveexec_b64 s[6:7], s[2:3]
	s_cbranch_execnz .LBB123_69
.LBB123_33:
	s_or_b64 exec, exec, s[6:7]
	s_and_saveexec_b64 s[6:7], s[4:5]
	s_cbranch_execz .LBB123_35
.LBB123_34:
	v_add_u32_e32 v6, v5, v4
	v_mov_b32_e32 v7, 0
	s_waitcnt lgkmcnt(0)
	v_lshl_add_u64 v[6:7], v[6:7], 2, s[12:13]
	global_store_dword v[6:7], v68, off
.LBB123_35:
	s_or_b64 exec, exec, s[6:7]
	v_add3_u32 v5, v1, s11, 24
	v_cmp_gt_u32_e64 s[6:7], s8, v5
	s_and_b64 exec, exec, s[6:7]
	s_cbranch_execz .LBB123_3
; %bb.36:
	v_mul_lo_u32 v5, v5, s10
	s_and_saveexec_b64 s[6:7], vcc
	s_cbranch_execnz .LBB123_70
; %bb.37:
	s_or_b64 exec, exec, s[6:7]
	s_and_saveexec_b64 s[6:7], s[0:1]
	s_cbranch_execnz .LBB123_71
.LBB123_38:
	s_or_b64 exec, exec, s[6:7]
	s_and_saveexec_b64 s[6:7], s[2:3]
	s_cbranch_execnz .LBB123_72
.LBB123_39:
	s_or_b64 exec, exec, s[6:7]
	s_and_saveexec_b64 s[6:7], s[4:5]
	s_cbranch_execz .LBB123_41
.LBB123_40:
	v_add_u32_e32 v6, v5, v4
	v_mov_b32_e32 v7, 0
	s_waitcnt lgkmcnt(0)
	v_lshl_add_u64 v[6:7], v[6:7], 2, s[12:13]
	global_store_dword v[6:7], v69, off
.LBB123_41:
	s_or_b64 exec, exec, s[6:7]
	v_add3_u32 v5, v1, s11, 32
	v_cmp_gt_u32_e64 s[6:7], s8, v5
	s_and_b64 exec, exec, s[6:7]
	s_cbranch_execz .LBB123_3
; %bb.42:
	v_mul_lo_u32 v5, v5, s10
	s_and_saveexec_b64 s[6:7], vcc
	s_cbranch_execnz .LBB123_73
; %bb.43:
	s_or_b64 exec, exec, s[6:7]
	s_and_saveexec_b64 s[6:7], s[0:1]
	s_cbranch_execnz .LBB123_74
.LBB123_44:
	s_or_b64 exec, exec, s[6:7]
	s_and_saveexec_b64 s[6:7], s[2:3]
	s_cbranch_execnz .LBB123_75
.LBB123_45:
	s_or_b64 exec, exec, s[6:7]
	s_and_saveexec_b64 s[6:7], s[4:5]
	s_cbranch_execz .LBB123_47
.LBB123_46:
	v_add_u32_e32 v6, v5, v4
	v_mov_b32_e32 v7, 0
	s_waitcnt lgkmcnt(0)
	v_lshl_add_u64 v[6:7], v[6:7], 2, s[12:13]
	global_store_dword v[6:7], v60, off
.LBB123_47:
	s_or_b64 exec, exec, s[6:7]
	v_add3_u32 v5, v1, s11, 40
	v_cmp_gt_u32_e64 s[6:7], s8, v5
	s_and_b64 exec, exec, s[6:7]
	s_cbranch_execz .LBB123_3
; %bb.48:
	v_mul_lo_u32 v5, v5, s10
	s_and_saveexec_b64 s[6:7], vcc
	s_cbranch_execnz .LBB123_76
; %bb.49:
	s_or_b64 exec, exec, s[6:7]
	s_and_saveexec_b64 s[6:7], s[0:1]
	s_cbranch_execnz .LBB123_77
.LBB123_50:
	s_or_b64 exec, exec, s[6:7]
	s_and_saveexec_b64 s[6:7], s[2:3]
	s_cbranch_execnz .LBB123_78
.LBB123_51:
	s_or_b64 exec, exec, s[6:7]
	s_and_saveexec_b64 s[6:7], s[4:5]
	s_cbranch_execz .LBB123_53
.LBB123_52:
	v_add_u32_e32 v6, v5, v4
	v_mov_b32_e32 v7, 0
	s_waitcnt lgkmcnt(0)
	v_lshl_add_u64 v[6:7], v[6:7], 2, s[12:13]
	global_store_dword v[6:7], v61, off
.LBB123_53:
	s_or_b64 exec, exec, s[6:7]
	v_add3_u32 v5, v1, s11, 48
	v_cmp_gt_u32_e64 s[6:7], s8, v5
	s_and_b64 exec, exec, s[6:7]
	s_cbranch_execz .LBB123_3
; %bb.54:
	v_mul_lo_u32 v5, v5, s10
	s_and_saveexec_b64 s[6:7], vcc
	s_cbranch_execnz .LBB123_79
; %bb.55:
	s_or_b64 exec, exec, s[6:7]
	s_and_saveexec_b64 s[6:7], s[0:1]
	s_cbranch_execnz .LBB123_80
.LBB123_56:
	s_or_b64 exec, exec, s[6:7]
	s_and_saveexec_b64 s[6:7], s[2:3]
	s_cbranch_execnz .LBB123_81
.LBB123_57:
	s_or_b64 exec, exec, s[6:7]
	s_and_saveexec_b64 s[6:7], s[4:5]
	s_cbranch_execz .LBB123_59
.LBB123_58:
	v_add_u32_e32 v6, v5, v4
	v_mov_b32_e32 v7, 0
	s_waitcnt lgkmcnt(0)
	v_lshl_add_u64 v[6:7], v[6:7], 2, s[12:13]
	global_store_dword v[6:7], v52, off
.LBB123_59:
	s_or_b64 exec, exec, s[6:7]
	v_add3_u32 v1, v1, s11, 56
	v_cmp_gt_u32_e64 s[6:7], s8, v1
	s_and_b64 exec, exec, s[6:7]
	s_cbranch_execz .LBB123_3
; %bb.60:
	v_mul_lo_u32 v1, v1, s10
	s_and_saveexec_b64 s[6:7], vcc
	s_cbranch_execnz .LBB123_82
; %bb.61:
	s_or_b64 exec, exec, s[6:7]
	s_and_saveexec_b64 s[6:7], s[0:1]
	s_cbranch_execnz .LBB123_83
.LBB123_62:
	s_or_b64 exec, exec, s[6:7]
	s_and_saveexec_b64 s[0:1], s[2:3]
	s_cbranch_execnz .LBB123_84
.LBB123_63:
	s_or_b64 exec, exec, s[0:1]
	s_and_b64 exec, exec, s[4:5]
	s_cbranch_execz .LBB123_3
	s_branch .LBB123_85
.LBB123_64:
	v_add_u32_e32 v6, v5, v0
	v_mov_b32_e32 v7, 0
	s_waitcnt lgkmcnt(0)
	v_lshl_add_u64 v[6:7], v[6:7], 2, s[12:13]
	global_store_dword v[6:7], v107, off
	s_or_b64 exec, exec, s[6:7]
	s_and_saveexec_b64 s[6:7], s[0:1]
	s_cbranch_execz .LBB123_26
.LBB123_65:
	v_add_u32_e32 v6, v5, v2
	v_mov_b32_e32 v7, 0
	s_waitcnt lgkmcnt(0)
	v_lshl_add_u64 v[6:7], v[6:7], 2, s[12:13]
	global_store_dword v[6:7], v111, off
	s_or_b64 exec, exec, s[6:7]
	s_and_saveexec_b64 s[6:7], s[2:3]
	s_cbranch_execz .LBB123_27
.LBB123_66:
	v_add_u32_e32 v6, v5, v3
	v_mov_b32_e32 v7, 0
	s_waitcnt lgkmcnt(0)
	v_lshl_add_u64 v[6:7], v[6:7], 2, s[12:13]
	global_store_dword v[6:7], v97, off
	s_or_b64 exec, exec, s[6:7]
	s_and_saveexec_b64 s[6:7], s[4:5]
	s_cbranch_execnz .LBB123_28
	s_branch .LBB123_29
.LBB123_67:
	v_add_u32_e32 v6, v5, v0
	v_mov_b32_e32 v7, 0
	s_waitcnt lgkmcnt(0)
	v_lshl_add_u64 v[6:7], v[6:7], 2, s[12:13]
	global_store_dword v[6:7], v74, off
	s_or_b64 exec, exec, s[6:7]
	s_and_saveexec_b64 s[6:7], s[0:1]
	s_cbranch_execz .LBB123_32
.LBB123_68:
	v_add_u32_e32 v6, v5, v2
	v_mov_b32_e32 v7, 0
	s_waitcnt lgkmcnt(0)
	v_lshl_add_u64 v[6:7], v[6:7], 2, s[12:13]
	global_store_dword v[6:7], v72, off
	s_or_b64 exec, exec, s[6:7]
	s_and_saveexec_b64 s[6:7], s[2:3]
	s_cbranch_execz .LBB123_33
.LBB123_69:
	v_add_u32_e32 v6, v5, v3
	v_mov_b32_e32 v7, 0
	s_waitcnt lgkmcnt(0)
	v_lshl_add_u64 v[6:7], v[6:7], 2, s[12:13]
	global_store_dword v[6:7], v70, off
	s_or_b64 exec, exec, s[6:7]
	s_and_saveexec_b64 s[6:7], s[4:5]
	s_cbranch_execnz .LBB123_34
	s_branch .LBB123_35
.LBB123_70:
	v_add_u32_e32 v6, v5, v0
	v_mov_b32_e32 v7, 0
	s_waitcnt lgkmcnt(0)
	v_lshl_add_u64 v[6:7], v[6:7], 2, s[12:13]
	global_store_dword v[6:7], v75, off
	s_or_b64 exec, exec, s[6:7]
	s_and_saveexec_b64 s[6:7], s[0:1]
	s_cbranch_execz .LBB123_38
.LBB123_71:
	v_add_u32_e32 v6, v5, v2
	v_mov_b32_e32 v7, 0
	s_waitcnt lgkmcnt(0)
	v_lshl_add_u64 v[6:7], v[6:7], 2, s[12:13]
	global_store_dword v[6:7], v73, off
	s_or_b64 exec, exec, s[6:7]
	s_and_saveexec_b64 s[6:7], s[2:3]
	s_cbranch_execz .LBB123_39
.LBB123_72:
	v_add_u32_e32 v6, v5, v3
	v_mov_b32_e32 v7, 0
	s_waitcnt lgkmcnt(0)
	v_lshl_add_u64 v[6:7], v[6:7], 2, s[12:13]
	global_store_dword v[6:7], v71, off
	s_or_b64 exec, exec, s[6:7]
	s_and_saveexec_b64 s[6:7], s[4:5]
	s_cbranch_execnz .LBB123_40
	s_branch .LBB123_41
.LBB123_73:
	v_add_u32_e32 v6, v5, v0
	v_mov_b32_e32 v7, 0
	s_waitcnt lgkmcnt(0)
	v_lshl_add_u64 v[6:7], v[6:7], 2, s[12:13]
	global_store_dword v[6:7], v66, off
	s_or_b64 exec, exec, s[6:7]
	s_and_saveexec_b64 s[6:7], s[0:1]
	s_cbranch_execz .LBB123_44
.LBB123_74:
	v_add_u32_e32 v6, v5, v2
	v_mov_b32_e32 v7, 0
	s_waitcnt lgkmcnt(0)
	v_lshl_add_u64 v[6:7], v[6:7], 2, s[12:13]
	global_store_dword v[6:7], v64, off
	s_or_b64 exec, exec, s[6:7]
	s_and_saveexec_b64 s[6:7], s[2:3]
	s_cbranch_execz .LBB123_45
.LBB123_75:
	v_add_u32_e32 v6, v5, v3
	v_mov_b32_e32 v7, 0
	s_waitcnt lgkmcnt(0)
	v_lshl_add_u64 v[6:7], v[6:7], 2, s[12:13]
	global_store_dword v[6:7], v62, off
	s_or_b64 exec, exec, s[6:7]
	s_and_saveexec_b64 s[6:7], s[4:5]
	s_cbranch_execnz .LBB123_46
	s_branch .LBB123_47
.LBB123_76:
	v_add_u32_e32 v6, v5, v0
	v_mov_b32_e32 v7, 0
	s_waitcnt lgkmcnt(0)
	v_lshl_add_u64 v[6:7], v[6:7], 2, s[12:13]
	global_store_dword v[6:7], v67, off
	s_or_b64 exec, exec, s[6:7]
	s_and_saveexec_b64 s[6:7], s[0:1]
	s_cbranch_execz .LBB123_50
.LBB123_77:
	v_add_u32_e32 v6, v5, v2
	v_mov_b32_e32 v7, 0
	s_waitcnt lgkmcnt(0)
	v_lshl_add_u64 v[6:7], v[6:7], 2, s[12:13]
	global_store_dword v[6:7], v65, off
	s_or_b64 exec, exec, s[6:7]
	s_and_saveexec_b64 s[6:7], s[2:3]
	s_cbranch_execz .LBB123_51
.LBB123_78:
	v_add_u32_e32 v6, v5, v3
	v_mov_b32_e32 v7, 0
	s_waitcnt lgkmcnt(0)
	v_lshl_add_u64 v[6:7], v[6:7], 2, s[12:13]
	global_store_dword v[6:7], v63, off
	s_or_b64 exec, exec, s[6:7]
	s_and_saveexec_b64 s[6:7], s[4:5]
	s_cbranch_execnz .LBB123_52
	s_branch .LBB123_53
.LBB123_79:
	v_add_u32_e32 v6, v5, v0
	v_mov_b32_e32 v7, 0
	s_waitcnt lgkmcnt(0)
	v_lshl_add_u64 v[6:7], v[6:7], 2, s[12:13]
	global_store_dword v[6:7], v58, off
	s_or_b64 exec, exec, s[6:7]
	s_and_saveexec_b64 s[6:7], s[0:1]
	s_cbranch_execz .LBB123_56
.LBB123_80:
	v_add_u32_e32 v6, v5, v2
	v_mov_b32_e32 v7, 0
	s_waitcnt lgkmcnt(0)
	v_lshl_add_u64 v[6:7], v[6:7], 2, s[12:13]
	global_store_dword v[6:7], v56, off
	s_or_b64 exec, exec, s[6:7]
	s_and_saveexec_b64 s[6:7], s[2:3]
	s_cbranch_execz .LBB123_57
.LBB123_81:
	v_add_u32_e32 v6, v5, v3
	v_mov_b32_e32 v7, 0
	s_waitcnt lgkmcnt(0)
	v_lshl_add_u64 v[6:7], v[6:7], 2, s[12:13]
	global_store_dword v[6:7], v54, off
	s_or_b64 exec, exec, s[6:7]
	s_and_saveexec_b64 s[6:7], s[4:5]
	s_cbranch_execnz .LBB123_58
	s_branch .LBB123_59
.LBB123_82:
	v_add_u32_e32 v6, v1, v0
	v_mov_b32_e32 v7, 0
	s_waitcnt lgkmcnt(0)
	v_lshl_add_u64 v[6:7], v[6:7], 2, s[12:13]
	global_store_dword v[6:7], v59, off
	s_or_b64 exec, exec, s[6:7]
	s_and_saveexec_b64 s[6:7], s[0:1]
	s_cbranch_execz .LBB123_62
.LBB123_83:
	v_add_u32_e32 v6, v1, v2
	v_mov_b32_e32 v7, 0
	s_waitcnt lgkmcnt(0)
	v_lshl_add_u64 v[6:7], v[6:7], 2, s[12:13]
	global_store_dword v[6:7], v57, off
	s_or_b64 exec, exec, s[6:7]
	s_and_saveexec_b64 s[0:1], s[2:3]
	s_cbranch_execz .LBB123_63
.LBB123_84:
	v_add_u32_e32 v2, v1, v3
	v_mov_b32_e32 v3, 0
	s_waitcnt lgkmcnt(0)
	v_lshl_add_u64 v[2:3], v[2:3], 2, s[12:13]
	global_store_dword v[2:3], v55, off
	s_or_b64 exec, exec, s[0:1]
	s_and_b64 exec, exec, s[4:5]
	s_cbranch_execz .LBB123_3
.LBB123_85:
	v_add_u32_e32 v0, v1, v4
	v_mov_b32_e32 v1, 0
	s_waitcnt lgkmcnt(0)
	v_lshl_add_u64 v[0:1], v[0:1], 2, s[12:13]
	global_store_dword v[0:1], v53, off
	s_endpgm
	.section	.rodata,"a",@progbits
	.p2align	6, 0x0
	.amdhsa_kernel _ZL12mul_mat_q5_1IfLb0EEvPKvS1_PT_iiiii
		.amdhsa_group_segment_fixed_size 46720
		.amdhsa_private_segment_fixed_size 0
		.amdhsa_kernarg_size 44
		.amdhsa_user_sgpr_count 2
		.amdhsa_user_sgpr_dispatch_ptr 0
		.amdhsa_user_sgpr_queue_ptr 0
		.amdhsa_user_sgpr_kernarg_segment_ptr 1
		.amdhsa_user_sgpr_dispatch_id 0
		.amdhsa_user_sgpr_kernarg_preload_length 0
		.amdhsa_user_sgpr_kernarg_preload_offset 0
		.amdhsa_user_sgpr_private_segment_size 0
		.amdhsa_uses_dynamic_stack 0
		.amdhsa_enable_private_segment 0
		.amdhsa_system_sgpr_workgroup_id_x 1
		.amdhsa_system_sgpr_workgroup_id_y 1
		.amdhsa_system_sgpr_workgroup_id_z 0
		.amdhsa_system_sgpr_workgroup_info 0
		.amdhsa_system_vgpr_workitem_id 1
		.amdhsa_next_free_vgpr 246
		.amdhsa_next_free_sgpr 96
		.amdhsa_accum_offset 248
		.amdhsa_reserve_vcc 1
		.amdhsa_float_round_mode_32 0
		.amdhsa_float_round_mode_16_64 0
		.amdhsa_float_denorm_mode_32 3
		.amdhsa_float_denorm_mode_16_64 3
		.amdhsa_dx10_clamp 1
		.amdhsa_ieee_mode 1
		.amdhsa_fp16_overflow 0
		.amdhsa_tg_split 0
		.amdhsa_exception_fp_ieee_invalid_op 0
		.amdhsa_exception_fp_denorm_src 0
		.amdhsa_exception_fp_ieee_div_zero 0
		.amdhsa_exception_fp_ieee_overflow 0
		.amdhsa_exception_fp_ieee_underflow 0
		.amdhsa_exception_fp_ieee_inexact 0
		.amdhsa_exception_int_div_zero 0
	.end_amdhsa_kernel
	.section	.text._ZL12mul_mat_q5_1IfLb0EEvPKvS1_PT_iiiii,"axG",@progbits,_ZL12mul_mat_q5_1IfLb0EEvPKvS1_PT_iiiii,comdat
.Lfunc_end123:
	.size	_ZL12mul_mat_q5_1IfLb0EEvPKvS1_PT_iiiii, .Lfunc_end123-_ZL12mul_mat_q5_1IfLb0EEvPKvS1_PT_iiiii
                                        ; -- End function
	.set _ZL12mul_mat_q5_1IfLb0EEvPKvS1_PT_iiiii.num_vgpr, 246
	.set _ZL12mul_mat_q5_1IfLb0EEvPKvS1_PT_iiiii.num_agpr, 0
	.set _ZL12mul_mat_q5_1IfLb0EEvPKvS1_PT_iiiii.numbered_sgpr, 18
	.set _ZL12mul_mat_q5_1IfLb0EEvPKvS1_PT_iiiii.num_named_barrier, 0
	.set _ZL12mul_mat_q5_1IfLb0EEvPKvS1_PT_iiiii.private_seg_size, 0
	.set _ZL12mul_mat_q5_1IfLb0EEvPKvS1_PT_iiiii.uses_vcc, 1
	.set _ZL12mul_mat_q5_1IfLb0EEvPKvS1_PT_iiiii.uses_flat_scratch, 0
	.set _ZL12mul_mat_q5_1IfLb0EEvPKvS1_PT_iiiii.has_dyn_sized_stack, 0
	.set _ZL12mul_mat_q5_1IfLb0EEvPKvS1_PT_iiiii.has_recursion, 0
	.set _ZL12mul_mat_q5_1IfLb0EEvPKvS1_PT_iiiii.has_indirect_call, 0
	.section	.AMDGPU.csdata,"",@progbits
; Kernel info:
; codeLenInByte = 12504
; TotalNumSgprs: 24
; NumVgprs: 246
; NumAgprs: 0
; TotalNumVgprs: 246
; ScratchSize: 0
; MemoryBound: 0
; FloatMode: 240
; IeeeMode: 1
; LDSByteSize: 46720 bytes/workgroup (compile time only)
; SGPRBlocks: 12
; VGPRBlocks: 30
; NumSGPRsForWavesPerEU: 102
; NumVGPRsForWavesPerEU: 246
; AccumOffset: 248
; Occupancy: 2
; WaveLimiterHint : 0
; COMPUTE_PGM_RSRC2:SCRATCH_EN: 0
; COMPUTE_PGM_RSRC2:USER_SGPR: 2
; COMPUTE_PGM_RSRC2:TRAP_HANDLER: 0
; COMPUTE_PGM_RSRC2:TGID_X_EN: 1
; COMPUTE_PGM_RSRC2:TGID_Y_EN: 1
; COMPUTE_PGM_RSRC2:TGID_Z_EN: 0
; COMPUTE_PGM_RSRC2:TIDIG_COMP_CNT: 1
; COMPUTE_PGM_RSRC3_GFX90A:ACCUM_OFFSET: 61
; COMPUTE_PGM_RSRC3_GFX90A:TG_SPLIT: 0
	.section	.text._ZL12mul_mat_q5_1IfLb1EEvPKvS1_PT_iiiii,"axG",@progbits,_ZL12mul_mat_q5_1IfLb1EEvPKvS1_PT_iiiii,comdat
	.globl	_ZL12mul_mat_q5_1IfLb1EEvPKvS1_PT_iiiii ; -- Begin function _ZL12mul_mat_q5_1IfLb1EEvPKvS1_PT_iiiii
	.p2align	8
	.type	_ZL12mul_mat_q5_1IfLb1EEvPKvS1_PT_iiiii,@function
_ZL12mul_mat_q5_1IfLb1EEvPKvS1_PT_iiiii: ; @_ZL12mul_mat_q5_1IfLb1EEvPKvS1_PT_iiiii
; %bb.0:
	s_load_dwordx4 s[8:11], s[0:1], 0x18
	s_load_dword s14, s[0:1], 0x28
	s_lshl_b32 s15, s3, 6
	v_bfe_u32 v81, v0, 10, 10
	s_waitcnt lgkmcnt(0)
	s_cmp_gt_i32 s8, 31
	s_cbranch_scc1 .LBB124_4
; %bb.1:
	v_bfe_u32 v1, v0, 10, 10
	v_and_b32_e32 v77, 0x3ff, v0
	v_add_u32_e32 v83, s15, v1
	s_load_dwordx2 s[12:13], s[0:1], 0x10
	s_lshl_b32 s4, s2, 7
	s_cbranch_execz .LBB124_5
; %bb.2:
	v_mov_b32_e32 v52, 0
	v_mov_b32_e32 v53, v52
	v_mov_b64_e32 v[60:61], v[52:53]
	v_mov_b64_e32 v[68:69], v[52:53]
	;; [unrolled: 1-line block ×15, first 2 shown]
	v_cmp_gt_u32_e32 vcc, s10, v83
	s_and_saveexec_b64 s[0:1], vcc
	s_cbranch_execnz .LBB124_15
.LBB124_3:
	s_endpgm
.LBB124_4:
                                        ; implicit-def: $vgpr1
                                        ; implicit-def: $vgpr77
                                        ; implicit-def: $vgpr83
	s_load_dwordx2 s[12:13], s[0:1], 0x10
	s_lshl_b32 s4, s2, 7
.LBB124_5:
	s_ashr_i32 s5, s8, 31
	s_load_dwordx4 s[0:3], s[0:1], 0x0
	s_lshr_b32 s5, s5, 27
	s_ashr_i32 s6, s11, 31
	s_add_i32 s5, s8, s5
	s_lshr_b32 s6, s6, 27
	s_ashr_i32 s5, s5, 5
	s_add_i32 s6, s11, s6
	s_ashr_i32 s11, s6, 5
	s_mul_i32 s6, s5, s4
	s_mul_hi_i32 s7, s6, 24
	s_mul_i32 s6, s6, 24
	s_waitcnt lgkmcnt(0)
	s_add_u32 s6, s0, s6
	s_addc_u32 s7, s1, s7
	s_not_b32 s0, s4
	s_add_i32 s1, s9, s0
	v_and_b32_e32 v77, 0x3ff, v0
	v_min_i32_e32 v1, s1, v81
	v_lshlrev_b32_e32 v4, 3, v77
	s_movk_i32 s0, 0x104
	v_mul_lo_u32 v80, v1, s5
	v_mad_u64_u32 v[82:83], s[8:9], v1, s0, v[4:5]
	v_add_u32_e32 v1, 8, v81
	v_min_i32_e32 v3, s1, v1
	v_add_u32_e32 v8, 16, v81
	v_mul_lo_u32 v84, v3, s5
	v_mad_u64_u32 v[86:87], s[8:9], v3, s0, v[4:5]
	v_min_i32_e32 v3, s1, v8
	v_add_u32_e32 v9, 24, v81
	v_mul_lo_u32 v88, v3, s5
	v_mad_u64_u32 v[90:91], s[8:9], v3, s0, v[4:5]
	;; [unrolled: 4-line block ×6, first 2 shown]
	v_min_i32_e32 v3, s1, v13
	v_mul_lo_u32 v108, v3, s5
	v_mad_u64_u32 v[110:111], s[8:9], v3, s0, v[4:5]
	v_add_u32_e32 v3, 64, v81
	v_min_i32_e32 v3, s1, v3
	v_mul_lo_u32 v112, v3, s5
	v_mad_u64_u32 v[114:115], s[8:9], v3, s0, v[4:5]
	v_add_u32_e32 v3, 0x48, v81
	;; [unrolled: 4-line block ×8, first 2 shown]
	v_min_i32_e32 v3, s1, v3
	v_bfe_u32 v85, v0, 3, 7
	v_mul_lo_u32 v144, v3, s5
	v_mad_u64_u32 v[146:147], s[8:9], v3, s0, v[4:5]
	v_lshl_add_u32 v3, v81, 2, v85
	v_min_i32_e32 v4, s1, v3
	v_ashrrev_i32_e32 v5, 31, v4
	v_lshrrev_b32_e32 v5, 30, v5
	v_and_b32_e32 v150, 7, v0
	v_mul_lo_u32 v154, v4, s5
	v_add_u32_e32 v5, v4, v5
	v_lshlrev_b32_e32 v15, 5, v4
	v_add_u32_e32 v4, 32, v3
	v_and_b32_e32 v5, -4, v5
	v_lshlrev_b32_e32 v6, 2, v150
	s_mov_b32 s8, 0xa200
	v_min_i32_e32 v4, s1, v4
	v_add3_u32 v14, v5, v6, s8
	v_ashrrev_i32_e32 v5, 31, v4
	v_lshrrev_b32_e32 v5, 30, v5
	v_mul_lo_u32 v156, v4, s5
	v_add_u32_e32 v5, v4, v5
	v_lshlrev_b32_e32 v17, 5, v4
	v_add_u32_e32 v4, 64, v3
	v_and_b32_e32 v5, -4, v5
	v_min_i32_e32 v4, s1, v4
	v_add3_u32 v16, v5, v6, s8
	v_ashrrev_i32_e32 v5, 31, v4
	v_add_u32_e32 v3, 0x60, v3
	v_lshrrev_b32_e32 v5, 30, v5
	v_min_i32_e32 v3, s1, v3
	v_mul_lo_u32 v158, v4, s5
	v_add_u32_e32 v5, v4, v5
	v_lshlrev_b32_e32 v19, 5, v4
	v_ashrrev_i32_e32 v4, 31, v3
	v_lshrrev_b32_e32 v4, 30, v4
	v_bfe_u32 v76, v0, 2, 8
	v_mul_lo_u32 v160, v3, s5
	v_add_u32_e32 v4, v3, v4
	v_lshlrev_b32_e32 v21, 5, v3
	v_and_b32_e32 v3, 31, v0
	v_mov_b32_e32 v22, 0x8200
	v_lshl_or_b32 v22, v3, 2, v22
	v_lshl_add_u32 v3, v81, 3, v76
	v_and_b32_e32 v3, 63, v3
	v_and_b32_e32 v2, 3, v0
	s_add_i32 s1, s10, -1
	v_or_b32_e32 v23, s15, v3
	v_lshlrev_b32_e32 v78, 2, v2
	v_and_b32_e32 v5, -4, v5
	v_and_b32_e32 v4, -4, v4
	v_min_i32_e32 v23, s1, v23
	v_add3_u32 v18, v5, v6, s8
	v_add3_u32 v20, v4, v6, s8
	v_add_u32_e32 v83, s15, v81
	v_mad_u64_u32 v[162:163], s[8:9], v23, s11, v[2:3]
	v_lshl_or_b32 v2, v3, 4, v78
	v_cvt_f64_i32_e32 v[4:5], s1
	v_add_u32_e32 v87, 0xb280, v2
	v_cvt_f64_u32_e32 v[2:3], v83
	v_min_f64 v[2:3], v[2:3], v[4:5]
	v_cvt_i32_f64_e32 v2, v[2:3]
	v_mul_lo_u32 v89, s11, v2
	v_add_u32_e32 v2, 8, v83
	v_cvt_f64_u32_e32 v[2:3], v2
	v_min_f64 v[2:3], v[2:3], v[4:5]
	v_cvt_i32_f64_e32 v2, v[2:3]
	v_mul_lo_u32 v91, s11, v2
	;; [unrolled: 5-line block ×7, first 2 shown]
	v_add_u32_e32 v2, 56, v83
	v_mov_b32_e32 v79, 0
	v_lshlrev_b32_e32 v6, 2, v77
	v_cvt_f64_u32_e32 v[2:3], v2
	v_and_b32_e32 v6, 28, v6
	v_mov_b32_e32 v7, v79
	v_min_f64 v[2:3], v[2:3], v[4:5]
	v_cvt_i32_f64_e32 v2, v[2:3]
	v_add_u32_e32 v3, 32, v77
	v_add_u32_e32 v4, 64, v77
	v_add_u32_e32 v5, 0x60, v77
	v_lshl_add_u64 v[164:165], s[2:3], 0, v[6:7]
	v_lshlrev_b32_e32 v6, 5, v77
	v_and_b32_e32 v0, 0xfc, v0
	v_lshrrev_b32_e32 v107, 3, v3
	v_and_b32_e32 v5, 0x1fc, v5
	v_and_b32_e32 v4, 0x1fc, v4
	;; [unrolled: 1-line block ×3, first 2 shown]
	v_add_u32_e32 v0, v6, v0
	v_lshlrev_b32_e32 v23, 7, v81
	v_lshlrev_b32_e32 v1, 7, v1
	;; [unrolled: 1-line block ×7, first 2 shown]
	v_mul_lo_u32 v103, s11, v2
	v_lshlrev_b32_e32 v2, 7, v13
	v_add_u32_e32 v5, v6, v5
	v_add_u32_e32 v4, v6, v4
	;; [unrolled: 1-line block ×4, first 2 shown]
	v_mov_b32_e32 v6, 0xb280
	v_add_u32_e32 v129, 0xa210, v0
	v_mov_b32_e32 v0, 0x80
	v_mov_b32_e32 v148, v79
	;; [unrolled: 1-line block ×3, first 2 shown]
	s_add_i32 s8, s5, 3
	v_mul_u32_u24_e32 v105, 0x104, v77
	v_add_u32_e32 v109, 0xae00, v5
	v_add_u32_e32 v111, 0xaa00, v4
	;; [unrolled: 1-line block ×3, first 2 shown]
	v_lshl_add_u32 v117, v81, 4, v6
	v_add_u32_e32 v119, 0x8200, v23
	v_add_u32_e32 v121, 0xae10, v5
	;; [unrolled: 1-line block ×4, first 2 shown]
	v_mad_u32_u24 v131, v77, s0, v0
	s_mov_b32 s9, 0
	v_add_u32_e32 v133, v14, v15
	v_add_u32_e32 v137, v16, v17
	;; [unrolled: 1-line block ×12, first 2 shown]
	v_mov_b64_e32 v[74:75], v[148:149]
	v_mov_b64_e32 v[66:67], v[148:149]
	;; [unrolled: 1-line block ×15, first 2 shown]
	s_branch .LBB124_7
.LBB124_6:                              ;   in Loop: Header=BB124_7 Depth=1
	s_add_i32 s9, s9, 8
	s_add_i32 s8, s8, -8
	s_cmp_ge_i32 s9, s5
	s_cbranch_scc1 .LBB124_14
.LBB124_7:                              ; =>This Loop Header: Depth=1
                                        ;     Child Loop BB124_9 Depth 2
                                        ;     Child Loop BB124_12 Depth 2
	s_mul_i32 s0, s9, 24
	s_mul_hi_u32 s1, s9, 24
	s_add_u32 s0, s6, s0
	s_addc_u32 s1, s7, s1
	v_mad_u64_u32 v[0:1], s[16:17], v76, 24, s[0:1]
	v_mad_i64_i32 v[2:3], s[16:17], v80, 24, v[0:1]
	v_mad_i64_i32 v[10:11], s[16:17], v92, 24, v[0:1]
	v_lshl_add_u64 v[4:5], v[2:3], 0, v[78:79]
	v_mad_i64_i32 v[6:7], s[16:17], v84, 24, v[0:1]
	v_mad_i64_i32 v[8:9], s[16:17], v88, 24, v[0:1]
	global_load_dword v18, v[10:11], off offset:4
	global_load_dword v19, v[8:9], off offset:4
	;; [unrolled: 1-line block ×5, first 2 shown]
	v_lshl_add_u64 v[2:3], v[6:7], 0, v[78:79]
	global_load_dword v23, v[2:3], off offset:8
	v_lshl_add_u64 v[2:3], v[8:9], 0, v[78:79]
	v_lshl_add_u64 v[4:5], v[10:11], 0, v[78:79]
	global_load_dword v24, v[2:3], off offset:8
	global_load_dword v25, v[4:5], off offset:8
	v_mad_i64_i32 v[2:3], s[16:17], v96, 24, v[0:1]
	v_mad_i64_i32 v[4:5], s[16:17], v100, 24, v[0:1]
	;; [unrolled: 1-line block ×4, first 2 shown]
	v_lshl_add_u64 v[10:11], v[2:3], 0, v[78:79]
	v_lshl_add_u64 v[12:13], v[4:5], 0, v[78:79]
	;; [unrolled: 1-line block ×4, first 2 shown]
	global_load_dword v10, v[10:11], off offset:8
	s_nop 0
	global_load_dword v11, v[12:13], off offset:8
	global_load_dword v26, v[14:15], off offset:8
	;; [unrolled: 1-line block ×5, first 2 shown]
	s_nop 0
	global_load_dword v4, v[4:5], off offset:4
	s_nop 0
	global_load_dword v2, v[2:3], off offset:4
	s_cmp_gt_u32 s8, 3
	s_waitcnt vmcnt(13)
	v_ashrrev_i32_e32 v7, v78, v20
	s_waitcnt vmcnt(12)
	v_ashrrev_i32_e32 v3, v78, v21
	s_waitcnt vmcnt(11)
	v_lshrrev_b32_e32 v5, 4, v22
	v_lshlrev_b32_e32 v12, 4, v3
	v_lshrrev_b32_e32 v14, 12, v3
	v_and_b32_e32 v6, 0xf0f0f0f, v22
	v_lshlrev_b32_e32 v13, 11, v3
	v_lshrrev_b32_e32 v15, 5, v3
	v_and_b32_e32 v5, 0xf0f0f0f, v5
	v_and_b32_e32 v14, 16, v14
	v_and_b32_e32 v12, 16, v12
	v_lshlrev_b32_e32 v16, 2, v3
	v_lshlrev_b32_e32 v17, 18, v3
	v_and_b32_e32 v15, 0x1000, v15
	v_and_b32_e32 v13, 0x1000, v13
	v_or_b32_e32 v5, v14, v5
	v_or_b32_e32 v6, v12, v6
	s_waitcnt vmcnt(10)
	v_lshrrev_b32_e32 v8, 4, v23
	v_and_b32_e32 v9, 0xf0f0f0f, v23
	v_lshlrev_b32_e32 v20, 9, v3
	v_lshlrev_b32_e32 v3, 25, v3
	;; [unrolled: 1-line block ×3, first 2 shown]
	v_lshrrev_b32_e32 v23, 12, v7
	v_and_b32_e32 v16, 0x100000, v16
	v_and_b32_e32 v17, 0x100000, v17
	v_or_b32_e32 v5, v5, v15
	v_or_b32_e32 v6, v6, v13
	v_lshlrev_b32_e32 v22, 11, v7
	v_lshrrev_b32_e32 v30, 5, v7
	v_and_b32_e32 v8, 0xf0f0f0f, v8
	v_and_b32_e32 v20, 0x10000000, v20
	;; [unrolled: 1-line block ×5, first 2 shown]
	v_or_b32_e32 v5, v5, v16
	v_or_b32_e32 v6, v6, v17
	v_lshlrev_b32_e32 v31, 2, v7
	v_lshlrev_b32_e32 v32, 18, v7
	v_and_b32_e32 v30, 0x1000, v30
	v_and_b32_e32 v22, 0x1000, v22
	v_or_b32_e32 v8, v23, v8
	v_or_b32_e32 v9, v21, v9
	;; [unrolled: 1-line block ×4, first 2 shown]
	v_and_b32_e32 v31, 0x100000, v31
	v_or_b32_e32 v8, v8, v30
	v_or_b32_e32 v9, v9, v22
	ds_write2_b32 v82, v3, v5 offset1:1
	v_and_b32_e32 v3, 0x100000, v32
	v_lshlrev_b32_e32 v6, 9, v7
	v_lshlrev_b32_e32 v7, 25, v7
	v_or_b32_e32 v5, v8, v31
	v_or_b32_e32 v3, v9, v3
	v_and_b32_e32 v6, 0x10000000, v6
	v_and_b32_e32 v7, 0x10000000, v7
	v_or_b32_e32 v5, v5, v6
	v_or_b32_e32 v3, v3, v7
	ds_write2_b32 v86, v3, v5 offset1:1
	v_ashrrev_i32_e32 v3, v78, v19
	v_lshlrev_b32_e32 v5, 4, v3
	v_lshlrev_b32_e32 v6, 11, v3
	s_waitcnt vmcnt(9)
	v_lshrrev_b32_e32 v7, 4, v24
	v_lshrrev_b32_e32 v8, 12, v3
	v_and_b32_e32 v12, 0xf0f0f0f, v24
	v_and_b32_e32 v5, 16, v5
	v_lshrrev_b32_e32 v9, 5, v3
	v_and_b32_e32 v7, 0xf0f0f0f, v7
	v_and_b32_e32 v8, 16, v8
	v_or_b32_e32 v5, v5, v12
	v_and_b32_e32 v6, 0x1000, v6
	v_or_b32_e32 v7, v8, v7
	;; [unrolled: 2-line block ×3, first 2 shown]
	v_lshlrev_b32_e32 v6, 2, v3
	v_or_b32_e32 v7, v7, v8
	v_lshlrev_b32_e32 v8, 18, v3
	v_and_b32_e32 v6, 0x100000, v6
	v_and_b32_e32 v8, 0x100000, v8
	v_or_b32_e32 v6, v7, v6
	v_lshlrev_b32_e32 v7, 9, v3
	v_lshlrev_b32_e32 v3, 25, v3
	v_or_b32_e32 v5, v5, v8
	v_and_b32_e32 v7, 0x10000000, v7
	v_and_b32_e32 v3, 0x10000000, v3
	v_or_b32_e32 v6, v6, v7
	v_or_b32_e32 v3, v5, v3
	ds_write2_b32 v90, v3, v6 offset1:1
	v_ashrrev_i32_e32 v3, v78, v18
	v_lshlrev_b32_e32 v5, 4, v3
	v_lshlrev_b32_e32 v6, 11, v3
	s_waitcnt vmcnt(8)
	v_lshrrev_b32_e32 v7, 4, v25
	v_lshrrev_b32_e32 v8, 12, v3
	v_and_b32_e32 v12, 0xf0f0f0f, v25
	v_and_b32_e32 v5, 16, v5
	v_lshrrev_b32_e32 v9, 5, v3
	v_and_b32_e32 v7, 0xf0f0f0f, v7
	v_and_b32_e32 v8, 16, v8
	v_or_b32_e32 v5, v5, v12
	v_and_b32_e32 v6, 0x1000, v6
	v_or_b32_e32 v7, v8, v7
	;; [unrolled: 2-line block ×3, first 2 shown]
	v_lshlrev_b32_e32 v6, 2, v3
	v_or_b32_e32 v7, v7, v8
	v_lshlrev_b32_e32 v8, 18, v3
	v_and_b32_e32 v6, 0x100000, v6
	v_and_b32_e32 v8, 0x100000, v8
	v_or_b32_e32 v6, v7, v6
	v_lshlrev_b32_e32 v7, 9, v3
	v_lshlrev_b32_e32 v3, 25, v3
	v_or_b32_e32 v5, v5, v8
	v_and_b32_e32 v7, 0x10000000, v7
	v_and_b32_e32 v3, 0x10000000, v3
	v_or_b32_e32 v6, v6, v7
	v_or_b32_e32 v3, v5, v3
	s_waitcnt vmcnt(0)
	v_ashrrev_i32_e32 v2, v78, v2
	ds_write2_b32 v94, v3, v6 offset1:1
	v_lshlrev_b32_e32 v3, 4, v2
	v_lshlrev_b32_e32 v5, 11, v2
	v_lshrrev_b32_e32 v6, 4, v10
	v_lshrrev_b32_e32 v7, 12, v2
	v_and_b32_e32 v9, 0xf0f0f0f, v10
	v_and_b32_e32 v3, 16, v3
	v_lshrrev_b32_e32 v8, 5, v2
	v_and_b32_e32 v6, 0xf0f0f0f, v6
	v_and_b32_e32 v7, 16, v7
	v_or_b32_e32 v3, v3, v9
	v_and_b32_e32 v5, 0x1000, v5
	v_or_b32_e32 v6, v7, v6
	;; [unrolled: 2-line block ×3, first 2 shown]
	v_lshlrev_b32_e32 v5, 2, v2
	v_or_b32_e32 v6, v6, v7
	v_lshlrev_b32_e32 v7, 18, v2
	v_and_b32_e32 v5, 0x100000, v5
	v_and_b32_e32 v7, 0x100000, v7
	v_or_b32_e32 v5, v6, v5
	v_lshlrev_b32_e32 v6, 9, v2
	v_lshlrev_b32_e32 v2, 25, v2
	v_or_b32_e32 v3, v3, v7
	v_and_b32_e32 v6, 0x10000000, v6
	v_and_b32_e32 v2, 0x10000000, v2
	v_or_b32_e32 v5, v5, v6
	v_or_b32_e32 v2, v3, v2
	ds_write2_b32 v98, v2, v5 offset1:1
	v_lshrrev_b32_e32 v2, 4, v11
	v_and_b32_e32 v23, 0xf0f0f0f, v2
	v_mad_i64_i32 v[2:3], s[16:17], v112, 24, v[0:1]
	v_mad_i64_i32 v[14:15], s[16:17], v126, 24, v[0:1]
	v_ashrrev_i32_e32 v18, v78, v4
	v_and_b32_e32 v24, 0xf0f0f0f, v11
	v_lshl_add_u64 v[4:5], v[2:3], 0, v[78:79]
	v_mad_i64_i32 v[6:7], s[16:17], v116, 24, v[0:1]
	v_mad_i64_i32 v[10:11], s[16:17], v120, 24, v[0:1]
	v_lshl_add_u64 v[16:17], v[14:15], 0, v[78:79]
	v_lshl_add_u64 v[8:9], v[6:7], 0, v[78:79]
	;; [unrolled: 1-line block ×3, first 2 shown]
	global_load_dword v4, v[4:5], off offset:8
	s_nop 0
	global_load_dword v5, v[8:9], off offset:8
	global_load_dword v25, v[12:13], off offset:8
	s_nop 0
	global_load_dword v16, v[16:17], off offset:8
	s_nop 0
	global_load_dword v17, v[14:15], off offset:4
	global_load_dword v30, v[10:11], off offset:4
	s_nop 0
	global_load_dword v6, v[6:7], off offset:4
	s_nop 0
	global_load_dword v2, v[2:3], off offset:4
	v_lshlrev_b32_e32 v19, 4, v18
	v_lshrrev_b32_e32 v21, 12, v18
	v_lshlrev_b32_e32 v20, 11, v18
	v_lshrrev_b32_e32 v22, 5, v18
	v_and_b32_e32 v3, 16, v21
	v_and_b32_e32 v7, 16, v19
	v_or_b32_e32 v3, v3, v23
	v_or_b32_e32 v7, v7, v24
	v_and_b32_e32 v8, 0x1000, v22
	v_and_b32_e32 v9, 0x1000, v20
	v_or_b32_e32 v3, v3, v8
	v_or_b32_e32 v7, v7, v9
	v_lshlrev_b32_e32 v8, 2, v18
	v_lshlrev_b32_e32 v9, 18, v18
	v_and_b32_e32 v8, 0x100000, v8
	v_and_b32_e32 v9, 0x100000, v9
	v_or_b32_e32 v3, v3, v8
	v_or_b32_e32 v7, v7, v9
	v_lshlrev_b32_e32 v8, 9, v18
	v_lshlrev_b32_e32 v9, 25, v18
	v_and_b32_e32 v8, 0x10000000, v8
	v_and_b32_e32 v9, 0x10000000, v9
	v_or_b32_e32 v3, v3, v8
	v_or_b32_e32 v7, v7, v9
	ds_write2_b32 v102, v7, v3 offset1:1
	v_ashrrev_i32_e32 v3, v78, v29
	v_lshlrev_b32_e32 v7, 4, v3
	v_lshlrev_b32_e32 v8, 11, v3
	v_lshrrev_b32_e32 v9, 4, v26
	v_lshrrev_b32_e32 v10, 12, v3
	v_and_b32_e32 v12, 0xf0f0f0f, v26
	v_and_b32_e32 v7, 16, v7
	v_lshrrev_b32_e32 v11, 5, v3
	v_and_b32_e32 v9, 0xf0f0f0f, v9
	v_and_b32_e32 v10, 16, v10
	v_or_b32_e32 v7, v7, v12
	v_and_b32_e32 v8, 0x1000, v8
	v_or_b32_e32 v9, v10, v9
	;; [unrolled: 2-line block ×3, first 2 shown]
	v_lshlrev_b32_e32 v8, 2, v3
	v_or_b32_e32 v9, v9, v10
	v_lshlrev_b32_e32 v10, 18, v3
	v_and_b32_e32 v8, 0x100000, v8
	v_and_b32_e32 v10, 0x100000, v10
	v_or_b32_e32 v8, v9, v8
	v_lshlrev_b32_e32 v9, 9, v3
	v_lshlrev_b32_e32 v3, 25, v3
	v_or_b32_e32 v7, v7, v10
	v_and_b32_e32 v9, 0x10000000, v9
	v_and_b32_e32 v3, 0x10000000, v3
	v_or_b32_e32 v8, v8, v9
	v_or_b32_e32 v3, v7, v3
	ds_write2_b32 v106, v3, v8 offset1:1
	v_ashrrev_i32_e32 v3, v78, v28
	v_lshlrev_b32_e32 v7, 4, v3
	v_lshlrev_b32_e32 v8, 11, v3
	v_lshrrev_b32_e32 v9, 4, v27
	v_lshrrev_b32_e32 v10, 12, v3
	v_and_b32_e32 v12, 0xf0f0f0f, v27
	v_and_b32_e32 v7, 16, v7
	v_lshrrev_b32_e32 v11, 5, v3
	v_and_b32_e32 v9, 0xf0f0f0f, v9
	v_and_b32_e32 v10, 16, v10
	v_or_b32_e32 v7, v7, v12
	v_and_b32_e32 v8, 0x1000, v8
	v_or_b32_e32 v9, v10, v9
	;; [unrolled: 2-line block ×3, first 2 shown]
	v_lshlrev_b32_e32 v8, 2, v3
	v_or_b32_e32 v9, v9, v10
	v_lshlrev_b32_e32 v10, 18, v3
	v_and_b32_e32 v8, 0x100000, v8
	v_and_b32_e32 v10, 0x100000, v10
	v_or_b32_e32 v8, v9, v8
	v_lshlrev_b32_e32 v9, 9, v3
	v_lshlrev_b32_e32 v3, 25, v3
	v_or_b32_e32 v7, v7, v10
	v_and_b32_e32 v9, 0x10000000, v9
	v_and_b32_e32 v3, 0x10000000, v3
	v_or_b32_e32 v8, v8, v9
	v_or_b32_e32 v3, v7, v3
	s_waitcnt vmcnt(0)
	v_ashrrev_i32_e32 v2, v78, v2
	ds_write2_b32 v110, v3, v8 offset1:1
	v_lshlrev_b32_e32 v3, 4, v2
	v_lshlrev_b32_e32 v7, 11, v2
	v_lshrrev_b32_e32 v8, 4, v4
	v_lshrrev_b32_e32 v9, 12, v2
	v_and_b32_e32 v4, 0xf0f0f0f, v4
	v_and_b32_e32 v3, 16, v3
	v_lshrrev_b32_e32 v10, 5, v2
	v_and_b32_e32 v8, 0xf0f0f0f, v8
	v_and_b32_e32 v9, 16, v9
	v_or_b32_e32 v3, v3, v4
	v_and_b32_e32 v7, 0x1000, v7
	v_or_b32_e32 v8, v9, v8
	;; [unrolled: 2-line block ×3, first 2 shown]
	v_lshlrev_b32_e32 v7, 2, v2
	v_or_b32_e32 v4, v8, v4
	v_lshlrev_b32_e32 v8, 18, v2
	v_and_b32_e32 v7, 0x100000, v7
	v_and_b32_e32 v8, 0x100000, v8
	v_or_b32_e32 v4, v4, v7
	v_lshlrev_b32_e32 v7, 9, v2
	v_lshlrev_b32_e32 v2, 25, v2
	v_or_b32_e32 v3, v3, v8
	v_and_b32_e32 v7, 0x10000000, v7
	v_and_b32_e32 v2, 0x10000000, v2
	v_or_b32_e32 v4, v4, v7
	v_or_b32_e32 v2, v3, v2
	ds_write2_b32 v114, v2, v4 offset1:1
	v_lshrrev_b32_e32 v2, 4, v5
	v_ashrrev_i32_e32 v18, v78, v6
	v_and_b32_e32 v23, 0xf0f0f0f, v2
	v_mad_i64_i32 v[2:3], s[16:17], v130, 24, v[0:1]
	v_mad_i64_i32 v[6:7], s[16:17], v136, 24, v[0:1]
	;; [unrolled: 1-line block ×3, first 2 shown]
	v_and_b32_e32 v24, 0xf0f0f0f, v5
	v_lshl_add_u64 v[4:5], v[2:3], 0, v[78:79]
	v_lshl_add_u64 v[8:9], v[6:7], 0, v[78:79]
	;; [unrolled: 1-line block ×3, first 2 shown]
	v_mad_i64_i32 v[0:1], s[16:17], v144, 24, v[0:1]
	v_lshl_add_u64 v[14:15], v[0:1], 0, v[78:79]
	global_load_dword v4, v[4:5], off offset:8
	s_nop 0
	global_load_dword v5, v[8:9], off offset:8
	s_nop 0
	global_load_dword v8, v[12:13], off offset:8
	global_load_dword v9, v[14:15], off offset:8
	s_nop 0
	global_load_dword v12, v[0:1], off offset:4
	s_nop 0
	;; [unrolled: 2-line block ×3, first 2 shown]
	global_load_dword v0, v[6:7], off offset:4
	global_load_dword v1, v[2:3], off offset:4
	v_lshlrev_b32_e32 v19, 4, v18
	v_lshrrev_b32_e32 v21, 12, v18
	v_lshlrev_b32_e32 v20, 11, v18
	v_lshrrev_b32_e32 v22, 5, v18
	v_and_b32_e32 v2, 16, v21
	v_and_b32_e32 v3, 16, v19
	v_or_b32_e32 v2, v2, v23
	v_or_b32_e32 v3, v3, v24
	v_and_b32_e32 v6, 0x1000, v22
	v_and_b32_e32 v7, 0x1000, v20
	v_or_b32_e32 v2, v2, v6
	v_or_b32_e32 v3, v3, v7
	v_lshlrev_b32_e32 v6, 2, v18
	v_lshlrev_b32_e32 v7, 18, v18
	v_and_b32_e32 v6, 0x100000, v6
	v_and_b32_e32 v7, 0x100000, v7
	v_or_b32_e32 v2, v2, v6
	v_or_b32_e32 v3, v3, v7
	v_lshlrev_b32_e32 v6, 9, v18
	v_lshlrev_b32_e32 v7, 25, v18
	v_and_b32_e32 v6, 0x10000000, v6
	v_and_b32_e32 v7, 0x10000000, v7
	v_or_b32_e32 v2, v2, v6
	v_or_b32_e32 v3, v3, v7
	ds_write2_b32 v118, v3, v2 offset1:1
	v_ashrrev_i32_e32 v2, v78, v30
	v_lshlrev_b32_e32 v3, 4, v2
	v_lshlrev_b32_e32 v6, 11, v2
	v_lshrrev_b32_e32 v7, 4, v25
	v_lshrrev_b32_e32 v11, 12, v2
	v_and_b32_e32 v14, 0xf0f0f0f, v25
	v_and_b32_e32 v3, 16, v3
	v_lshrrev_b32_e32 v13, 5, v2
	v_and_b32_e32 v7, 0xf0f0f0f, v7
	v_and_b32_e32 v11, 16, v11
	v_or_b32_e32 v3, v3, v14
	v_and_b32_e32 v6, 0x1000, v6
	v_or_b32_e32 v7, v11, v7
	;; [unrolled: 2-line block ×3, first 2 shown]
	v_lshlrev_b32_e32 v6, 2, v2
	v_or_b32_e32 v7, v7, v11
	v_lshlrev_b32_e32 v11, 18, v2
	v_and_b32_e32 v6, 0x100000, v6
	v_and_b32_e32 v11, 0x100000, v11
	v_or_b32_e32 v6, v7, v6
	v_lshlrev_b32_e32 v7, 9, v2
	v_lshlrev_b32_e32 v2, 25, v2
	v_or_b32_e32 v3, v3, v11
	v_and_b32_e32 v7, 0x10000000, v7
	v_and_b32_e32 v2, 0x10000000, v2
	v_or_b32_e32 v6, v6, v7
	v_or_b32_e32 v2, v3, v2
	ds_write2_b32 v124, v2, v6 offset1:1
	v_ashrrev_i32_e32 v2, v78, v17
	v_lshlrev_b32_e32 v3, 4, v2
	v_lshlrev_b32_e32 v6, 11, v2
	v_lshrrev_b32_e32 v7, 4, v16
	v_lshrrev_b32_e32 v11, 12, v2
	v_and_b32_e32 v14, 0xf0f0f0f, v16
	v_and_b32_e32 v3, 16, v3
	v_lshrrev_b32_e32 v13, 5, v2
	v_and_b32_e32 v7, 0xf0f0f0f, v7
	v_and_b32_e32 v11, 16, v11
	v_or_b32_e32 v3, v3, v14
	v_and_b32_e32 v6, 0x1000, v6
	v_or_b32_e32 v7, v11, v7
	;; [unrolled: 2-line block ×3, first 2 shown]
	v_lshlrev_b32_e32 v6, 2, v2
	v_or_b32_e32 v7, v7, v11
	v_lshlrev_b32_e32 v11, 18, v2
	v_and_b32_e32 v6, 0x100000, v6
	v_and_b32_e32 v11, 0x100000, v11
	v_or_b32_e32 v6, v7, v6
	v_lshlrev_b32_e32 v7, 9, v2
	v_lshlrev_b32_e32 v2, 25, v2
	v_or_b32_e32 v3, v3, v11
	v_and_b32_e32 v7, 0x10000000, v7
	v_and_b32_e32 v2, 0x10000000, v2
	v_or_b32_e32 v6, v6, v7
	v_or_b32_e32 v2, v3, v2
	s_waitcnt vmcnt(0)
	v_ashrrev_i32_e32 v1, v78, v1
	ds_write2_b32 v128, v2, v6 offset1:1
	v_lshlrev_b32_e32 v2, 4, v1
	v_lshlrev_b32_e32 v3, 11, v1
	v_lshrrev_b32_e32 v6, 4, v4
	v_lshrrev_b32_e32 v7, 12, v1
	v_and_b32_e32 v4, 0xf0f0f0f, v4
	v_and_b32_e32 v2, 16, v2
	v_lshrrev_b32_e32 v11, 5, v1
	v_and_b32_e32 v6, 0xf0f0f0f, v6
	v_and_b32_e32 v7, 16, v7
	v_or_b32_e32 v2, v2, v4
	v_and_b32_e32 v3, 0x1000, v3
	v_or_b32_e32 v6, v7, v6
	;; [unrolled: 2-line block ×3, first 2 shown]
	v_lshlrev_b32_e32 v3, 2, v1
	v_or_b32_e32 v4, v6, v4
	v_lshlrev_b32_e32 v6, 18, v1
	v_and_b32_e32 v3, 0x100000, v3
	v_and_b32_e32 v6, 0x100000, v6
	v_or_b32_e32 v3, v4, v3
	v_lshlrev_b32_e32 v4, 9, v1
	v_lshlrev_b32_e32 v1, 25, v1
	v_or_b32_e32 v2, v2, v6
	v_and_b32_e32 v4, 0x10000000, v4
	v_and_b32_e32 v1, 0x10000000, v1
	v_or_b32_e32 v3, v3, v4
	v_or_b32_e32 v1, v2, v1
	v_ashrrev_i32_e32 v11, v78, v0
	ds_write2_b32 v132, v1, v3 offset1:1
	v_lshlrev_b32_e32 v0, 4, v11
	v_lshrrev_b32_e32 v1, 4, v5
	v_lshrrev_b32_e32 v2, 12, v11
	v_and_b32_e32 v1, 0xf0f0f0f, v1
	v_and_b32_e32 v3, 0xf0f0f0f, v5
	;; [unrolled: 1-line block ×4, first 2 shown]
	v_or_b32_e32 v15, v2, v1
	v_or_b32_e32 v16, v0, v3
	v_mad_u64_u32 v[0:1], s[0:1], v150, 24, s[0:1]
	v_mad_i64_i32 v[2:3], s[0:1], v154, 24, v[0:1]
	v_mad_i64_i32 v[4:5], s[0:1], v156, 24, v[0:1]
	;; [unrolled: 1-line block ×4, first 2 shown]
	global_load_dword v2, v[2:3], off
	s_nop 0
	global_load_dword v3, v[4:5], off
	s_nop 0
	global_load_dword v4, v[6:7], off
	v_lshlrev_b32_e32 v13, 11, v11
	global_load_dword v0, v[0:1], off
	v_lshrrev_b32_e32 v14, 5, v11
	v_and_b32_e32 v1, 0x1000, v14
	v_and_b32_e32 v5, 0x1000, v13
	v_lshlrev_b32_e32 v6, 2, v11
	v_lshlrev_b32_e32 v7, 18, v11
	v_or_b32_e32 v1, v15, v1
	v_or_b32_e32 v5, v16, v5
	v_and_b32_e32 v6, 0x100000, v6
	v_and_b32_e32 v7, 0x100000, v7
	v_or_b32_e32 v1, v1, v6
	v_or_b32_e32 v5, v5, v7
	v_lshlrev_b32_e32 v6, 9, v11
	v_lshlrev_b32_e32 v7, 25, v11
	v_and_b32_e32 v6, 0x10000000, v6
	v_and_b32_e32 v7, 0x10000000, v7
	v_or_b32_e32 v1, v1, v6
	v_or_b32_e32 v5, v5, v7
	ds_write2_b32 v138, v5, v1 offset1:1
	v_ashrrev_i32_e32 v1, v78, v10
	v_lshlrev_b32_e32 v5, 4, v1
	v_lshlrev_b32_e32 v6, 11, v1
	v_lshrrev_b32_e32 v7, 4, v8
	v_lshrrev_b32_e32 v10, 12, v1
	v_and_b32_e32 v8, 0xf0f0f0f, v8
	v_and_b32_e32 v5, 16, v5
	v_lshrrev_b32_e32 v11, 5, v1
	v_and_b32_e32 v7, 0xf0f0f0f, v7
	v_and_b32_e32 v10, 16, v10
	v_or_b32_e32 v5, v5, v8
	v_and_b32_e32 v6, 0x1000, v6
	v_or_b32_e32 v7, v10, v7
	;; [unrolled: 2-line block ×3, first 2 shown]
	v_lshlrev_b32_e32 v6, 2, v1
	v_or_b32_e32 v7, v7, v8
	v_lshlrev_b32_e32 v8, 18, v1
	v_and_b32_e32 v6, 0x100000, v6
	v_and_b32_e32 v8, 0x100000, v8
	v_or_b32_e32 v6, v7, v6
	v_lshlrev_b32_e32 v7, 9, v1
	v_lshlrev_b32_e32 v1, 25, v1
	v_or_b32_e32 v5, v5, v8
	v_and_b32_e32 v7, 0x10000000, v7
	v_and_b32_e32 v1, 0x10000000, v1
	v_or_b32_e32 v6, v6, v7
	v_or_b32_e32 v1, v5, v1
	ds_write2_b32 v142, v1, v6 offset1:1
	v_ashrrev_i32_e32 v1, v78, v12
	v_lshlrev_b32_e32 v5, 4, v1
	v_lshlrev_b32_e32 v6, 11, v1
	v_lshrrev_b32_e32 v7, 4, v9
	v_lshrrev_b32_e32 v8, 12, v1
	v_and_b32_e32 v9, 0xf0f0f0f, v9
	v_and_b32_e32 v5, 16, v5
	v_lshrrev_b32_e32 v10, 5, v1
	v_and_b32_e32 v7, 0xf0f0f0f, v7
	v_and_b32_e32 v8, 16, v8
	v_or_b32_e32 v5, v5, v9
	v_and_b32_e32 v6, 0x1000, v6
	v_or_b32_e32 v7, v8, v7
	;; [unrolled: 2-line block ×3, first 2 shown]
	v_lshlrev_b32_e32 v6, 2, v1
	v_or_b32_e32 v7, v7, v8
	v_lshlrev_b32_e32 v8, 18, v1
	v_and_b32_e32 v6, 0x100000, v6
	v_and_b32_e32 v8, 0x100000, v8
	v_or_b32_e32 v6, v7, v6
	v_lshlrev_b32_e32 v7, 9, v1
	v_lshlrev_b32_e32 v1, 25, v1
	v_or_b32_e32 v5, v5, v8
	v_and_b32_e32 v7, 0x10000000, v7
	v_and_b32_e32 v1, 0x10000000, v1
	v_or_b32_e32 v6, v6, v7
	v_or_b32_e32 v1, v5, v1
	ds_write2_b32 v146, v1, v6 offset1:1
	s_waitcnt vmcnt(3)
	ds_write_b32 v133, v2
	s_waitcnt vmcnt(2)
	ds_write_b32 v137, v3
	;; [unrolled: 2-line block ×4, first 2 shown]
	s_cbranch_scc0 .LBB124_6
; %bb.8:                                ;   in Loop: Header=BB124_7 Depth=1
	v_add_u32_e32 v14, s9, v85
	v_add_u32_e32 v163, s9, v162
	;; [unrolled: 1-line block ×6, first 2 shown]
	v_mad_i64_i32 v[0:1], s[0:1], v0, 36, v[164:165]
	v_mad_i64_i32 v[2:3], s[0:1], v2, 36, v[164:165]
	;; [unrolled: 1-line block ×4, first 2 shown]
	v_add_u32_e32 v8, v14, v97
	v_add_u32_e32 v10, v14, v99
	;; [unrolled: 1-line block ×4, first 2 shown]
	v_mad_u64_u32 v[16:17], s[0:1], v163, 36, s[2:3]
	v_mad_i64_i32 v[8:9], s[0:1], v8, 36, v[164:165]
	v_mad_i64_i32 v[10:11], s[0:1], v10, 36, v[164:165]
	;; [unrolled: 1-line block ×4, first 2 shown]
	global_load_dword v16, v[16:17], off
	s_nop 0
	global_load_dword v0, v[0:1], off offset:4
	s_nop 0
	global_load_dword v1, v[2:3], off offset:4
	;; [unrolled: 2-line block ×3, first 2 shown]
	global_load_dword v3, v[6:7], off offset:4
	s_nop 0
	global_load_dword v4, v[8:9], off offset:4
	global_load_dword v5, v[10:11], off offset:4
	;; [unrolled: 1-line block ×3, first 2 shown]
                                        ; kill: killed $vgpr10_vgpr11
                                        ; kill: killed $vgpr12_vgpr13
	global_load_dword v7, v[14:15], off offset:4
	s_mov_b32 s0, -4
	v_mov_b32_e32 v204, v119
	v_mov_b32_e32 v205, v105
	;; [unrolled: 1-line block ×7, first 2 shown]
	s_waitcnt vmcnt(8)
	ds_write_b32 v87, v16
	s_waitcnt vmcnt(7)
	ds_write_b32 v143, v0
	;; [unrolled: 2-line block ×9, first 2 shown]
	s_waitcnt lgkmcnt(0)
	s_barrier
.LBB124_9:                              ;   Parent Loop BB124_7 Depth=1
                                        ; =>  This Inner Loop Header: Depth=2
	ds_read_b128 v[12:15], v204
	ds_read_b128 v[8:11], v204 offset:16
	ds_read2_b32 v[180:181], v206 offset1:32
	v_add_u32_e32 v168, 0x2080, v205
	v_add_u32_e32 v169, 0x2088, v205
	;; [unrolled: 1-line block ×10, first 2 shown]
	ds_read2_b32 v[178:179], v205 offset1:1
	ds_read2_b32 v[176:177], v205 offset0:2 offset1:3
	ds_read2_b32 v[174:175], v205 offset0:4 offset1:5
	;; [unrolled: 1-line block ×3, first 2 shown]
	ds_read_b32 v238, v207
	ds_read_b32 v237, v208
	ds_read_b32 v236, v209
	ds_read_b32 v235, v210
	v_add_u32_e32 v233, 0x6190, v205
	v_add_u32_e32 v234, 0x6198, v205
	ds_read_b128 v[44:47], v204 offset:1024
	ds_read_b128 v[16:19], v204 offset:1040
	;; [unrolled: 1-line block ×4, first 2 shown]
	ds_read2_b32 v[202:203], v206 offset0:64 offset1:96
	ds_read_b128 v[40:43], v204 offset:3072
	ds_read_b128 v[24:27], v204 offset:3088
	;; [unrolled: 1-line block ×4, first 2 shown]
	ds_read2_b32 v[182:183], v206 offset0:128 offset1:160
	ds_read_b128 v[28:31], v204 offset:5120
	ds_read_b128 v[4:7], v204 offset:5136
	;; [unrolled: 1-line block ×3, first 2 shown]
	ds_read2_b32 v[200:201], v168 offset1:1
	ds_read2_b32 v[190:191], v169 offset1:1
	ds_read2_b32 v[188:189], v170 offset1:1
	ds_read2_b32 v[168:169], v171 offset1:1
	ds_read2_b32 v[198:199], v172 offset1:1
	ds_read2_b32 v[192:193], v173 offset1:1
	ds_read2_b32 v[186:187], v184 offset1:1
	ds_read2_b32 v[170:171], v185 offset1:1
	ds_read2_b32 v[196:197], v194 offset1:1
	ds_read2_b32 v[194:195], v195 offset1:1
	ds_read2_b32 v[184:185], v233 offset1:1
	ds_read2_b32 v[172:173], v234 offset1:1
	v_mov_b32_e32 v231, 0
	v_mov_b32_e32 v211, 0
	;; [unrolled: 1-line block ×4, first 2 shown]
	s_waitcnt lgkmcnt(14)
	v_dot4c_i32_i8_e32 v231, v178, v12
	s_waitcnt lgkmcnt(11)
	v_dot4c_i32_i8_e32 v211, v200, v12
	;; [unrolled: 2-line block ×4, first 2 shown]
	v_dot4c_i32_i8_e32 v231, v179, v8
	v_dot4c_i32_i8_e32 v211, v201, v8
	;; [unrolled: 1-line block ×7, first 2 shown]
	s_waitcnt lgkmcnt(2)
	v_dot4c_i32_i8_e32 v213, v194, v13
	v_mov_b32_e32 v224, 0
	v_mov_b32_e32 v223, 0
	;; [unrolled: 1-line block ×4, first 2 shown]
	v_dot4c_i32_i8_e32 v231, v177, v9
	v_dot4c_i32_i8_e32 v211, v191, v9
	;; [unrolled: 1-line block ×4, first 2 shown]
	v_mov_b32_e32 v239, 0
	v_mov_b32_e32 v217, 0
	;; [unrolled: 1-line block ×4, first 2 shown]
	v_dot4c_i32_i8_e32 v231, v174, v14
	v_dot4c_i32_i8_e32 v211, v188, v14
	v_dot4c_i32_i8_e32 v212, v186, v14
	s_waitcnt lgkmcnt(1)
	v_dot4c_i32_i8_e32 v213, v184, v14
	v_dot4c_i32_i8_e32 v224, v178, v48
	;; [unrolled: 1-line block ×17, first 2 shown]
	v_mov_b32_e32 v227, 0
	v_mov_b32_e32 v228, 0
	;; [unrolled: 1-line block ×4, first 2 shown]
	v_dot4c_i32_i8_e32 v231, v166, v15
	v_dot4c_i32_i8_e32 v211, v168, v15
	;; [unrolled: 1-line block ×3, first 2 shown]
	s_waitcnt lgkmcnt(0)
	v_dot4c_i32_i8_e32 v213, v172, v15
	ds_read_b128 v[12:15], v204 offset:6160
	v_dot4c_i32_i8_e32 v239, v179, v20
	v_dot4c_i32_i8_e32 v217, v201, v20
	;; [unrolled: 1-line block ×20, first 2 shown]
	v_mov_b32_e32 v241, 0
	v_mov_b32_e32 v220, 0
	;; [unrolled: 1-line block ×4, first 2 shown]
	v_dot4c_i32_i8_e32 v239, v177, v21
	v_dot4c_i32_i8_e32 v217, v191, v21
	v_dot4c_i32_i8_e32 v218, v193, v21
	v_dot4c_i32_i8_e32 v219, v195, v21
	v_dot4c_i32_i8_e32 v224, v174, v50
	v_dot4c_i32_i8_e32 v223, v188, v50
	v_dot4c_i32_i8_e32 v225, v186, v50
	v_dot4c_i32_i8_e32 v226, v184, v50
	v_dot4c_i32_i8_e32 v227, v179, v4
	v_dot4c_i32_i8_e32 v228, v201, v4
	v_dot4c_i32_i8_e32 v229, v199, v4
	v_dot4c_i32_i8_e32 v230, v197, v4
	v_mov_b32_e32 v234, 0
	v_mov_b32_e32 v233, 0
	;; [unrolled: 1-line block ×3, first 2 shown]
	v_dot4c_i32_i8_e32 v239, v174, v38
	v_dot4c_i32_i8_e32 v217, v188, v38
	;; [unrolled: 1-line block ×12, first 2 shown]
	v_mov_b32_e32 v2, 0
	v_dot4c_i32_i8_e32 v227, v176, v29
	v_dot4c_i32_i8_e32 v228, v190, v29
	;; [unrolled: 1-line block ×32, first 2 shown]
	ds_read_b128 v[38:41], v204 offset:7168
	s_waitcnt lgkmcnt(1)
	v_dot4c_i32_i8_e32 v234, v179, v12
	v_dot4c_i32_i8_e32 v233, v201, v12
	;; [unrolled: 1-line block ×20, first 2 shown]
	ds_read_b128 v[28:31], v204 offset:7184
	v_dot4c_i32_i8_e32 v241, v177, v25
	v_dot4c_i32_i8_e32 v220, v191, v25
	;; [unrolled: 1-line block ×8, first 2 shown]
	v_mov_b32_e32 v232, 0
	v_mov_b32_e32 v214, 0
	;; [unrolled: 1-line block ×4, first 2 shown]
	v_dot4c_i32_i8_e32 v241, v174, v42
	v_dot4c_i32_i8_e32 v220, v188, v42
	;; [unrolled: 1-line block ×8, first 2 shown]
	v_mov_b32_e32 v14, 0
	v_dot4c_i32_i8_e32 v232, v178, v44
	v_dot4c_i32_i8_e32 v214, v200, v44
	;; [unrolled: 1-line block ×8, first 2 shown]
	v_pk_mul_f16 v36, v238, v202
	v_pk_mul_f16 v26, v237, v202
	v_pk_mul_f16 v22, v236, v202
	v_pk_mul_f16 v44, v235, v202
	v_mov_b32_e32 v202, 0
	v_mov_b32_e32 v6, 0
	s_waitcnt lgkmcnt(1)
	v_dot4c_i32_i8_e32 v14, v198, v38
	v_mov_b32_e32 v198, 0
	v_dot4c_i32_i8_e32 v232, v179, v16
	v_dot4c_i32_i8_e32 v202, v178, v38
	;; [unrolled: 1-line block ×8, first 2 shown]
	s_waitcnt lgkmcnt(0)
	v_dot4c_i32_i8_e32 v202, v179, v28
	v_dot4c_i32_i8_e32 v6, v201, v28
	;; [unrolled: 1-line block ×8, first 2 shown]
	ds_read2_b32 v[0:1], v206 offset0:192 offset1:224
	v_dot4c_i32_i8_e32 v202, v176, v39
	v_dot4c_i32_i8_e32 v6, v190, v39
	;; [unrolled: 1-line block ×32, first 2 shown]
	v_pk_mul_f16 v8, v180, v238
	v_pk_mul_f16 v9, v238, v181
	v_dot4c_i32_i8_e32 v220, v168, v43
	v_dot4c_i32_i8_e32 v221, v170, v43
	;; [unrolled: 1-line block ×7, first 2 shown]
	v_pk_mul_f16 v42, v238, v203
	v_dot4c_i32_i8_e32 v234, v166, v35
	v_dot4c_i32_i8_e32 v233, v168, v35
	;; [unrolled: 1-line block ×12, first 2 shown]
	v_pk_mul_f16 v16, v180, v237
	v_pk_mul_f16 v18, v180, v236
	;; [unrolled: 1-line block ×17, first 2 shown]
	s_waitcnt lgkmcnt(0)
	v_pk_mul_f16 v242, v238, v0
	v_pk_mul_f16 v238, v238, v1
	;; [unrolled: 1-line block ×8, first 2 shown]
	v_cvt_f32_f16_e32 v1, v9
	v_cvt_f32_f16_e32 v0, v8
	v_cvt_f32_f16_sdwa v9, v9 dst_sel:DWORD dst_unused:UNUSED_PAD src0_sel:WORD_1
	v_cvt_f32_f16_sdwa v8, v8 dst_sel:DWORD dst_unused:UNUSED_PAD src0_sel:WORD_1
	v_cvt_f32_f16_e32 v35, v42
	v_cvt_f32_f16_e32 v34, v36
	v_cvt_f32_f16_sdwa v39, v42 dst_sel:DWORD dst_unused:UNUSED_PAD src0_sel:WORD_1
	v_cvt_f32_f16_sdwa v38, v36 dst_sel:DWORD dst_unused:UNUSED_PAD src0_sel:WORD_1
	v_dot4c_i32_i8_e32 v211, v169, v11
	v_dot4c_i32_i8_e32 v212, v171, v11
	;; [unrolled: 1-line block ×16, first 2 shown]
	v_cvt_f32_i32_e32 v193, v232
	v_cvt_f32_i32_e32 v192, v231
	;; [unrolled: 1-line block ×4, first 2 shown]
	v_dot4c_i32_i8_e32 v223, v169, v3
	v_dot4c_i32_i8_e32 v225, v171, v3
	;; [unrolled: 1-line block ×12, first 2 shown]
	v_cvt_f32_f16_e32 v5, v17
	v_cvt_f32_f16_e32 v4, v16
	v_cvt_f32_f16_sdwa v13, v17 dst_sel:DWORD dst_unused:UNUSED_PAD src0_sel:WORD_1
	v_cvt_f32_f16_sdwa v12, v16 dst_sel:DWORD dst_unused:UNUSED_PAD src0_sel:WORD_1
	v_cvt_f32_f16_e32 v17, v20
	v_cvt_f32_f16_e32 v16, v18
	v_cvt_f32_f16_sdwa v21, v20 dst_sel:DWORD dst_unused:UNUSED_PAD src0_sel:WORD_1
	v_cvt_f32_f16_sdwa v20, v18 dst_sel:DWORD dst_unused:UNUSED_PAD src0_sel:WORD_1
	;; [unrolled: 4-line block ×14, first 2 shown]
	v_cvt_f32_i32_e32 v197, v227
	v_cvt_f32_i32_e32 v196, v224
	;; [unrolled: 1-line block ×28, first 2 shown]
	v_pk_fma_f32 v[0:1], v[0:1], v[192:193], v[8:9]
	v_pk_fma_f32 v[8:9], v[194:195], v[34:35], v[38:39]
	s_add_i32 s0, s0, 4
	v_pk_fma_f32 v[34:35], v[196:197], v[50:51], v[176:177]
	v_pk_fma_f32 v[38:39], v[200:201], v[186:187], v[188:189]
	v_pk_add_f32 v[148:149], v[148:149], v[0:1]
	v_pk_fma_f32 v[0:1], v[4:5], v[30:31], v[12:13]
	v_pk_fma_f32 v[4:5], v[16:17], v[168:169], v[20:21]
	;; [unrolled: 1-line block ×3, first 2 shown]
	v_pk_add_f32 v[74:75], v[74:75], v[8:9]
	v_pk_fma_f32 v[8:9], v[172:173], v[32:33], v[36:37]
	v_pk_fma_f32 v[16:17], v[202:203], v[40:41], v[42:43]
	;; [unrolled: 1-line block ×9, first 2 shown]
	v_add_u32_e32 v210, 4, v210
	v_add_u32_e32 v209, 4, v209
	;; [unrolled: 1-line block ×7, first 2 shown]
	s_cmp_lt_u32 s0, 12
	v_pk_add_f32 v[66:67], v[66:67], v[34:35]
	v_pk_add_f32 v[58:59], v[58:59], v[38:39]
	;; [unrolled: 1-line block ×14, first 2 shown]
	s_cbranch_scc1 .LBB124_9
; %bb.10:                               ;   in Loop: Header=BB124_7 Depth=1
	s_and_b32 s0, s8, -4
	s_cmp_eq_u32 s0, 4
	s_barrier
	s_cbranch_scc1 .LBB124_6
; %bb.11:                               ;   in Loop: Header=BB124_7 Depth=1
	v_add_u32_e32 v14, s9, v107
	v_add_u32_e32 v0, v14, v89
	;; [unrolled: 1-line block ×6, first 2 shown]
	v_mad_i64_i32 v[0:1], s[0:1], v0, 36, v[164:165]
	v_mad_i64_i32 v[2:3], s[0:1], v2, 36, v[164:165]
	;; [unrolled: 1-line block ×4, first 2 shown]
	v_add_u32_e32 v8, v14, v97
	v_add_u32_e32 v10, v14, v99
	;; [unrolled: 1-line block ×4, first 2 shown]
	v_mad_u64_u32 v[16:17], s[0:1], v16, 36, s[2:3]
	v_mad_i64_i32 v[8:9], s[0:1], v8, 36, v[164:165]
	v_mad_i64_i32 v[10:11], s[0:1], v10, 36, v[164:165]
	;; [unrolled: 1-line block ×4, first 2 shown]
	global_load_dword v16, v[16:17], off
	s_nop 0
	global_load_dword v0, v[0:1], off offset:4
	s_nop 0
	global_load_dword v1, v[2:3], off offset:4
	;; [unrolled: 2-line block ×3, first 2 shown]
	global_load_dword v3, v[6:7], off offset:4
	s_nop 0
	global_load_dword v4, v[8:9], off offset:4
	global_load_dword v5, v[10:11], off offset:4
                                        ; kill: killed $vgpr8_vgpr9
                                        ; kill: killed $vgpr10_vgpr11
	global_load_dword v6, v[12:13], off offset:4
	global_load_dword v7, v[14:15], off offset:4
	s_mov_b32 s0, 12
	v_mov_b32_e32 v42, v117
	v_mov_b32_e32 v43, v119
	;; [unrolled: 1-line block ×7, first 2 shown]
	s_waitcnt vmcnt(8)
	ds_write_b32 v87, v16
	s_waitcnt vmcnt(7)
	ds_write_b32 v143, v0
	;; [unrolled: 2-line block ×9, first 2 shown]
	s_waitcnt lgkmcnt(0)
	s_barrier
.LBB124_12:                             ;   Parent Loop BB124_7 Depth=1
                                        ; =>  This Inner Loop Header: Depth=2
	v_add_u32_e32 v8, 0x2080, v44
	ds_read_b128 v[0:3], v43
	ds_read_b128 v[4:7], v43 offset:16
	ds_read2_b32 v[40:41], v42 offset1:32
	ds_read_b32 v163, v45
	ds_read2_b32 v[26:27], v44 offset1:1
	ds_read2_b32 v[32:33], v44 offset0:2 offset1:3
	ds_read2_b32 v[36:37], v44 offset0:4 offset1:5
	;; [unrolled: 1-line block ×3, first 2 shown]
	ds_read_b32 v51, v46
	ds_read2_b32 v[14:15], v8 offset1:1
	v_add_u32_e32 v8, 0x2088, v44
	ds_read2_b32 v[22:23], v8 offset1:1
	v_add_u32_e32 v8, 0x2090, v44
	;; [unrolled: 2-line block ×4, first 2 shown]
	ds_read_b32 v50, v47
	ds_read2_b32 v[10:11], v8 offset1:1
	v_add_u32_e32 v8, 0x4108, v44
	ds_read2_b32 v[16:17], v8 offset1:1
	v_add_u32_e32 v8, 0x4110, v44
	;; [unrolled: 2-line block ×4, first 2 shown]
	ds_read_b32 v49, v48
	ds_read2_b32 v[8:9], v8 offset1:1
	v_mov_b32_e32 v170, 0
	v_mov_b32_e32 v172, 0
	;; [unrolled: 1-line block ×4, first 2 shown]
	s_waitcnt lgkmcnt(14)
	v_dot4c_i32_i8_e32 v170, v26, v0
	s_waitcnt lgkmcnt(10)
	v_dot4c_i32_i8_e32 v172, v14, v0
	;; [unrolled: 2-line block ×4, first 2 shown]
	v_add_u32_e32 v0, 0x6188, v44
	ds_read2_b32 v[12:13], v0 offset1:1
	v_add_u32_e32 v0, 0x6190, v44
	ds_read2_b32 v[18:19], v0 offset1:1
	v_add_u32_e32 v0, 0x6198, v44
	v_dot4c_i32_i8_e32 v170, v27, v4
	v_dot4c_i32_i8_e32 v172, v15, v4
	;; [unrolled: 1-line block ×4, first 2 shown]
	ds_read2_b32 v[24:25], v0 offset1:1
	v_dot4c_i32_i8_e32 v170, v32, v1
	v_dot4c_i32_i8_e32 v172, v22, v1
	v_dot4c_i32_i8_e32 v174, v16, v1
	s_waitcnt lgkmcnt(2)
	v_dot4c_i32_i8_e32 v176, v12, v1
	v_dot4c_i32_i8_e32 v170, v33, v5
	v_dot4c_i32_i8_e32 v172, v23, v5
	v_dot4c_i32_i8_e32 v174, v17, v5
	v_dot4c_i32_i8_e32 v176, v13, v5
	v_dot4c_i32_i8_e32 v170, v36, v2
	v_dot4c_i32_i8_e32 v172, v30, v2
	v_dot4c_i32_i8_e32 v174, v20, v2
	s_waitcnt lgkmcnt(1)
	v_dot4c_i32_i8_e32 v176, v18, v2
	v_dot4c_i32_i8_e32 v170, v37, v6
	v_dot4c_i32_i8_e32 v172, v31, v6
	v_dot4c_i32_i8_e32 v174, v21, v6
	v_dot4c_i32_i8_e32 v176, v19, v6
	;; [unrolled: 9-line block ×3, first 2 shown]
	ds_read_b128 v[0:3], v43 offset:1024
	ds_read_b128 v[4:7], v43 offset:1040
	v_mov_b32_e32 v171, 0
	v_pk_mul_f16 v168, v40, v163
	v_pk_mul_f16 v169, v163, v41
	s_waitcnt lgkmcnt(1)
	v_dot4c_i32_i8_e32 v171, v26, v0
	s_waitcnt lgkmcnt(0)
	v_dot4c_i32_i8_e32 v171, v27, v4
	v_dot4c_i32_i8_e32 v171, v32, v1
	;; [unrolled: 1-line block ×7, first 2 shown]
	v_cvt_f32_f16_e32 v167, v169
	v_cvt_f32_f16_e32 v166, v168
	v_cvt_f32_f16_sdwa v169, v169 dst_sel:DWORD dst_unused:UNUSED_PAD src0_sel:WORD_1
	v_cvt_f32_f16_sdwa v168, v168 dst_sel:DWORD dst_unused:UNUSED_PAD src0_sel:WORD_1
	v_cvt_f32_i32_e32 v171, v171
	v_cvt_f32_i32_e32 v170, v170
	v_pk_mul_f16 v173, v40, v51
	v_pk_mul_f16 v175, v40, v50
	;; [unrolled: 1-line block ×3, first 2 shown]
	v_pk_fma_f32 v[166:167], v[166:167], v[170:171], v[168:169]
	v_mov_b32_e32 v170, 0
	v_dot4c_i32_i8_e32 v170, v14, v0
	v_dot4c_i32_i8_e32 v170, v15, v4
	;; [unrolled: 1-line block ×8, first 2 shown]
	v_pk_mul_f16 v168, v51, v41
	v_pk_add_f32 v[148:149], v[148:149], v[166:167]
	v_cvt_f32_f16_e32 v167, v168
	v_cvt_f32_f16_e32 v166, v173
	v_cvt_f32_f16_sdwa v169, v168 dst_sel:DWORD dst_unused:UNUSED_PAD src0_sel:WORD_1
	v_cvt_f32_f16_sdwa v168, v173 dst_sel:DWORD dst_unused:UNUSED_PAD src0_sel:WORD_1
	v_cvt_f32_i32_e32 v171, v170
	v_cvt_f32_i32_e32 v170, v172
	v_mov_b32_e32 v172, 0
	s_add_i32 s0, s0, 4
	v_add_u32_e32 v48, 4, v48
	v_pk_fma_f32 v[166:167], v[166:167], v[170:171], v[168:169]
	v_mov_b32_e32 v170, 0
	v_dot4c_i32_i8_e32 v170, v10, v0
	v_dot4c_i32_i8_e32 v170, v11, v4
	;; [unrolled: 1-line block ×8, first 2 shown]
	v_pk_mul_f16 v168, v50, v41
	v_pk_add_f32 v[152:153], v[152:153], v[166:167]
	v_cvt_f32_f16_e32 v167, v168
	v_cvt_f32_f16_e32 v166, v175
	v_cvt_f32_f16_sdwa v169, v168 dst_sel:DWORD dst_unused:UNUSED_PAD src0_sel:WORD_1
	v_cvt_f32_f16_sdwa v168, v175 dst_sel:DWORD dst_unused:UNUSED_PAD src0_sel:WORD_1
	v_cvt_f32_i32_e32 v171, v170
	v_cvt_f32_i32_e32 v170, v174
	v_mov_b32_e32 v174, 0
	v_add_u32_e32 v47, 4, v47
	v_add_u32_e32 v46, 4, v46
	v_pk_fma_f32 v[166:167], v[166:167], v[170:171], v[168:169]
	v_mov_b32_e32 v170, 0
	v_pk_add_f32 v[134:135], v[134:135], v[166:167]
	v_mov_b32_e32 v166, 0
	v_dot4c_i32_i8_e32 v166, v8, v0
	v_dot4c_i32_i8_e32 v166, v9, v4
	;; [unrolled: 1-line block ×8, first 2 shown]
	v_pk_mul_f16 v2, v49, v41
	v_cvt_f32_f16_e32 v0, v40
	v_cvt_f32_f16_e32 v1, v2
	v_cvt_f32_f16_sdwa v3, v2 dst_sel:DWORD dst_unused:UNUSED_PAD src0_sel:WORD_1
	v_cvt_f32_f16_sdwa v2, v40 dst_sel:DWORD dst_unused:UNUSED_PAD src0_sel:WORD_1
	v_cvt_f32_i32_e32 v5, v166
	v_cvt_f32_i32_e32 v4, v176
	v_mov_b32_e32 v176, 0
	v_mov_b32_e32 v171, 0
	v_add_u32_e32 v45, 4, v45
	v_pk_fma_f32 v[0:1], v[0:1], v[4:5], v[2:3]
	v_add_u32_e32 v44, 32, v44
	v_pk_add_f32 v[122:123], v[122:123], v[0:1]
	ds_read_b128 v[0:3], v43 offset:2048
	ds_read_b128 v[4:7], v43 offset:2064
	ds_read2_b32 v[40:41], v42 offset0:64 offset1:96
	s_cmp_lt_u32 s0, 28
	s_waitcnt lgkmcnt(2)
	v_dot4c_i32_i8_e32 v170, v26, v0
	v_dot4c_i32_i8_e32 v172, v14, v0
	;; [unrolled: 1-line block ×4, first 2 shown]
	s_waitcnt lgkmcnt(1)
	v_dot4c_i32_i8_e32 v170, v27, v4
	v_dot4c_i32_i8_e32 v172, v15, v4
	;; [unrolled: 1-line block ×28, first 2 shown]
	ds_read_b128 v[0:3], v43 offset:3072
	ds_read_b128 v[4:7], v43 offset:3088
	s_waitcnt lgkmcnt(2)
	v_pk_mul_f16 v168, v163, v40
	v_pk_mul_f16 v169, v163, v41
	v_cvt_f32_f16_e32 v166, v168
	s_waitcnt lgkmcnt(1)
	v_dot4c_i32_i8_e32 v171, v26, v0
	s_waitcnt lgkmcnt(0)
	v_dot4c_i32_i8_e32 v171, v27, v4
	v_dot4c_i32_i8_e32 v171, v32, v1
	;; [unrolled: 1-line block ×7, first 2 shown]
	v_cvt_f32_f16_e32 v167, v169
	v_cvt_f32_f16_sdwa v169, v169 dst_sel:DWORD dst_unused:UNUSED_PAD src0_sel:WORD_1
	v_cvt_f32_f16_sdwa v168, v168 dst_sel:DWORD dst_unused:UNUSED_PAD src0_sel:WORD_1
	v_cvt_f32_i32_e32 v171, v171
	v_cvt_f32_i32_e32 v170, v170
	v_pk_mul_f16 v173, v51, v40
	v_pk_mul_f16 v175, v50, v40
	;; [unrolled: 1-line block ×3, first 2 shown]
	v_pk_fma_f32 v[166:167], v[170:171], v[166:167], v[168:169]
	v_mov_b32_e32 v170, 0
	v_dot4c_i32_i8_e32 v170, v14, v0
	v_dot4c_i32_i8_e32 v170, v15, v4
	;; [unrolled: 1-line block ×8, first 2 shown]
	v_pk_mul_f16 v168, v51, v41
	v_pk_add_f32 v[74:75], v[74:75], v[166:167]
	v_cvt_f32_f16_e32 v167, v168
	v_cvt_f32_f16_e32 v166, v173
	v_cvt_f32_f16_sdwa v169, v168 dst_sel:DWORD dst_unused:UNUSED_PAD src0_sel:WORD_1
	v_cvt_f32_f16_sdwa v168, v173 dst_sel:DWORD dst_unused:UNUSED_PAD src0_sel:WORD_1
	v_cvt_f32_i32_e32 v171, v170
	v_cvt_f32_i32_e32 v170, v172
	v_mov_b32_e32 v172, 0
	v_pk_fma_f32 v[166:167], v[170:171], v[166:167], v[168:169]
	v_mov_b32_e32 v170, 0
	v_dot4c_i32_i8_e32 v170, v10, v0
	v_dot4c_i32_i8_e32 v170, v11, v4
	;; [unrolled: 1-line block ×8, first 2 shown]
	v_pk_mul_f16 v168, v50, v41
	v_pk_add_f32 v[72:73], v[72:73], v[166:167]
	v_cvt_f32_f16_e32 v167, v168
	v_cvt_f32_f16_e32 v166, v175
	v_cvt_f32_f16_sdwa v169, v168 dst_sel:DWORD dst_unused:UNUSED_PAD src0_sel:WORD_1
	v_cvt_f32_f16_sdwa v168, v175 dst_sel:DWORD dst_unused:UNUSED_PAD src0_sel:WORD_1
	v_cvt_f32_i32_e32 v171, v170
	v_cvt_f32_i32_e32 v170, v174
	v_mov_b32_e32 v174, 0
	v_pk_fma_f32 v[166:167], v[170:171], v[166:167], v[168:169]
	s_nop 0
	v_pk_add_f32 v[70:71], v[70:71], v[166:167]
	v_mov_b32_e32 v166, 0
	v_dot4c_i32_i8_e32 v166, v8, v0
	v_dot4c_i32_i8_e32 v166, v9, v4
	;; [unrolled: 1-line block ×8, first 2 shown]
	v_pk_mul_f16 v2, v49, v41
	v_cvt_f32_f16_e32 v0, v40
	v_cvt_f32_f16_e32 v1, v2
	v_cvt_f32_f16_sdwa v3, v2 dst_sel:DWORD dst_unused:UNUSED_PAD src0_sel:WORD_1
	v_cvt_f32_f16_sdwa v2, v40 dst_sel:DWORD dst_unused:UNUSED_PAD src0_sel:WORD_1
	v_cvt_f32_i32_e32 v5, v166
	v_cvt_f32_i32_e32 v4, v176
	v_mov_b32_e32 v170, 0
	v_mov_b32_e32 v176, 0
	;; [unrolled: 1-line block ×3, first 2 shown]
	v_pk_fma_f32 v[0:1], v[4:5], v[0:1], v[2:3]
	s_nop 0
	v_pk_add_f32 v[68:69], v[68:69], v[0:1]
	ds_read_b128 v[0:3], v43 offset:4096
	ds_read_b128 v[4:7], v43 offset:4112
	ds_read2_b32 v[40:41], v42 offset0:128 offset1:160
	s_waitcnt lgkmcnt(2)
	v_dot4c_i32_i8_e32 v170, v26, v0
	v_dot4c_i32_i8_e32 v172, v14, v0
	v_dot4c_i32_i8_e32 v174, v10, v0
	v_dot4c_i32_i8_e32 v176, v8, v0
	s_waitcnt lgkmcnt(1)
	v_dot4c_i32_i8_e32 v170, v27, v4
	v_dot4c_i32_i8_e32 v172, v15, v4
	;; [unrolled: 1-line block ×28, first 2 shown]
	ds_read_b128 v[0:3], v43 offset:5120
	ds_read_b128 v[4:7], v43 offset:5136
	s_waitcnt lgkmcnt(2)
	v_pk_mul_f16 v168, v163, v40
	v_pk_mul_f16 v169, v163, v41
	v_cvt_f32_f16_e32 v166, v168
	s_waitcnt lgkmcnt(1)
	v_dot4c_i32_i8_e32 v171, v26, v0
	s_waitcnt lgkmcnt(0)
	v_dot4c_i32_i8_e32 v171, v27, v4
	v_dot4c_i32_i8_e32 v171, v32, v1
	v_dot4c_i32_i8_e32 v171, v33, v5
	v_dot4c_i32_i8_e32 v171, v36, v2
	v_dot4c_i32_i8_e32 v171, v37, v6
	v_dot4c_i32_i8_e32 v171, v38, v3
	v_dot4c_i32_i8_e32 v171, v39, v7
	v_cvt_f32_f16_e32 v167, v169
	v_cvt_f32_f16_sdwa v169, v169 dst_sel:DWORD dst_unused:UNUSED_PAD src0_sel:WORD_1
	v_cvt_f32_f16_sdwa v168, v168 dst_sel:DWORD dst_unused:UNUSED_PAD src0_sel:WORD_1
	v_cvt_f32_i32_e32 v171, v171
	v_cvt_f32_i32_e32 v170, v170
	v_pk_mul_f16 v173, v51, v40
	v_pk_mul_f16 v175, v50, v40
	;; [unrolled: 1-line block ×3, first 2 shown]
	v_pk_fma_f32 v[166:167], v[170:171], v[166:167], v[168:169]
	v_mov_b32_e32 v170, 0
	v_dot4c_i32_i8_e32 v170, v14, v0
	v_dot4c_i32_i8_e32 v170, v15, v4
	;; [unrolled: 1-line block ×8, first 2 shown]
	v_pk_mul_f16 v168, v51, v41
	v_pk_add_f32 v[66:67], v[66:67], v[166:167]
	v_cvt_f32_f16_e32 v167, v168
	v_cvt_f32_f16_e32 v166, v173
	v_cvt_f32_f16_sdwa v169, v168 dst_sel:DWORD dst_unused:UNUSED_PAD src0_sel:WORD_1
	v_cvt_f32_f16_sdwa v168, v173 dst_sel:DWORD dst_unused:UNUSED_PAD src0_sel:WORD_1
	v_cvt_f32_i32_e32 v171, v170
	v_cvt_f32_i32_e32 v170, v172
	v_mov_b32_e32 v172, 0
	v_mov_b32_e32 v173, 0
	v_pk_fma_f32 v[166:167], v[170:171], v[166:167], v[168:169]
	v_mov_b32_e32 v170, 0
	v_dot4c_i32_i8_e32 v170, v10, v0
	v_dot4c_i32_i8_e32 v170, v11, v4
	;; [unrolled: 1-line block ×8, first 2 shown]
	v_pk_mul_f16 v168, v50, v41
	v_pk_add_f32 v[64:65], v[64:65], v[166:167]
	v_cvt_f32_f16_e32 v167, v168
	v_cvt_f32_f16_e32 v166, v175
	v_cvt_f32_f16_sdwa v169, v168 dst_sel:DWORD dst_unused:UNUSED_PAD src0_sel:WORD_1
	v_cvt_f32_f16_sdwa v168, v175 dst_sel:DWORD dst_unused:UNUSED_PAD src0_sel:WORD_1
	v_cvt_f32_i32_e32 v171, v170
	v_cvt_f32_i32_e32 v170, v174
	v_pk_fma_f32 v[166:167], v[170:171], v[166:167], v[168:169]
	s_nop 0
	v_pk_add_f32 v[62:63], v[62:63], v[166:167]
	v_mov_b32_e32 v166, 0
	v_dot4c_i32_i8_e32 v166, v8, v0
	v_dot4c_i32_i8_e32 v166, v9, v4
	;; [unrolled: 1-line block ×8, first 2 shown]
	v_pk_mul_f16 v2, v49, v41
	v_cvt_f32_f16_e32 v0, v40
	v_cvt_f32_f16_e32 v1, v2
	v_cvt_f32_f16_sdwa v3, v2 dst_sel:DWORD dst_unused:UNUSED_PAD src0_sel:WORD_1
	v_cvt_f32_f16_sdwa v2, v40 dst_sel:DWORD dst_unused:UNUSED_PAD src0_sel:WORD_1
	v_cvt_f32_i32_e32 v5, v166
	v_cvt_f32_i32_e32 v4, v176
	v_mov_b32_e32 v166, 0
	v_mov_b32_e32 v168, 0
	;; [unrolled: 1-line block ×3, first 2 shown]
	v_pk_fma_f32 v[0:1], v[4:5], v[0:1], v[2:3]
	s_nop 0
	v_pk_add_f32 v[60:61], v[60:61], v[0:1]
	ds_read_b128 v[0:3], v43 offset:6144
	ds_read_b128 v[4:7], v43 offset:6160
	ds_read2_b32 v[40:41], v42 offset0:192 offset1:224
	v_add_u32_e32 v42, 4, v42
	s_waitcnt lgkmcnt(2)
	v_dot4c_i32_i8_e32 v166, v26, v0
	v_dot4c_i32_i8_e32 v168, v14, v0
	;; [unrolled: 1-line block ×4, first 2 shown]
	s_waitcnt lgkmcnt(1)
	v_dot4c_i32_i8_e32 v166, v27, v4
	v_dot4c_i32_i8_e32 v168, v15, v4
	;; [unrolled: 1-line block ×28, first 2 shown]
	ds_read_b128 v[0:3], v43 offset:7168
	ds_read_b128 v[4:7], v43 offset:7184
	s_waitcnt lgkmcnt(2)
	v_pk_mul_f16 v167, v163, v40
	v_pk_mul_f16 v169, v51, v40
	;; [unrolled: 1-line block ×3, first 2 shown]
	s_waitcnt lgkmcnt(1)
	v_dot4c_i32_i8_e32 v173, v26, v0
	s_waitcnt lgkmcnt(0)
	v_dot4c_i32_i8_e32 v173, v27, v4
	v_dot4c_i32_i8_e32 v173, v32, v1
	;; [unrolled: 1-line block ×7, first 2 shown]
	v_pk_mul_f16 v32, v163, v41
	v_cvt_f32_f16_e32 v26, v167
	v_cvt_f32_f16_e32 v27, v32
	v_cvt_f32_f16_sdwa v33, v32 dst_sel:DWORD dst_unused:UNUSED_PAD src0_sel:WORD_1
	v_cvt_f32_f16_sdwa v32, v167 dst_sel:DWORD dst_unused:UNUSED_PAD src0_sel:WORD_1
	v_cvt_f32_i32_e32 v37, v173
	v_cvt_f32_i32_e32 v36, v166
	v_pk_mul_f16 v40, v49, v40
	v_add_u32_e32 v43, 32, v43
	v_pk_fma_f32 v[26:27], v[36:37], v[26:27], v[32:33]
	s_nop 0
	v_pk_add_f32 v[58:59], v[58:59], v[26:27]
	v_mov_b32_e32 v26, 0
	v_dot4c_i32_i8_e32 v26, v14, v0
	v_dot4c_i32_i8_e32 v26, v15, v4
	;; [unrolled: 1-line block ×8, first 2 shown]
	v_pk_mul_f16 v22, v51, v41
	v_cvt_f32_f16_e32 v14, v169
	v_cvt_f32_f16_e32 v15, v22
	v_cvt_f32_f16_sdwa v23, v22 dst_sel:DWORD dst_unused:UNUSED_PAD src0_sel:WORD_1
	v_cvt_f32_f16_sdwa v22, v169 dst_sel:DWORD dst_unused:UNUSED_PAD src0_sel:WORD_1
	v_cvt_f32_i32_e32 v27, v26
	v_cvt_f32_i32_e32 v26, v168
	v_pk_fma_f32 v[14:15], v[26:27], v[14:15], v[22:23]
	v_mov_b32_e32 v22, 0
	v_dot4c_i32_i8_e32 v22, v10, v0
	v_dot4c_i32_i8_e32 v22, v11, v4
	;; [unrolled: 1-line block ×7, first 2 shown]
	v_pk_add_f32 v[56:57], v[56:57], v[14:15]
	v_dot4c_i32_i8_e32 v22, v29, v7
	v_pk_mul_f16 v14, v50, v41
	v_cvt_f32_f16_e32 v10, v171
	v_cvt_f32_f16_e32 v11, v14
	v_cvt_f32_f16_sdwa v15, v14 dst_sel:DWORD dst_unused:UNUSED_PAD src0_sel:WORD_1
	v_cvt_f32_f16_sdwa v14, v171 dst_sel:DWORD dst_unused:UNUSED_PAD src0_sel:WORD_1
	v_cvt_f32_i32_e32 v17, v22
	v_cvt_f32_i32_e32 v16, v170
	v_pk_fma_f32 v[10:11], v[16:17], v[10:11], v[14:15]
	s_nop 0
	v_pk_add_f32 v[54:55], v[54:55], v[10:11]
	v_mov_b32_e32 v10, 0
	v_dot4c_i32_i8_e32 v10, v8, v0
	v_dot4c_i32_i8_e32 v10, v9, v4
	;; [unrolled: 1-line block ×8, first 2 shown]
	v_pk_mul_f16 v2, v49, v41
	v_cvt_f32_f16_e32 v0, v40
	v_cvt_f32_f16_e32 v1, v2
	v_cvt_f32_f16_sdwa v3, v2 dst_sel:DWORD dst_unused:UNUSED_PAD src0_sel:WORD_1
	v_cvt_f32_f16_sdwa v2, v40 dst_sel:DWORD dst_unused:UNUSED_PAD src0_sel:WORD_1
	v_cvt_f32_i32_e32 v5, v10
	v_cvt_f32_i32_e32 v4, v172
	v_pk_fma_f32 v[0:1], v[4:5], v[0:1], v[2:3]
	s_nop 0
	v_pk_add_f32 v[52:53], v[52:53], v[0:1]
	s_cbranch_scc1 .LBB124_12
; %bb.13:                               ;   in Loop: Header=BB124_7 Depth=1
	s_barrier
	s_branch .LBB124_6
.LBB124_14:
	v_mov_b32_e32 v1, v81
	v_cmp_gt_u32_e32 vcc, s10, v83
	s_and_saveexec_b64 s[0:1], vcc
	s_cbranch_execz .LBB124_3
.LBB124_15:
	v_add_u32_e32 v0, s4, v77
	v_mul_lo_u32 v5, v83, s14
	v_cmp_gt_u32_e32 vcc, s14, v0
	s_and_saveexec_b64 s[0:1], vcc
	s_cbranch_execz .LBB124_17
; %bb.16:
	v_add_u32_e32 v2, v0, v5
	v_mov_b32_e32 v3, 0
	s_waitcnt lgkmcnt(0)
	v_lshl_add_u64 v[2:3], v[2:3], 2, s[12:13]
	global_store_dword v[2:3], v148, off
.LBB124_17:
	s_or_b64 exec, exec, s[0:1]
	v_add_u32_e32 v2, 32, v0
	v_cmp_gt_u32_e64 s[0:1], s14, v2
	s_and_saveexec_b64 s[2:3], s[0:1]
	s_cbranch_execz .LBB124_19
; %bb.18:
	v_add_u32_e32 v6, v2, v5
	v_mov_b32_e32 v7, 0
	s_waitcnt lgkmcnt(0)
	v_lshl_add_u64 v[6:7], v[6:7], 2, s[12:13]
	global_store_dword v[6:7], v152, off
.LBB124_19:
	s_or_b64 exec, exec, s[2:3]
	v_add_u32_e32 v3, 64, v0
	v_cmp_gt_u32_e64 s[2:3], s14, v3
	s_and_saveexec_b64 s[4:5], s[2:3]
	s_cbranch_execz .LBB124_21
; %bb.20:
	v_add_u32_e32 v6, v3, v5
	v_mov_b32_e32 v7, 0
	s_waitcnt lgkmcnt(0)
	v_lshl_add_u64 v[6:7], v[6:7], 2, s[12:13]
	global_store_dword v[6:7], v134, off
.LBB124_21:
	s_or_b64 exec, exec, s[4:5]
	v_add_u32_e32 v4, 0x60, v0
	v_cmp_gt_u32_e64 s[4:5], s14, v4
	s_and_saveexec_b64 s[6:7], s[4:5]
	s_cbranch_execz .LBB124_23
; %bb.22:
	v_add_u32_e32 v6, v4, v5
	v_mov_b32_e32 v7, 0
	s_waitcnt lgkmcnt(0)
	v_lshl_add_u64 v[6:7], v[6:7], 2, s[12:13]
	global_store_dword v[6:7], v122, off
.LBB124_23:
	s_or_b64 exec, exec, s[6:7]
	v_add3_u32 v5, v1, s15, 8
	v_cmp_gt_u32_e64 s[6:7], s10, v5
	s_and_b64 exec, exec, s[6:7]
	s_cbranch_execz .LBB124_3
; %bb.24:
	v_mul_lo_u32 v5, v5, s14
	s_and_saveexec_b64 s[6:7], vcc
	s_cbranch_execnz .LBB124_64
; %bb.25:
	s_or_b64 exec, exec, s[6:7]
	s_and_saveexec_b64 s[6:7], s[0:1]
	s_cbranch_execnz .LBB124_65
.LBB124_26:
	s_or_b64 exec, exec, s[6:7]
	s_and_saveexec_b64 s[6:7], s[2:3]
	s_cbranch_execnz .LBB124_66
.LBB124_27:
	s_or_b64 exec, exec, s[6:7]
	s_and_saveexec_b64 s[6:7], s[4:5]
	s_cbranch_execz .LBB124_29
.LBB124_28:
	v_add_u32_e32 v6, v5, v4
	v_mov_b32_e32 v7, 0
	s_waitcnt lgkmcnt(0)
	v_lshl_add_u64 v[6:7], v[6:7], 2, s[12:13]
	global_store_dword v[6:7], v123, off
.LBB124_29:
	s_or_b64 exec, exec, s[6:7]
	v_add3_u32 v5, v1, s15, 16
	v_cmp_gt_u32_e64 s[6:7], s10, v5
	s_and_b64 exec, exec, s[6:7]
	s_cbranch_execz .LBB124_3
; %bb.30:
	v_mul_lo_u32 v5, v5, s14
	s_and_saveexec_b64 s[6:7], vcc
	s_cbranch_execnz .LBB124_67
; %bb.31:
	s_or_b64 exec, exec, s[6:7]
	s_and_saveexec_b64 s[6:7], s[0:1]
	s_cbranch_execnz .LBB124_68
.LBB124_32:
	s_or_b64 exec, exec, s[6:7]
	s_and_saveexec_b64 s[6:7], s[2:3]
	s_cbranch_execnz .LBB124_69
.LBB124_33:
	s_or_b64 exec, exec, s[6:7]
	s_and_saveexec_b64 s[6:7], s[4:5]
	s_cbranch_execz .LBB124_35
.LBB124_34:
	v_add_u32_e32 v6, v5, v4
	v_mov_b32_e32 v7, 0
	s_waitcnt lgkmcnt(0)
	v_lshl_add_u64 v[6:7], v[6:7], 2, s[12:13]
	global_store_dword v[6:7], v68, off
.LBB124_35:
	s_or_b64 exec, exec, s[6:7]
	v_add3_u32 v5, v1, s15, 24
	v_cmp_gt_u32_e64 s[6:7], s10, v5
	s_and_b64 exec, exec, s[6:7]
	s_cbranch_execz .LBB124_3
; %bb.36:
	v_mul_lo_u32 v5, v5, s14
	s_and_saveexec_b64 s[6:7], vcc
	s_cbranch_execnz .LBB124_70
; %bb.37:
	s_or_b64 exec, exec, s[6:7]
	s_and_saveexec_b64 s[6:7], s[0:1]
	s_cbranch_execnz .LBB124_71
.LBB124_38:
	s_or_b64 exec, exec, s[6:7]
	s_and_saveexec_b64 s[6:7], s[2:3]
	s_cbranch_execnz .LBB124_72
.LBB124_39:
	s_or_b64 exec, exec, s[6:7]
	s_and_saveexec_b64 s[6:7], s[4:5]
	s_cbranch_execz .LBB124_41
.LBB124_40:
	v_add_u32_e32 v6, v5, v4
	v_mov_b32_e32 v7, 0
	s_waitcnt lgkmcnt(0)
	v_lshl_add_u64 v[6:7], v[6:7], 2, s[12:13]
	global_store_dword v[6:7], v69, off
.LBB124_41:
	s_or_b64 exec, exec, s[6:7]
	v_add3_u32 v5, v1, s15, 32
	v_cmp_gt_u32_e64 s[6:7], s10, v5
	s_and_b64 exec, exec, s[6:7]
	s_cbranch_execz .LBB124_3
; %bb.42:
	v_mul_lo_u32 v5, v5, s14
	s_and_saveexec_b64 s[6:7], vcc
	s_cbranch_execnz .LBB124_73
; %bb.43:
	s_or_b64 exec, exec, s[6:7]
	s_and_saveexec_b64 s[6:7], s[0:1]
	s_cbranch_execnz .LBB124_74
.LBB124_44:
	s_or_b64 exec, exec, s[6:7]
	s_and_saveexec_b64 s[6:7], s[2:3]
	s_cbranch_execnz .LBB124_75
.LBB124_45:
	s_or_b64 exec, exec, s[6:7]
	s_and_saveexec_b64 s[6:7], s[4:5]
	s_cbranch_execz .LBB124_47
.LBB124_46:
	v_add_u32_e32 v6, v5, v4
	v_mov_b32_e32 v7, 0
	s_waitcnt lgkmcnt(0)
	v_lshl_add_u64 v[6:7], v[6:7], 2, s[12:13]
	global_store_dword v[6:7], v60, off
.LBB124_47:
	s_or_b64 exec, exec, s[6:7]
	v_add3_u32 v5, v1, s15, 40
	v_cmp_gt_u32_e64 s[6:7], s10, v5
	s_and_b64 exec, exec, s[6:7]
	s_cbranch_execz .LBB124_3
; %bb.48:
	v_mul_lo_u32 v5, v5, s14
	s_and_saveexec_b64 s[6:7], vcc
	s_cbranch_execnz .LBB124_76
; %bb.49:
	s_or_b64 exec, exec, s[6:7]
	s_and_saveexec_b64 s[6:7], s[0:1]
	s_cbranch_execnz .LBB124_77
.LBB124_50:
	s_or_b64 exec, exec, s[6:7]
	s_and_saveexec_b64 s[6:7], s[2:3]
	s_cbranch_execnz .LBB124_78
.LBB124_51:
	s_or_b64 exec, exec, s[6:7]
	s_and_saveexec_b64 s[6:7], s[4:5]
	s_cbranch_execz .LBB124_53
.LBB124_52:
	v_add_u32_e32 v6, v5, v4
	v_mov_b32_e32 v7, 0
	s_waitcnt lgkmcnt(0)
	v_lshl_add_u64 v[6:7], v[6:7], 2, s[12:13]
	global_store_dword v[6:7], v61, off
.LBB124_53:
	s_or_b64 exec, exec, s[6:7]
	v_add3_u32 v5, v1, s15, 48
	v_cmp_gt_u32_e64 s[6:7], s10, v5
	s_and_b64 exec, exec, s[6:7]
	s_cbranch_execz .LBB124_3
; %bb.54:
	v_mul_lo_u32 v5, v5, s14
	s_and_saveexec_b64 s[6:7], vcc
	s_cbranch_execnz .LBB124_79
; %bb.55:
	s_or_b64 exec, exec, s[6:7]
	s_and_saveexec_b64 s[6:7], s[0:1]
	s_cbranch_execnz .LBB124_80
.LBB124_56:
	s_or_b64 exec, exec, s[6:7]
	s_and_saveexec_b64 s[6:7], s[2:3]
	s_cbranch_execnz .LBB124_81
.LBB124_57:
	s_or_b64 exec, exec, s[6:7]
	s_and_saveexec_b64 s[6:7], s[4:5]
	s_cbranch_execz .LBB124_59
.LBB124_58:
	v_add_u32_e32 v6, v5, v4
	v_mov_b32_e32 v7, 0
	s_waitcnt lgkmcnt(0)
	v_lshl_add_u64 v[6:7], v[6:7], 2, s[12:13]
	global_store_dword v[6:7], v52, off
.LBB124_59:
	s_or_b64 exec, exec, s[6:7]
	v_add3_u32 v1, v1, s15, 56
	v_cmp_gt_u32_e64 s[6:7], s10, v1
	s_and_b64 exec, exec, s[6:7]
	s_cbranch_execz .LBB124_3
; %bb.60:
	v_mul_lo_u32 v1, v1, s14
	s_and_saveexec_b64 s[6:7], vcc
	s_cbranch_execnz .LBB124_82
; %bb.61:
	s_or_b64 exec, exec, s[6:7]
	s_and_saveexec_b64 s[6:7], s[0:1]
	s_cbranch_execnz .LBB124_83
.LBB124_62:
	s_or_b64 exec, exec, s[6:7]
	s_and_saveexec_b64 s[0:1], s[2:3]
	s_cbranch_execnz .LBB124_84
.LBB124_63:
	s_or_b64 exec, exec, s[0:1]
	s_and_b64 exec, exec, s[4:5]
	s_cbranch_execz .LBB124_3
	s_branch .LBB124_85
.LBB124_64:
	v_add_u32_e32 v6, v5, v0
	v_mov_b32_e32 v7, 0
	s_waitcnt lgkmcnt(0)
	v_lshl_add_u64 v[6:7], v[6:7], 2, s[12:13]
	global_store_dword v[6:7], v149, off
	s_or_b64 exec, exec, s[6:7]
	s_and_saveexec_b64 s[6:7], s[0:1]
	s_cbranch_execz .LBB124_26
.LBB124_65:
	v_add_u32_e32 v6, v5, v2
	v_mov_b32_e32 v7, 0
	s_waitcnt lgkmcnt(0)
	v_lshl_add_u64 v[6:7], v[6:7], 2, s[12:13]
	global_store_dword v[6:7], v153, off
	s_or_b64 exec, exec, s[6:7]
	s_and_saveexec_b64 s[6:7], s[2:3]
	s_cbranch_execz .LBB124_27
.LBB124_66:
	v_add_u32_e32 v6, v5, v3
	v_mov_b32_e32 v7, 0
	s_waitcnt lgkmcnt(0)
	v_lshl_add_u64 v[6:7], v[6:7], 2, s[12:13]
	global_store_dword v[6:7], v135, off
	s_or_b64 exec, exec, s[6:7]
	s_and_saveexec_b64 s[6:7], s[4:5]
	s_cbranch_execnz .LBB124_28
	s_branch .LBB124_29
.LBB124_67:
	v_add_u32_e32 v6, v5, v0
	v_mov_b32_e32 v7, 0
	s_waitcnt lgkmcnt(0)
	v_lshl_add_u64 v[6:7], v[6:7], 2, s[12:13]
	global_store_dword v[6:7], v74, off
	s_or_b64 exec, exec, s[6:7]
	s_and_saveexec_b64 s[6:7], s[0:1]
	s_cbranch_execz .LBB124_32
.LBB124_68:
	v_add_u32_e32 v6, v5, v2
	v_mov_b32_e32 v7, 0
	s_waitcnt lgkmcnt(0)
	v_lshl_add_u64 v[6:7], v[6:7], 2, s[12:13]
	global_store_dword v[6:7], v72, off
	s_or_b64 exec, exec, s[6:7]
	s_and_saveexec_b64 s[6:7], s[2:3]
	s_cbranch_execz .LBB124_33
.LBB124_69:
	v_add_u32_e32 v6, v5, v3
	v_mov_b32_e32 v7, 0
	s_waitcnt lgkmcnt(0)
	v_lshl_add_u64 v[6:7], v[6:7], 2, s[12:13]
	global_store_dword v[6:7], v70, off
	s_or_b64 exec, exec, s[6:7]
	s_and_saveexec_b64 s[6:7], s[4:5]
	s_cbranch_execnz .LBB124_34
	s_branch .LBB124_35
.LBB124_70:
	v_add_u32_e32 v6, v5, v0
	v_mov_b32_e32 v7, 0
	s_waitcnt lgkmcnt(0)
	v_lshl_add_u64 v[6:7], v[6:7], 2, s[12:13]
	global_store_dword v[6:7], v75, off
	s_or_b64 exec, exec, s[6:7]
	s_and_saveexec_b64 s[6:7], s[0:1]
	s_cbranch_execz .LBB124_38
.LBB124_71:
	v_add_u32_e32 v6, v5, v2
	v_mov_b32_e32 v7, 0
	s_waitcnt lgkmcnt(0)
	v_lshl_add_u64 v[6:7], v[6:7], 2, s[12:13]
	global_store_dword v[6:7], v73, off
	s_or_b64 exec, exec, s[6:7]
	s_and_saveexec_b64 s[6:7], s[2:3]
	s_cbranch_execz .LBB124_39
.LBB124_72:
	v_add_u32_e32 v6, v5, v3
	v_mov_b32_e32 v7, 0
	s_waitcnt lgkmcnt(0)
	v_lshl_add_u64 v[6:7], v[6:7], 2, s[12:13]
	global_store_dword v[6:7], v71, off
	s_or_b64 exec, exec, s[6:7]
	s_and_saveexec_b64 s[6:7], s[4:5]
	s_cbranch_execnz .LBB124_40
	s_branch .LBB124_41
.LBB124_73:
	v_add_u32_e32 v6, v5, v0
	v_mov_b32_e32 v7, 0
	s_waitcnt lgkmcnt(0)
	v_lshl_add_u64 v[6:7], v[6:7], 2, s[12:13]
	global_store_dword v[6:7], v66, off
	s_or_b64 exec, exec, s[6:7]
	s_and_saveexec_b64 s[6:7], s[0:1]
	s_cbranch_execz .LBB124_44
.LBB124_74:
	v_add_u32_e32 v6, v5, v2
	v_mov_b32_e32 v7, 0
	s_waitcnt lgkmcnt(0)
	v_lshl_add_u64 v[6:7], v[6:7], 2, s[12:13]
	global_store_dword v[6:7], v64, off
	s_or_b64 exec, exec, s[6:7]
	s_and_saveexec_b64 s[6:7], s[2:3]
	s_cbranch_execz .LBB124_45
.LBB124_75:
	v_add_u32_e32 v6, v5, v3
	v_mov_b32_e32 v7, 0
	s_waitcnt lgkmcnt(0)
	v_lshl_add_u64 v[6:7], v[6:7], 2, s[12:13]
	global_store_dword v[6:7], v62, off
	s_or_b64 exec, exec, s[6:7]
	s_and_saveexec_b64 s[6:7], s[4:5]
	s_cbranch_execnz .LBB124_46
	s_branch .LBB124_47
.LBB124_76:
	v_add_u32_e32 v6, v5, v0
	v_mov_b32_e32 v7, 0
	s_waitcnt lgkmcnt(0)
	v_lshl_add_u64 v[6:7], v[6:7], 2, s[12:13]
	global_store_dword v[6:7], v67, off
	s_or_b64 exec, exec, s[6:7]
	s_and_saveexec_b64 s[6:7], s[0:1]
	s_cbranch_execz .LBB124_50
.LBB124_77:
	v_add_u32_e32 v6, v5, v2
	v_mov_b32_e32 v7, 0
	s_waitcnt lgkmcnt(0)
	v_lshl_add_u64 v[6:7], v[6:7], 2, s[12:13]
	global_store_dword v[6:7], v65, off
	s_or_b64 exec, exec, s[6:7]
	s_and_saveexec_b64 s[6:7], s[2:3]
	s_cbranch_execz .LBB124_51
.LBB124_78:
	v_add_u32_e32 v6, v5, v3
	v_mov_b32_e32 v7, 0
	s_waitcnt lgkmcnt(0)
	v_lshl_add_u64 v[6:7], v[6:7], 2, s[12:13]
	global_store_dword v[6:7], v63, off
	s_or_b64 exec, exec, s[6:7]
	s_and_saveexec_b64 s[6:7], s[4:5]
	s_cbranch_execnz .LBB124_52
	s_branch .LBB124_53
.LBB124_79:
	v_add_u32_e32 v6, v5, v0
	v_mov_b32_e32 v7, 0
	s_waitcnt lgkmcnt(0)
	v_lshl_add_u64 v[6:7], v[6:7], 2, s[12:13]
	global_store_dword v[6:7], v58, off
	s_or_b64 exec, exec, s[6:7]
	s_and_saveexec_b64 s[6:7], s[0:1]
	s_cbranch_execz .LBB124_56
.LBB124_80:
	v_add_u32_e32 v6, v5, v2
	v_mov_b32_e32 v7, 0
	s_waitcnt lgkmcnt(0)
	v_lshl_add_u64 v[6:7], v[6:7], 2, s[12:13]
	global_store_dword v[6:7], v56, off
	s_or_b64 exec, exec, s[6:7]
	s_and_saveexec_b64 s[6:7], s[2:3]
	s_cbranch_execz .LBB124_57
.LBB124_81:
	v_add_u32_e32 v6, v5, v3
	v_mov_b32_e32 v7, 0
	s_waitcnt lgkmcnt(0)
	v_lshl_add_u64 v[6:7], v[6:7], 2, s[12:13]
	global_store_dword v[6:7], v54, off
	s_or_b64 exec, exec, s[6:7]
	s_and_saveexec_b64 s[6:7], s[4:5]
	s_cbranch_execnz .LBB124_58
	s_branch .LBB124_59
.LBB124_82:
	v_add_u32_e32 v6, v1, v0
	v_mov_b32_e32 v7, 0
	s_waitcnt lgkmcnt(0)
	v_lshl_add_u64 v[6:7], v[6:7], 2, s[12:13]
	global_store_dword v[6:7], v59, off
	s_or_b64 exec, exec, s[6:7]
	s_and_saveexec_b64 s[6:7], s[0:1]
	s_cbranch_execz .LBB124_62
.LBB124_83:
	v_add_u32_e32 v6, v1, v2
	v_mov_b32_e32 v7, 0
	s_waitcnt lgkmcnt(0)
	v_lshl_add_u64 v[6:7], v[6:7], 2, s[12:13]
	global_store_dword v[6:7], v57, off
	s_or_b64 exec, exec, s[6:7]
	s_and_saveexec_b64 s[0:1], s[2:3]
	s_cbranch_execz .LBB124_63
.LBB124_84:
	v_add_u32_e32 v2, v1, v3
	v_mov_b32_e32 v3, 0
	s_waitcnt lgkmcnt(0)
	v_lshl_add_u64 v[2:3], v[2:3], 2, s[12:13]
	global_store_dword v[2:3], v55, off
	s_or_b64 exec, exec, s[0:1]
	s_and_b64 exec, exec, s[4:5]
	s_cbranch_execz .LBB124_3
.LBB124_85:
	v_add_u32_e32 v0, v1, v4
	v_mov_b32_e32 v1, 0
	s_waitcnt lgkmcnt(0)
	v_lshl_add_u64 v[0:1], v[0:1], 2, s[12:13]
	global_store_dword v[0:1], v53, off
	s_endpgm
	.section	.rodata,"a",@progbits
	.p2align	6, 0x0
	.amdhsa_kernel _ZL12mul_mat_q5_1IfLb1EEvPKvS1_PT_iiiii
		.amdhsa_group_segment_fixed_size 46720
		.amdhsa_private_segment_fixed_size 0
		.amdhsa_kernarg_size 44
		.amdhsa_user_sgpr_count 2
		.amdhsa_user_sgpr_dispatch_ptr 0
		.amdhsa_user_sgpr_queue_ptr 0
		.amdhsa_user_sgpr_kernarg_segment_ptr 1
		.amdhsa_user_sgpr_dispatch_id 0
		.amdhsa_user_sgpr_kernarg_preload_length 0
		.amdhsa_user_sgpr_kernarg_preload_offset 0
		.amdhsa_user_sgpr_private_segment_size 0
		.amdhsa_uses_dynamic_stack 0
		.amdhsa_enable_private_segment 0
		.amdhsa_system_sgpr_workgroup_id_x 1
		.amdhsa_system_sgpr_workgroup_id_y 1
		.amdhsa_system_sgpr_workgroup_id_z 0
		.amdhsa_system_sgpr_workgroup_info 0
		.amdhsa_system_vgpr_workitem_id 1
		.amdhsa_next_free_vgpr 246
		.amdhsa_next_free_sgpr 96
		.amdhsa_accum_offset 248
		.amdhsa_reserve_vcc 1
		.amdhsa_float_round_mode_32 0
		.amdhsa_float_round_mode_16_64 0
		.amdhsa_float_denorm_mode_32 3
		.amdhsa_float_denorm_mode_16_64 3
		.amdhsa_dx10_clamp 1
		.amdhsa_ieee_mode 1
		.amdhsa_fp16_overflow 0
		.amdhsa_tg_split 0
		.amdhsa_exception_fp_ieee_invalid_op 0
		.amdhsa_exception_fp_denorm_src 0
		.amdhsa_exception_fp_ieee_div_zero 0
		.amdhsa_exception_fp_ieee_overflow 0
		.amdhsa_exception_fp_ieee_underflow 0
		.amdhsa_exception_fp_ieee_inexact 0
		.amdhsa_exception_int_div_zero 0
	.end_amdhsa_kernel
	.section	.text._ZL12mul_mat_q5_1IfLb1EEvPKvS1_PT_iiiii,"axG",@progbits,_ZL12mul_mat_q5_1IfLb1EEvPKvS1_PT_iiiii,comdat
.Lfunc_end124:
	.size	_ZL12mul_mat_q5_1IfLb1EEvPKvS1_PT_iiiii, .Lfunc_end124-_ZL12mul_mat_q5_1IfLb1EEvPKvS1_PT_iiiii
                                        ; -- End function
	.set _ZL12mul_mat_q5_1IfLb1EEvPKvS1_PT_iiiii.num_vgpr, 246
	.set _ZL12mul_mat_q5_1IfLb1EEvPKvS1_PT_iiiii.num_agpr, 0
	.set _ZL12mul_mat_q5_1IfLb1EEvPKvS1_PT_iiiii.numbered_sgpr, 18
	.set _ZL12mul_mat_q5_1IfLb1EEvPKvS1_PT_iiiii.num_named_barrier, 0
	.set _ZL12mul_mat_q5_1IfLb1EEvPKvS1_PT_iiiii.private_seg_size, 0
	.set _ZL12mul_mat_q5_1IfLb1EEvPKvS1_PT_iiiii.uses_vcc, 1
	.set _ZL12mul_mat_q5_1IfLb1EEvPKvS1_PT_iiiii.uses_flat_scratch, 0
	.set _ZL12mul_mat_q5_1IfLb1EEvPKvS1_PT_iiiii.has_dyn_sized_stack, 0
	.set _ZL12mul_mat_q5_1IfLb1EEvPKvS1_PT_iiiii.has_recursion, 0
	.set _ZL12mul_mat_q5_1IfLb1EEvPKvS1_PT_iiiii.has_indirect_call, 0
	.section	.AMDGPU.csdata,"",@progbits
; Kernel info:
; codeLenInByte = 12772
; TotalNumSgprs: 24
; NumVgprs: 246
; NumAgprs: 0
; TotalNumVgprs: 246
; ScratchSize: 0
; MemoryBound: 0
; FloatMode: 240
; IeeeMode: 1
; LDSByteSize: 46720 bytes/workgroup (compile time only)
; SGPRBlocks: 12
; VGPRBlocks: 30
; NumSGPRsForWavesPerEU: 102
; NumVGPRsForWavesPerEU: 246
; AccumOffset: 248
; Occupancy: 2
; WaveLimiterHint : 0
; COMPUTE_PGM_RSRC2:SCRATCH_EN: 0
; COMPUTE_PGM_RSRC2:USER_SGPR: 2
; COMPUTE_PGM_RSRC2:TRAP_HANDLER: 0
; COMPUTE_PGM_RSRC2:TGID_X_EN: 1
; COMPUTE_PGM_RSRC2:TGID_Y_EN: 1
; COMPUTE_PGM_RSRC2:TGID_Z_EN: 0
; COMPUTE_PGM_RSRC2:TIDIG_COMP_CNT: 1
; COMPUTE_PGM_RSRC3_GFX90A:ACCUM_OFFSET: 61
; COMPUTE_PGM_RSRC3_GFX90A:TG_SPLIT: 0
	.section	.text._ZL12mul_mat_q8_0IfLb0EEvPKvS1_PT_iiiii,"axG",@progbits,_ZL12mul_mat_q8_0IfLb0EEvPKvS1_PT_iiiii,comdat
	.globl	_ZL12mul_mat_q8_0IfLb0EEvPKvS1_PT_iiiii ; -- Begin function _ZL12mul_mat_q8_0IfLb0EEvPKvS1_PT_iiiii
	.p2align	8
	.type	_ZL12mul_mat_q8_0IfLb0EEvPKvS1_PT_iiiii,@function
_ZL12mul_mat_q8_0IfLb0EEvPKvS1_PT_iiiii: ; @_ZL12mul_mat_q8_0IfLb0EEvPKvS1_PT_iiiii
; %bb.0:
	s_load_dword s7, s[0:1], 0x18
	s_load_dwordx4 s[8:11], s[0:1], 0x20
	s_waitcnt lgkmcnt(0)
	s_lshl_b32 s11, s3, 6
	v_bfe_u32 v45, v0, 10, 10
	s_cmp_gt_i32 s7, 31
	s_cbranch_scc1 .LBB125_2
; %bb.1:
	v_bfe_u32 v1, v0, 10, 10
	v_and_b32_e32 v41, 0x3ff, v0
	v_add_u32_e32 v47, s11, v1
	s_mov_b64 s[4:5], 0
	s_branch .LBB125_3
.LBB125_2:
	s_mov_b64 s[4:5], -1
                                        ; implicit-def: $vgpr1
                                        ; implicit-def: $vgpr41
                                        ; implicit-def: $vgpr47
.LBB125_3:
	s_load_dwordx2 s[12:13], s[0:1], 0x10
	s_lshl_b32 s6, s2, 7
	v_mov_b32_e32 v9, 0
	s_andn2_b64 vcc, exec, s[4:5]
	v_mov_b32_e32 v8, 0
	v_mov_b32_e32 v17, 0
	;; [unrolled: 1-line block ×31, first 2 shown]
	s_cbranch_vccnz .LBB125_9
; %bb.4:
	s_ashr_i32 s4, s7, 31
	s_load_dwordx4 s[0:3], s[0:1], 0x0
	s_lshr_b32 s4, s4, 27
	s_ashr_i32 s5, s9, 31
	s_add_i32 s7, s7, s4
	s_lshr_b32 s5, s5, 27
	s_ashr_i32 s4, s7, 5
	s_add_i32 s5, s9, s5
	s_ashr_i32 s9, s5, 5
	s_mul_i32 s5, s4, s6
	s_mul_hi_i32 s7, s5, 34
	s_mul_i32 s5, s5, 34
	v_and_b32_e32 v41, 0x3ff, v0
	s_waitcnt lgkmcnt(0)
	s_add_u32 s5, s0, s5
	v_lshlrev_b32_e32 v1, 2, v41
	s_movk_i32 s0, 0x84
	s_addc_u32 s7, s1, s7
	v_mul_lo_u32 v44, s4, v45
	v_mad_u32_u24 v49, v45, s0, v1
	s_lshl_b32 s0, s4, 3
	v_add_u32_e32 v46, s0, v44
	v_add_u32_e32 v48, s0, v46
	;; [unrolled: 1-line block ×7, first 2 shown]
	v_and_b32_e32 v42, 28, v1
	v_add_u32_e32 v60, s0, v58
	v_lshlrev_b32_e32 v1, 3, v45
	v_bfe_u32 v2, v0, 2, 8
	v_add_u32_e32 v62, s0, v60
	v_add_u32_e32 v4, v2, v1
	v_add_u16_e32 v1, v2, v1
	v_add_u32_e32 v64, s0, v62
	v_and_b32_e32 v76, 3, v0
	v_lshrrev_b16_e32 v1, 1, v1
	v_add_u32_e32 v66, s0, v64
	v_and_b32_e32 v1, 0x7fc, v1
	v_lshlrev_b32_e32 v5, 2, v76
	s_movk_i32 s14, 0x6200
	v_add_u32_e32 v68, s0, v66
	v_add3_u32 v6, v1, v5, s14
	v_add_u32_e32 v1, 64, v4
	v_bfe_u32 v40, v0, 3, 7
	v_add_u32_e32 v70, s0, v68
	v_lshrrev_b32_e32 v2, 1, v1
	v_lshlrev_b32_e32 v9, 4, v1
	v_and_b32_e32 v0, 31, v0
	v_mov_b32_e32 v1, 0x4200
	v_add_u32_e32 v72, s0, v70
	v_lshl_or_b32 v10, v0, 2, v1
	v_and_b32_e32 v0, 63, v4
	v_add_u32_e32 v74, s0, v72
	s_add_i32 s0, s8, -1
	v_or_b32_e32 v1, s11, v0
	v_add_u32_e32 v77, 0x39c0, v49
	v_and_b32_e32 v2, 0xffc, v2
	v_add_u32_e32 v47, s11, v45
	v_min_i32_e32 v1, s0, v1
	v_lshl_or_b32 v0, v0, 4, v5
	v_add3_u32 v8, v2, v5, s14
	v_cvt_f64_i32_e32 v[2:3], s0
	v_mad_u64_u32 v[82:83], s[0:1], v1, s9, v[76:77]
	v_add_u32_e32 v81, 0x6a40, v0
	v_cvt_f64_u32_e32 v[0:1], v47
	v_min_f64 v[0:1], v[0:1], v[2:3]
	v_cvt_i32_f64_e32 v0, v[0:1]
	v_mul_lo_u32 v83, s9, v0
	v_add_u32_e32 v0, 8, v47
	v_cvt_f64_u32_e32 v[0:1], v0
	v_min_f64 v[0:1], v[0:1], v[2:3]
	v_cvt_i32_f64_e32 v0, v[0:1]
	v_mul_lo_u32 v87, s9, v0
	;; [unrolled: 5-line block ×7, first 2 shown]
	v_add_u32_e32 v0, 56, v47
	v_cvt_f64_u32_e32 v[0:1], v0
	v_min_f64 v[0:1], v[0:1], v[2:3]
	v_add_u32_e32 v3, 0x60, v41
	v_add_u32_e32 v2, 64, v41
	v_lshrrev_b32_e32 v3, 1, v3
	v_cvt_i32_f64_e32 v0, v[0:1]
	v_add_u32_e32 v1, 32, v41
	v_lshlrev_b32_e32 v16, 4, v41
	v_and_b32_e32 v3, 0xfc, v3
	s_movk_i32 s0, 0x6800
	v_lshrrev_b32_e32 v2, 1, v2
	v_add3_u32 v132, v16, v3, s0
	v_and_b32_e32 v2, 0xfc, v2
	s_movk_i32 s0, 0x6600
	v_lshrrev_b32_e32 v1, 1, v1
	v_add3_u32 v133, v16, v2, s0
	v_and_b32_e32 v1, 0xfc, v1
	s_movk_i32 s0, 0x6400
	v_mov_b32_e32 v43, 0
	v_mul_lo_u32 v78, s4, v4
	v_lshlrev_b32_e32 v7, 4, v4
	v_lshlrev_b32_e32 v4, 7, v45
	v_add3_u32 v134, v16, v1, s0
	v_lshlrev_b32_e32 v1, 2, v40
	v_add_u32_e32 v5, 0x400, v4
	v_add_u32_e32 v11, 0x800, v4
	;; [unrolled: 1-line block ×6, first 2 shown]
	v_mul_lo_u32 v130, s9, v0
	v_add_u32_e32 v0, 0x1c00, v4
	v_add3_u32 v135, v16, v1, s14
	v_mov_b32_e32 v1, 0x6a40
	v_mov_b32_e32 v38, v43
	v_mov_b32_e32 v39, v43
	v_add_u32_e32 v51, 0x420, v49
	v_add_u32_e32 v53, 0x840, v49
	;; [unrolled: 1-line block ×14, first 2 shown]
	v_lshl_add_u32 v80, s4, 6, v78
	v_mul_u32_u24_e32 v131, 0x84, v41
	v_lshl_add_u32 v136, v45, 4, v1
	v_add_u32_e32 v137, 0x4200, v4
	s_mov_b32 s9, 0
	v_add_u32_e32 v138, v6, v7
	v_add_u32_e32 v139, v8, v9
	;; [unrolled: 1-line block ×10, first 2 shown]
	v_lshl_add_u64 v[84:85], s[2:3], 0, v[42:43]
	v_mov_b64_e32 v[30:31], v[38:39]
	v_mov_b64_e32 v[22:23], v[38:39]
	;; [unrolled: 1-line block ×15, first 2 shown]
.LBB125_5:                              ; =>This Loop Header: Depth=1
                                        ;     Child Loop BB125_6 Depth 2
	s_mul_i32 s0, s9, 34
	s_mul_hi_u32 s1, s9, 34
	s_add_u32 s0, s5, s0
	s_addc_u32 s1, s7, s1
	v_mad_u64_u32 v[0:1], s[14:15], v40, 34, s[0:1]
	v_mad_u64_u32 v[2:3], s[14:15], v44, 34, v[0:1]
	v_lshl_add_u64 v[2:3], v[2:3], 0, v[42:43]
	global_load_dword v2, v[2:3], off offset:2
	v_mov_b32_e32 v148, v137
	v_mov_b32_e32 v149, v136
	v_mov_b32_e32 v150, v135
	v_mov_b32_e32 v151, v134
	v_mov_b32_e32 v152, v133
	v_mov_b32_e32 v153, v132
	v_mov_b32_e32 v154, v131
	s_waitcnt vmcnt(0)
	ds_write_b32 v49, v2
	v_mad_u64_u32 v[2:3], s[14:15], v46, 34, v[0:1]
	v_lshl_add_u64 v[2:3], v[2:3], 0, v[42:43]
	global_load_dword v2, v[2:3], off offset:2
	s_waitcnt vmcnt(0)
	ds_write_b32 v51, v2
	v_mad_u64_u32 v[2:3], s[14:15], v48, 34, v[0:1]
	v_lshl_add_u64 v[2:3], v[2:3], 0, v[42:43]
	global_load_dword v2, v[2:3], off offset:2
	;; [unrolled: 5-line block ×13, first 2 shown]
	s_waitcnt vmcnt(0)
	ds_write_b32 v75, v2
	v_mad_u64_u32 v[2:3], s[14:15], v72, 34, v[0:1]
	v_mad_u64_u32 v[0:1], s[14:15], v74, 34, v[0:1]
	v_lshl_add_u64 v[2:3], v[2:3], 0, v[42:43]
	v_lshl_add_u64 v[0:1], v[0:1], 0, v[42:43]
	global_load_dword v2, v[2:3], off offset:2
	s_nop 0
	global_load_dword v0, v[0:1], off offset:2
	s_waitcnt vmcnt(1)
	ds_write_b32 v77, v2
	s_waitcnt vmcnt(0)
	ds_write_b32 v79, v0
	v_mad_u64_u32 v[0:1], s[0:1], v76, 34, s[0:1]
	v_mad_u64_u32 v[2:3], s[0:1], v78, 34, v[0:1]
	;; [unrolled: 1-line block ×3, first 2 shown]
	global_load_ushort v2, v[2:3], off
	s_nop 0
	global_load_ushort v0, v[0:1], off
	s_waitcnt vmcnt(1)
	v_cvt_f32_f16_e32 v2, v2
	s_waitcnt vmcnt(0)
	v_cvt_f32_f16_e32 v0, v0
	ds_write_b32 v138, v2
	v_add_u32_e32 v2, s9, v40
	ds_write_b32 v139, v0
	v_add_u32_e32 v0, s9, v82
	v_mad_u64_u32 v[0:1], s[0:1], v0, 36, s[2:3]
	global_load_dword v3, v[0:1], off
	v_add_u32_e32 v0, v2, v83
	v_mad_i64_i32 v[0:1], s[0:1], v0, 36, v[84:85]
	global_load_dword v0, v[0:1], off offset:4
	s_waitcnt vmcnt(0)
	ds_write_b32 v140, v0
	v_add_u32_e32 v0, v2, v87
	v_mad_i64_i32 v[0:1], s[0:1], v0, 36, v[84:85]
	global_load_dword v0, v[0:1], off offset:4
	s_waitcnt vmcnt(0)
	ds_write_b32 v141, v0
	;; [unrolled: 5-line block ×7, first 2 shown]
	v_add_u32_e32 v0, v2, v130
	v_mad_i64_i32 v[0:1], s[0:1], v0, 36, v[84:85]
	global_load_dword v0, v[0:1], off offset:4
	s_mov_b32 s0, -8
	s_waitcnt vmcnt(0)
	ds_write_b32 v147, v0
	v_cvt_f32_f16_e32 v0, v3
	ds_write_b32 v81, v0
	s_waitcnt lgkmcnt(0)
	s_barrier
.LBB125_6:                              ;   Parent Loop BB125_5 Depth=1
                                        ; =>  This Inner Loop Header: Depth=2
	v_add_u32_e32 v6, 0x1080, v154
	ds_read2_b32 v[0:1], v149 offset1:32
	ds_read_b128 v[2:5], v148
	ds_read_b128 v[156:159], v148 offset:16
	ds_read_b32 v92, v150
	ds_read2_b32 v[118:119], v154 offset1:1
	ds_read2_b32 v[120:121], v154 offset0:2 offset1:3
	ds_read2_b32 v[122:123], v154 offset0:4 offset1:5
	;; [unrolled: 1-line block ×3, first 2 shown]
	ds_read_b32 v88, v151
	ds_read2_b32 v[94:95], v6 offset1:1
	v_add_u32_e32 v6, 0x1088, v154
	ds_read2_b32 v[98:99], v6 offset1:1
	v_add_u32_e32 v6, 0x1090, v154
	ds_read2_b32 v[104:105], v6 offset1:1
	v_add_u32_e32 v6, 0x1098, v154
	ds_read2_b32 v[110:111], v6 offset1:1
	v_add_u32_e32 v6, 0x2100, v154
	ds_read_b32 v90, v152
	ds_read2_b32 v[96:97], v6 offset1:1
	v_add_u32_e32 v6, 0x2108, v154
	ds_read2_b32 v[102:103], v6 offset1:1
	v_add_u32_e32 v6, 0x2110, v154
	ds_read2_b32 v[108:109], v6 offset1:1
	v_add_u32_e32 v6, 0x2118, v154
	ds_read2_b32 v[114:115], v6 offset1:1
	v_add_u32_e32 v6, 0x3180, v154
	ds_read_b32 v86, v153
	ds_read2_b32 v[100:101], v6 offset1:1
	v_mov_b32_e32 v126, 0
	v_mov_b32_e32 v155, 0
	;; [unrolled: 1-line block ×4, first 2 shown]
	s_waitcnt lgkmcnt(14)
	v_dot4c_i32_i8_e32 v126, v118, v2
	s_waitcnt lgkmcnt(10)
	v_dot4c_i32_i8_e32 v155, v94, v2
	;; [unrolled: 2-line block ×4, first 2 shown]
	v_add_u32_e32 v2, 0x3188, v154
	ds_read2_b32 v[106:107], v2 offset1:1
	v_add_u32_e32 v2, 0x3190, v154
	ds_read2_b32 v[112:113], v2 offset1:1
	v_add_u32_e32 v2, 0x3198, v154
	v_dot4c_i32_i8_e32 v126, v119, v3
	v_dot4c_i32_i8_e32 v155, v95, v3
	;; [unrolled: 1-line block ×4, first 2 shown]
	ds_read2_b32 v[116:117], v2 offset1:1
	v_dot4c_i32_i8_e32 v126, v120, v4
	v_dot4c_i32_i8_e32 v155, v98, v4
	v_dot4c_i32_i8_e32 v160, v102, v4
	s_waitcnt lgkmcnt(2)
	v_dot4c_i32_i8_e32 v161, v106, v4
	v_dot4c_i32_i8_e32 v126, v121, v5
	v_dot4c_i32_i8_e32 v155, v99, v5
	v_dot4c_i32_i8_e32 v160, v103, v5
	v_dot4c_i32_i8_e32 v161, v107, v5
	v_dot4c_i32_i8_e32 v126, v122, v156
	v_dot4c_i32_i8_e32 v155, v104, v156
	v_dot4c_i32_i8_e32 v160, v108, v156
	s_waitcnt lgkmcnt(1)
	v_dot4c_i32_i8_e32 v161, v112, v156
	v_dot4c_i32_i8_e32 v126, v123, v157
	v_dot4c_i32_i8_e32 v155, v105, v157
	v_dot4c_i32_i8_e32 v160, v109, v157
	v_dot4c_i32_i8_e32 v161, v113, v157
	;; [unrolled: 9-line block ×3, first 2 shown]
	ds_read_b128 v[2:5], v148 offset:1024
	ds_read_b128 v[156:159], v148 offset:1040
	v_mov_b32_e32 v127, 0
	v_cvt_f32_i32_e32 v126, v126
	v_pk_mul_f32 v[6:7], v[92:93], v[0:1] op_sel_hi:[0,1]
	s_waitcnt lgkmcnt(1)
	v_dot4c_i32_i8_e32 v127, v118, v2
	v_dot4c_i32_i8_e32 v127, v119, v3
	;; [unrolled: 1-line block ×4, first 2 shown]
	s_waitcnt lgkmcnt(0)
	v_dot4c_i32_i8_e32 v127, v122, v156
	v_dot4c_i32_i8_e32 v127, v123, v157
	;; [unrolled: 1-line block ×4, first 2 shown]
	s_add_i32 s0, s0, 8
	v_add_u32_e32 v154, 32, v154
	v_add_u32_e32 v153, 4, v153
	v_cvt_f32_i32_e32 v127, v127
	v_add_u32_e32 v152, 4, v152
	v_add_u32_e32 v151, 4, v151
	;; [unrolled: 1-line block ×3, first 2 shown]
	v_pk_fma_f32 v[38:39], v[6:7], v[126:127], v[38:39]
	v_mov_b32_e32 v126, 0
	v_dot4c_i32_i8_e32 v126, v94, v2
	v_dot4c_i32_i8_e32 v126, v95, v3
	;; [unrolled: 1-line block ×8, first 2 shown]
	v_pk_mul_f32 v[6:7], v[88:89], v[0:1] op_sel_hi:[0,1]
	s_cmp_lt_u32 s0, 24
	s_nop 0
	v_cvt_f32_i32_e32 v127, v126
	v_cvt_f32_i32_e32 v126, v155
	v_mov_b32_e32 v155, 0
	v_pk_fma_f32 v[36:37], v[6:7], v[126:127], v[36:37]
	v_mov_b32_e32 v126, 0
	v_dot4c_i32_i8_e32 v126, v96, v2
	v_dot4c_i32_i8_e32 v126, v97, v3
	;; [unrolled: 1-line block ×8, first 2 shown]
	v_pk_mul_f32 v[6:7], v[90:91], v[0:1] op_sel_hi:[0,1]
	v_pk_mul_f32 v[0:1], v[86:87], v[0:1] op_sel_hi:[0,1]
	s_nop 0
	v_cvt_f32_i32_e32 v127, v126
	v_cvt_f32_i32_e32 v126, v160
	v_mov_b32_e32 v160, 0
	v_pk_fma_f32 v[34:35], v[6:7], v[126:127], v[34:35]
	v_mov_b32_e32 v6, 0
	v_dot4c_i32_i8_e32 v6, v100, v2
	v_dot4c_i32_i8_e32 v6, v101, v3
	;; [unrolled: 1-line block ×8, first 2 shown]
	v_cvt_f32_i32_e32 v2, v161
	v_mov_b32_e32 v126, 0
	v_mov_b32_e32 v161, 0
	v_cvt_f32_i32_e32 v3, v6
	v_mov_b32_e32 v127, 0
	v_pk_fma_f32 v[32:33], v[0:1], v[2:3], v[32:33]
	ds_read2_b32 v[0:1], v149 offset0:64 offset1:96
	ds_read_b128 v[2:5], v148 offset:2048
	ds_read_b128 v[156:159], v148 offset:2064
	s_waitcnt lgkmcnt(2)
	v_pk_mul_f32 v[6:7], v[92:93], v[0:1] op_sel_hi:[0,1]
	s_waitcnt lgkmcnt(1)
	v_dot4c_i32_i8_e32 v126, v118, v2
	v_dot4c_i32_i8_e32 v155, v94, v2
	;; [unrolled: 1-line block ×16, first 2 shown]
	s_waitcnt lgkmcnt(0)
	v_dot4c_i32_i8_e32 v126, v122, v156
	v_dot4c_i32_i8_e32 v155, v104, v156
	;; [unrolled: 1-line block ×16, first 2 shown]
	ds_read_b128 v[2:5], v148 offset:3072
	ds_read_b128 v[156:159], v148 offset:3088
	v_cvt_f32_i32_e32 v126, v126
	s_waitcnt lgkmcnt(1)
	v_dot4c_i32_i8_e32 v127, v118, v2
	v_dot4c_i32_i8_e32 v127, v119, v3
	;; [unrolled: 1-line block ×4, first 2 shown]
	s_waitcnt lgkmcnt(0)
	v_dot4c_i32_i8_e32 v127, v122, v156
	v_dot4c_i32_i8_e32 v127, v123, v157
	;; [unrolled: 1-line block ×4, first 2 shown]
	s_nop 2
	v_cvt_f32_i32_e32 v127, v127
	v_pk_fma_f32 v[30:31], v[6:7], v[126:127], v[30:31]
	v_mov_b32_e32 v126, 0
	v_dot4c_i32_i8_e32 v126, v94, v2
	v_dot4c_i32_i8_e32 v126, v95, v3
	;; [unrolled: 1-line block ×8, first 2 shown]
	v_pk_mul_f32 v[6:7], v[88:89], v[0:1] op_sel_hi:[0,1]
	s_nop 1
	v_cvt_f32_i32_e32 v127, v126
	v_cvt_f32_i32_e32 v126, v155
	v_mov_b32_e32 v155, 0
	v_pk_fma_f32 v[28:29], v[6:7], v[126:127], v[28:29]
	v_mov_b32_e32 v126, 0
	v_dot4c_i32_i8_e32 v126, v96, v2
	v_dot4c_i32_i8_e32 v126, v97, v3
	;; [unrolled: 1-line block ×8, first 2 shown]
	v_pk_mul_f32 v[6:7], v[90:91], v[0:1] op_sel_hi:[0,1]
	v_pk_mul_f32 v[0:1], v[86:87], v[0:1] op_sel_hi:[0,1]
	s_nop 0
	v_cvt_f32_i32_e32 v127, v126
	v_cvt_f32_i32_e32 v126, v160
	v_mov_b32_e32 v160, 0
	v_pk_fma_f32 v[26:27], v[6:7], v[126:127], v[26:27]
	v_mov_b32_e32 v6, 0
	v_dot4c_i32_i8_e32 v6, v100, v2
	v_dot4c_i32_i8_e32 v6, v101, v3
	;; [unrolled: 1-line block ×8, first 2 shown]
	v_cvt_f32_i32_e32 v2, v161
	v_mov_b32_e32 v126, 0
	v_mov_b32_e32 v161, 0
	v_cvt_f32_i32_e32 v3, v6
	v_mov_b32_e32 v127, 0
	v_pk_fma_f32 v[24:25], v[0:1], v[2:3], v[24:25]
	ds_read2_b32 v[0:1], v149 offset0:128 offset1:160
	ds_read_b128 v[2:5], v148 offset:4096
	ds_read_b128 v[156:159], v148 offset:4112
	s_waitcnt lgkmcnt(2)
	v_pk_mul_f32 v[6:7], v[92:93], v[0:1] op_sel_hi:[0,1]
	s_waitcnt lgkmcnt(1)
	v_dot4c_i32_i8_e32 v126, v118, v2
	v_dot4c_i32_i8_e32 v155, v94, v2
	;; [unrolled: 1-line block ×16, first 2 shown]
	s_waitcnt lgkmcnt(0)
	v_dot4c_i32_i8_e32 v126, v122, v156
	v_dot4c_i32_i8_e32 v155, v104, v156
	;; [unrolled: 1-line block ×16, first 2 shown]
	ds_read_b128 v[2:5], v148 offset:5120
	ds_read_b128 v[156:159], v148 offset:5136
	v_cvt_f32_i32_e32 v126, v126
	s_waitcnt lgkmcnt(1)
	v_dot4c_i32_i8_e32 v127, v118, v2
	v_dot4c_i32_i8_e32 v127, v119, v3
	;; [unrolled: 1-line block ×4, first 2 shown]
	s_waitcnt lgkmcnt(0)
	v_dot4c_i32_i8_e32 v127, v122, v156
	v_dot4c_i32_i8_e32 v127, v123, v157
	;; [unrolled: 1-line block ×4, first 2 shown]
	s_nop 2
	v_cvt_f32_i32_e32 v127, v127
	v_pk_fma_f32 v[22:23], v[6:7], v[126:127], v[22:23]
	v_mov_b32_e32 v126, 0
	v_dot4c_i32_i8_e32 v126, v94, v2
	v_dot4c_i32_i8_e32 v126, v95, v3
	;; [unrolled: 1-line block ×8, first 2 shown]
	v_pk_mul_f32 v[6:7], v[88:89], v[0:1] op_sel_hi:[0,1]
	s_nop 1
	v_cvt_f32_i32_e32 v127, v126
	v_cvt_f32_i32_e32 v126, v155
	v_mov_b32_e32 v155, 0
	v_pk_fma_f32 v[20:21], v[6:7], v[126:127], v[20:21]
	v_mov_b32_e32 v126, 0
	v_dot4c_i32_i8_e32 v126, v96, v2
	v_dot4c_i32_i8_e32 v126, v97, v3
	;; [unrolled: 1-line block ×8, first 2 shown]
	v_pk_mul_f32 v[6:7], v[90:91], v[0:1] op_sel_hi:[0,1]
	v_pk_mul_f32 v[0:1], v[86:87], v[0:1] op_sel_hi:[0,1]
	s_nop 0
	v_cvt_f32_i32_e32 v127, v126
	v_cvt_f32_i32_e32 v126, v160
	v_pk_fma_f32 v[18:19], v[6:7], v[126:127], v[18:19]
	v_mov_b32_e32 v6, 0
	v_dot4c_i32_i8_e32 v6, v100, v2
	v_dot4c_i32_i8_e32 v6, v101, v3
	;; [unrolled: 1-line block ×8, first 2 shown]
	v_cvt_f32_i32_e32 v2, v161
	v_mov_b32_e32 v156, 0
	v_mov_b32_e32 v157, 0
	v_cvt_f32_i32_e32 v3, v6
	v_mov_b32_e32 v158, 0
	v_mov_b32_e32 v159, 0
	v_pk_fma_f32 v[16:17], v[0:1], v[2:3], v[16:17]
	ds_read2_b32 v[126:127], v149 offset0:192 offset1:224
	ds_read_b128 v[0:3], v148 offset:6144
	ds_read_b128 v[4:7], v148 offset:6160
	v_add_u32_e32 v149, 4, v149
	s_waitcnt lgkmcnt(1)
	v_dot4c_i32_i8_e32 v156, v118, v0
	v_dot4c_i32_i8_e32 v157, v94, v0
	;; [unrolled: 1-line block ×16, first 2 shown]
	s_waitcnt lgkmcnt(0)
	v_dot4c_i32_i8_e32 v156, v122, v4
	v_dot4c_i32_i8_e32 v157, v104, v4
	;; [unrolled: 1-line block ×16, first 2 shown]
	ds_read_b128 v[4:7], v148 offset:7168
	ds_read_b128 v[0:3], v148 offset:7184
	v_add_u32_e32 v148, 32, v148
	s_waitcnt lgkmcnt(1)
	v_dot4c_i32_i8_e32 v159, v118, v4
	v_dot4c_i32_i8_e32 v159, v119, v5
	v_pk_mul_f32 v[118:119], v[92:93], v[126:127] op_sel_hi:[0,1]
	v_mov_b32_e32 v92, 0
	v_dot4c_i32_i8_e32 v92, v94, v4
	v_dot4c_i32_i8_e32 v92, v95, v5
	v_pk_mul_f32 v[94:95], v[88:89], v[126:127] op_sel_hi:[0,1]
	v_mov_b32_e32 v88, 0
	v_dot4c_i32_i8_e32 v88, v96, v4
	v_dot4c_i32_i8_e32 v88, v97, v5
	;; [unrolled: 1-line block ×4, first 2 shown]
	s_waitcnt lgkmcnt(0)
	v_dot4c_i32_i8_e32 v88, v108, v0
	v_dot4c_i32_i8_e32 v88, v109, v1
	;; [unrolled: 1-line block ×7, first 2 shown]
	v_cvt_f32_i32_e32 v97, v88
	v_mov_b32_e32 v88, 0
	v_dot4c_i32_i8_e32 v88, v100, v4
	v_dot4c_i32_i8_e32 v88, v101, v5
	;; [unrolled: 1-line block ×16, first 2 shown]
	v_cvt_f32_i32_e32 v98, v157
	v_cvt_f32_i32_e32 v99, v92
	v_dot4c_i32_i8_e32 v88, v117, v3
	v_cvt_f32_i32_e32 v121, v159
	v_cvt_f32_i32_e32 v120, v156
	v_cvt_f32_i32_e32 v96, v158
	v_cvt_f32_i32_e32 v3, v88
	v_cvt_f32_i32_e32 v2, v155
	v_pk_fma_f32 v[12:13], v[94:95], v[98:99], v[12:13]
	v_pk_mul_f32 v[94:95], v[90:91], v[126:127] op_sel_hi:[0,1]
	v_pk_mul_f32 v[0:1], v[86:87], v[126:127] op_sel_hi:[0,1]
	v_pk_fma_f32 v[14:15], v[118:119], v[120:121], v[14:15]
	v_pk_fma_f32 v[10:11], v[94:95], v[96:97], v[10:11]
	;; [unrolled: 1-line block ×3, first 2 shown]
	s_cbranch_scc1 .LBB125_6
; %bb.7:                                ;   in Loop: Header=BB125_5 Depth=1
	s_add_i32 s9, s9, 4
	s_cmp_ge_i32 s9, s4
	s_barrier
	s_cbranch_scc0 .LBB125_5
; %bb.8:
	v_mov_b32_e32 v1, v45
.LBB125_9:
	v_cmp_gt_u32_e32 vcc, s8, v47
	s_and_saveexec_b64 s[0:1], vcc
	s_cbranch_execz .LBB125_60
; %bb.10:
	v_add_u32_e32 v0, s6, v41
	v_mul_lo_u32 v5, v47, s10
	v_cmp_gt_u32_e32 vcc, s10, v0
	s_and_saveexec_b64 s[0:1], vcc
	s_cbranch_execz .LBB125_12
; %bb.11:
	v_add_u32_e32 v2, v0, v5
	v_mov_b32_e32 v3, 0
	s_waitcnt lgkmcnt(0)
	v_lshl_add_u64 v[2:3], v[2:3], 2, s[12:13]
	global_store_dword v[2:3], v38, off
.LBB125_12:
	s_or_b64 exec, exec, s[0:1]
	v_add_u32_e32 v2, 32, v0
	v_cmp_gt_u32_e64 s[0:1], s10, v2
	s_and_saveexec_b64 s[2:3], s[0:1]
	s_cbranch_execz .LBB125_14
; %bb.13:
	v_add_u32_e32 v6, v2, v5
	v_mov_b32_e32 v7, 0
	s_waitcnt lgkmcnt(0)
	v_lshl_add_u64 v[6:7], v[6:7], 2, s[12:13]
	global_store_dword v[6:7], v36, off
.LBB125_14:
	s_or_b64 exec, exec, s[2:3]
	v_add_u32_e32 v3, 64, v0
	v_cmp_gt_u32_e64 s[2:3], s10, v3
	s_and_saveexec_b64 s[4:5], s[2:3]
	;; [unrolled: 12-line block ×3, first 2 shown]
	s_cbranch_execz .LBB125_18
; %bb.17:
	v_add_u32_e32 v6, v4, v5
	v_mov_b32_e32 v7, 0
	s_waitcnt lgkmcnt(0)
	v_lshl_add_u64 v[6:7], v[6:7], 2, s[12:13]
	global_store_dword v[6:7], v32, off
.LBB125_18:
	s_or_b64 exec, exec, s[6:7]
	v_add3_u32 v5, v1, s11, 8
	v_cmp_gt_u32_e64 s[6:7], s8, v5
	s_and_b64 exec, exec, s[6:7]
	s_cbranch_execz .LBB125_60
; %bb.19:
	v_mul_lo_u32 v5, v5, s10
	s_and_saveexec_b64 s[6:7], vcc
	s_cbranch_execnz .LBB125_61
; %bb.20:
	s_or_b64 exec, exec, s[6:7]
	s_and_saveexec_b64 s[6:7], s[0:1]
	s_cbranch_execnz .LBB125_62
.LBB125_21:
	s_or_b64 exec, exec, s[6:7]
	s_and_saveexec_b64 s[6:7], s[2:3]
	s_cbranch_execnz .LBB125_63
.LBB125_22:
	s_or_b64 exec, exec, s[6:7]
	s_and_saveexec_b64 s[6:7], s[4:5]
	s_cbranch_execz .LBB125_24
.LBB125_23:
	v_add_u32_e32 v6, v5, v4
	v_mov_b32_e32 v7, 0
	s_waitcnt lgkmcnt(0)
	v_lshl_add_u64 v[6:7], v[6:7], 2, s[12:13]
	global_store_dword v[6:7], v33, off
.LBB125_24:
	s_or_b64 exec, exec, s[6:7]
	v_add3_u32 v5, v1, s11, 16
	v_cmp_gt_u32_e64 s[6:7], s8, v5
	s_and_b64 exec, exec, s[6:7]
	s_cbranch_execz .LBB125_60
; %bb.25:
	v_mul_lo_u32 v5, v5, s10
	s_and_saveexec_b64 s[6:7], vcc
	s_cbranch_execnz .LBB125_64
; %bb.26:
	s_or_b64 exec, exec, s[6:7]
	s_and_saveexec_b64 s[6:7], s[0:1]
	s_cbranch_execnz .LBB125_65
.LBB125_27:
	s_or_b64 exec, exec, s[6:7]
	s_and_saveexec_b64 s[6:7], s[2:3]
	s_cbranch_execnz .LBB125_66
.LBB125_28:
	s_or_b64 exec, exec, s[6:7]
	s_and_saveexec_b64 s[6:7], s[4:5]
	s_cbranch_execz .LBB125_30
.LBB125_29:
	v_add_u32_e32 v6, v5, v4
	v_mov_b32_e32 v7, 0
	s_waitcnt lgkmcnt(0)
	v_lshl_add_u64 v[6:7], v[6:7], 2, s[12:13]
	global_store_dword v[6:7], v24, off
.LBB125_30:
	s_or_b64 exec, exec, s[6:7]
	v_add3_u32 v5, v1, s11, 24
	v_cmp_gt_u32_e64 s[6:7], s8, v5
	s_and_b64 exec, exec, s[6:7]
	s_cbranch_execz .LBB125_60
; %bb.31:
	v_mul_lo_u32 v5, v5, s10
	s_and_saveexec_b64 s[6:7], vcc
	s_cbranch_execnz .LBB125_67
; %bb.32:
	s_or_b64 exec, exec, s[6:7]
	s_and_saveexec_b64 s[6:7], s[0:1]
	s_cbranch_execnz .LBB125_68
.LBB125_33:
	s_or_b64 exec, exec, s[6:7]
	s_and_saveexec_b64 s[6:7], s[2:3]
	s_cbranch_execnz .LBB125_69
.LBB125_34:
	s_or_b64 exec, exec, s[6:7]
	s_and_saveexec_b64 s[6:7], s[4:5]
	s_cbranch_execz .LBB125_36
.LBB125_35:
	v_add_u32_e32 v6, v5, v4
	v_mov_b32_e32 v7, 0
	s_waitcnt lgkmcnt(0)
	v_lshl_add_u64 v[6:7], v[6:7], 2, s[12:13]
	global_store_dword v[6:7], v25, off
.LBB125_36:
	s_or_b64 exec, exec, s[6:7]
	v_add3_u32 v5, v1, s11, 32
	v_cmp_gt_u32_e64 s[6:7], s8, v5
	s_and_b64 exec, exec, s[6:7]
	s_cbranch_execz .LBB125_60
; %bb.37:
	v_mul_lo_u32 v5, v5, s10
	s_and_saveexec_b64 s[6:7], vcc
	s_cbranch_execnz .LBB125_70
; %bb.38:
	s_or_b64 exec, exec, s[6:7]
	s_and_saveexec_b64 s[6:7], s[0:1]
	s_cbranch_execnz .LBB125_71
.LBB125_39:
	s_or_b64 exec, exec, s[6:7]
	s_and_saveexec_b64 s[6:7], s[2:3]
	s_cbranch_execnz .LBB125_72
.LBB125_40:
	s_or_b64 exec, exec, s[6:7]
	s_and_saveexec_b64 s[6:7], s[4:5]
	s_cbranch_execz .LBB125_42
.LBB125_41:
	v_add_u32_e32 v6, v5, v4
	v_mov_b32_e32 v7, 0
	s_waitcnt lgkmcnt(0)
	v_lshl_add_u64 v[6:7], v[6:7], 2, s[12:13]
	global_store_dword v[6:7], v16, off
.LBB125_42:
	s_or_b64 exec, exec, s[6:7]
	v_add3_u32 v5, v1, s11, 40
	v_cmp_gt_u32_e64 s[6:7], s8, v5
	s_and_b64 exec, exec, s[6:7]
	s_cbranch_execz .LBB125_60
; %bb.43:
	v_mul_lo_u32 v5, v5, s10
	s_and_saveexec_b64 s[6:7], vcc
	s_cbranch_execnz .LBB125_73
; %bb.44:
	s_or_b64 exec, exec, s[6:7]
	s_and_saveexec_b64 s[6:7], s[0:1]
	s_cbranch_execnz .LBB125_74
.LBB125_45:
	s_or_b64 exec, exec, s[6:7]
	s_and_saveexec_b64 s[6:7], s[2:3]
	s_cbranch_execnz .LBB125_75
.LBB125_46:
	s_or_b64 exec, exec, s[6:7]
	s_and_saveexec_b64 s[6:7], s[4:5]
	s_cbranch_execz .LBB125_48
.LBB125_47:
	v_add_u32_e32 v6, v5, v4
	v_mov_b32_e32 v7, 0
	s_waitcnt lgkmcnt(0)
	v_lshl_add_u64 v[6:7], v[6:7], 2, s[12:13]
	global_store_dword v[6:7], v17, off
.LBB125_48:
	s_or_b64 exec, exec, s[6:7]
	v_add3_u32 v5, v1, s11, 48
	v_cmp_gt_u32_e64 s[6:7], s8, v5
	s_and_b64 exec, exec, s[6:7]
	s_cbranch_execz .LBB125_60
; %bb.49:
	v_mul_lo_u32 v5, v5, s10
	s_and_saveexec_b64 s[6:7], vcc
	s_cbranch_execnz .LBB125_76
; %bb.50:
	s_or_b64 exec, exec, s[6:7]
	s_and_saveexec_b64 s[6:7], s[0:1]
	s_cbranch_execnz .LBB125_77
.LBB125_51:
	s_or_b64 exec, exec, s[6:7]
	s_and_saveexec_b64 s[6:7], s[2:3]
	s_cbranch_execnz .LBB125_78
.LBB125_52:
	s_or_b64 exec, exec, s[6:7]
	s_and_saveexec_b64 s[6:7], s[4:5]
	s_cbranch_execz .LBB125_54
.LBB125_53:
	v_add_u32_e32 v6, v5, v4
	v_mov_b32_e32 v7, 0
	s_waitcnt lgkmcnt(0)
	v_lshl_add_u64 v[6:7], v[6:7], 2, s[12:13]
	global_store_dword v[6:7], v8, off
.LBB125_54:
	s_or_b64 exec, exec, s[6:7]
	v_add3_u32 v1, v1, s11, 56
	v_cmp_gt_u32_e64 s[6:7], s8, v1
	s_and_b64 exec, exec, s[6:7]
	s_cbranch_execz .LBB125_60
; %bb.55:
	v_mul_lo_u32 v1, v1, s10
	s_and_saveexec_b64 s[6:7], vcc
	s_cbranch_execnz .LBB125_79
; %bb.56:
	s_or_b64 exec, exec, s[6:7]
	s_and_saveexec_b64 s[6:7], s[0:1]
	s_cbranch_execnz .LBB125_80
.LBB125_57:
	s_or_b64 exec, exec, s[6:7]
	s_and_saveexec_b64 s[0:1], s[2:3]
	s_cbranch_execnz .LBB125_81
.LBB125_58:
	s_or_b64 exec, exec, s[0:1]
	s_and_b64 exec, exec, s[4:5]
	s_cbranch_execz .LBB125_60
.LBB125_59:
	v_add_u32_e32 v0, v1, v4
	v_mov_b32_e32 v1, 0
	s_waitcnt lgkmcnt(0)
	v_lshl_add_u64 v[0:1], v[0:1], 2, s[12:13]
	global_store_dword v[0:1], v9, off
.LBB125_60:
	s_endpgm
.LBB125_61:
	v_add_u32_e32 v6, v5, v0
	v_mov_b32_e32 v7, 0
	s_waitcnt lgkmcnt(0)
	v_lshl_add_u64 v[6:7], v[6:7], 2, s[12:13]
	global_store_dword v[6:7], v39, off
	s_or_b64 exec, exec, s[6:7]
	s_and_saveexec_b64 s[6:7], s[0:1]
	s_cbranch_execz .LBB125_21
.LBB125_62:
	v_add_u32_e32 v6, v5, v2
	v_mov_b32_e32 v7, 0
	s_waitcnt lgkmcnt(0)
	v_lshl_add_u64 v[6:7], v[6:7], 2, s[12:13]
	global_store_dword v[6:7], v37, off
	s_or_b64 exec, exec, s[6:7]
	s_and_saveexec_b64 s[6:7], s[2:3]
	s_cbranch_execz .LBB125_22
.LBB125_63:
	v_add_u32_e32 v6, v5, v3
	v_mov_b32_e32 v7, 0
	s_waitcnt lgkmcnt(0)
	v_lshl_add_u64 v[6:7], v[6:7], 2, s[12:13]
	global_store_dword v[6:7], v35, off
	s_or_b64 exec, exec, s[6:7]
	s_and_saveexec_b64 s[6:7], s[4:5]
	s_cbranch_execnz .LBB125_23
	s_branch .LBB125_24
.LBB125_64:
	v_add_u32_e32 v6, v5, v0
	v_mov_b32_e32 v7, 0
	s_waitcnt lgkmcnt(0)
	v_lshl_add_u64 v[6:7], v[6:7], 2, s[12:13]
	global_store_dword v[6:7], v30, off
	s_or_b64 exec, exec, s[6:7]
	s_and_saveexec_b64 s[6:7], s[0:1]
	s_cbranch_execz .LBB125_27
.LBB125_65:
	v_add_u32_e32 v6, v5, v2
	v_mov_b32_e32 v7, 0
	s_waitcnt lgkmcnt(0)
	v_lshl_add_u64 v[6:7], v[6:7], 2, s[12:13]
	global_store_dword v[6:7], v28, off
	s_or_b64 exec, exec, s[6:7]
	s_and_saveexec_b64 s[6:7], s[2:3]
	s_cbranch_execz .LBB125_28
.LBB125_66:
	v_add_u32_e32 v6, v5, v3
	v_mov_b32_e32 v7, 0
	s_waitcnt lgkmcnt(0)
	v_lshl_add_u64 v[6:7], v[6:7], 2, s[12:13]
	global_store_dword v[6:7], v26, off
	s_or_b64 exec, exec, s[6:7]
	s_and_saveexec_b64 s[6:7], s[4:5]
	s_cbranch_execnz .LBB125_29
	s_branch .LBB125_30
.LBB125_67:
	v_add_u32_e32 v6, v5, v0
	v_mov_b32_e32 v7, 0
	s_waitcnt lgkmcnt(0)
	v_lshl_add_u64 v[6:7], v[6:7], 2, s[12:13]
	global_store_dword v[6:7], v31, off
	s_or_b64 exec, exec, s[6:7]
	s_and_saveexec_b64 s[6:7], s[0:1]
	s_cbranch_execz .LBB125_33
.LBB125_68:
	v_add_u32_e32 v6, v5, v2
	v_mov_b32_e32 v7, 0
	s_waitcnt lgkmcnt(0)
	v_lshl_add_u64 v[6:7], v[6:7], 2, s[12:13]
	global_store_dword v[6:7], v29, off
	s_or_b64 exec, exec, s[6:7]
	s_and_saveexec_b64 s[6:7], s[2:3]
	s_cbranch_execz .LBB125_34
.LBB125_69:
	v_add_u32_e32 v6, v5, v3
	v_mov_b32_e32 v7, 0
	s_waitcnt lgkmcnt(0)
	v_lshl_add_u64 v[6:7], v[6:7], 2, s[12:13]
	global_store_dword v[6:7], v27, off
	s_or_b64 exec, exec, s[6:7]
	s_and_saveexec_b64 s[6:7], s[4:5]
	s_cbranch_execnz .LBB125_35
	s_branch .LBB125_36
.LBB125_70:
	v_add_u32_e32 v6, v5, v0
	v_mov_b32_e32 v7, 0
	s_waitcnt lgkmcnt(0)
	v_lshl_add_u64 v[6:7], v[6:7], 2, s[12:13]
	global_store_dword v[6:7], v22, off
	s_or_b64 exec, exec, s[6:7]
	s_and_saveexec_b64 s[6:7], s[0:1]
	s_cbranch_execz .LBB125_39
.LBB125_71:
	v_add_u32_e32 v6, v5, v2
	v_mov_b32_e32 v7, 0
	s_waitcnt lgkmcnt(0)
	v_lshl_add_u64 v[6:7], v[6:7], 2, s[12:13]
	global_store_dword v[6:7], v20, off
	s_or_b64 exec, exec, s[6:7]
	s_and_saveexec_b64 s[6:7], s[2:3]
	s_cbranch_execz .LBB125_40
.LBB125_72:
	v_add_u32_e32 v6, v5, v3
	v_mov_b32_e32 v7, 0
	s_waitcnt lgkmcnt(0)
	v_lshl_add_u64 v[6:7], v[6:7], 2, s[12:13]
	global_store_dword v[6:7], v18, off
	s_or_b64 exec, exec, s[6:7]
	s_and_saveexec_b64 s[6:7], s[4:5]
	s_cbranch_execnz .LBB125_41
	s_branch .LBB125_42
.LBB125_73:
	v_add_u32_e32 v6, v5, v0
	v_mov_b32_e32 v7, 0
	s_waitcnt lgkmcnt(0)
	v_lshl_add_u64 v[6:7], v[6:7], 2, s[12:13]
	global_store_dword v[6:7], v23, off
	s_or_b64 exec, exec, s[6:7]
	s_and_saveexec_b64 s[6:7], s[0:1]
	s_cbranch_execz .LBB125_45
.LBB125_74:
	v_add_u32_e32 v6, v5, v2
	v_mov_b32_e32 v7, 0
	s_waitcnt lgkmcnt(0)
	v_lshl_add_u64 v[6:7], v[6:7], 2, s[12:13]
	global_store_dword v[6:7], v21, off
	s_or_b64 exec, exec, s[6:7]
	s_and_saveexec_b64 s[6:7], s[2:3]
	s_cbranch_execz .LBB125_46
.LBB125_75:
	v_add_u32_e32 v6, v5, v3
	v_mov_b32_e32 v7, 0
	s_waitcnt lgkmcnt(0)
	v_lshl_add_u64 v[6:7], v[6:7], 2, s[12:13]
	global_store_dword v[6:7], v19, off
	s_or_b64 exec, exec, s[6:7]
	s_and_saveexec_b64 s[6:7], s[4:5]
	s_cbranch_execnz .LBB125_47
	s_branch .LBB125_48
.LBB125_76:
	v_add_u32_e32 v6, v5, v0
	v_mov_b32_e32 v7, 0
	s_waitcnt lgkmcnt(0)
	v_lshl_add_u64 v[6:7], v[6:7], 2, s[12:13]
	global_store_dword v[6:7], v14, off
	s_or_b64 exec, exec, s[6:7]
	s_and_saveexec_b64 s[6:7], s[0:1]
	s_cbranch_execz .LBB125_51
.LBB125_77:
	v_add_u32_e32 v6, v5, v2
	v_mov_b32_e32 v7, 0
	s_waitcnt lgkmcnt(0)
	v_lshl_add_u64 v[6:7], v[6:7], 2, s[12:13]
	global_store_dword v[6:7], v12, off
	s_or_b64 exec, exec, s[6:7]
	s_and_saveexec_b64 s[6:7], s[2:3]
	s_cbranch_execz .LBB125_52
.LBB125_78:
	v_add_u32_e32 v6, v5, v3
	v_mov_b32_e32 v7, 0
	s_waitcnt lgkmcnt(0)
	v_lshl_add_u64 v[6:7], v[6:7], 2, s[12:13]
	global_store_dword v[6:7], v10, off
	s_or_b64 exec, exec, s[6:7]
	s_and_saveexec_b64 s[6:7], s[4:5]
	s_cbranch_execnz .LBB125_53
	s_branch .LBB125_54
.LBB125_79:
	v_add_u32_e32 v6, v1, v0
	v_mov_b32_e32 v7, 0
	s_waitcnt lgkmcnt(0)
	v_lshl_add_u64 v[6:7], v[6:7], 2, s[12:13]
	global_store_dword v[6:7], v15, off
	s_or_b64 exec, exec, s[6:7]
	s_and_saveexec_b64 s[6:7], s[0:1]
	s_cbranch_execz .LBB125_57
.LBB125_80:
	v_add_u32_e32 v6, v1, v2
	v_mov_b32_e32 v7, 0
	s_waitcnt lgkmcnt(0)
	v_lshl_add_u64 v[6:7], v[6:7], 2, s[12:13]
	global_store_dword v[6:7], v13, off
	s_or_b64 exec, exec, s[6:7]
	s_and_saveexec_b64 s[0:1], s[2:3]
	s_cbranch_execz .LBB125_58
.LBB125_81:
	v_add_u32_e32 v2, v1, v3
	v_mov_b32_e32 v3, 0
	s_waitcnt lgkmcnt(0)
	v_lshl_add_u64 v[2:3], v[2:3], 2, s[12:13]
	global_store_dword v[2:3], v11, off
	s_or_b64 exec, exec, s[0:1]
	s_and_b64 exec, exec, s[4:5]
	s_cbranch_execnz .LBB125_59
	s_branch .LBB125_60
	.section	.rodata,"a",@progbits
	.p2align	6, 0x0
	.amdhsa_kernel _ZL12mul_mat_q8_0IfLb0EEvPKvS1_PT_iiiii
		.amdhsa_group_segment_fixed_size 28224
		.amdhsa_private_segment_fixed_size 0
		.amdhsa_kernarg_size 44
		.amdhsa_user_sgpr_count 2
		.amdhsa_user_sgpr_dispatch_ptr 0
		.amdhsa_user_sgpr_queue_ptr 0
		.amdhsa_user_sgpr_kernarg_segment_ptr 1
		.amdhsa_user_sgpr_dispatch_id 0
		.amdhsa_user_sgpr_kernarg_preload_length 0
		.amdhsa_user_sgpr_kernarg_preload_offset 0
		.amdhsa_user_sgpr_private_segment_size 0
		.amdhsa_uses_dynamic_stack 0
		.amdhsa_enable_private_segment 0
		.amdhsa_system_sgpr_workgroup_id_x 1
		.amdhsa_system_sgpr_workgroup_id_y 1
		.amdhsa_system_sgpr_workgroup_id_z 0
		.amdhsa_system_sgpr_workgroup_info 0
		.amdhsa_system_vgpr_workitem_id 1
		.amdhsa_next_free_vgpr 162
		.amdhsa_next_free_sgpr 96
		.amdhsa_accum_offset 164
		.amdhsa_reserve_vcc 1
		.amdhsa_float_round_mode_32 0
		.amdhsa_float_round_mode_16_64 0
		.amdhsa_float_denorm_mode_32 3
		.amdhsa_float_denorm_mode_16_64 3
		.amdhsa_dx10_clamp 1
		.amdhsa_ieee_mode 1
		.amdhsa_fp16_overflow 0
		.amdhsa_tg_split 0
		.amdhsa_exception_fp_ieee_invalid_op 0
		.amdhsa_exception_fp_denorm_src 0
		.amdhsa_exception_fp_ieee_div_zero 0
		.amdhsa_exception_fp_ieee_overflow 0
		.amdhsa_exception_fp_ieee_underflow 0
		.amdhsa_exception_fp_ieee_inexact 0
		.amdhsa_exception_int_div_zero 0
	.end_amdhsa_kernel
	.section	.text._ZL12mul_mat_q8_0IfLb0EEvPKvS1_PT_iiiii,"axG",@progbits,_ZL12mul_mat_q8_0IfLb0EEvPKvS1_PT_iiiii,comdat
.Lfunc_end125:
	.size	_ZL12mul_mat_q8_0IfLb0EEvPKvS1_PT_iiiii, .Lfunc_end125-_ZL12mul_mat_q8_0IfLb0EEvPKvS1_PT_iiiii
                                        ; -- End function
	.set _ZL12mul_mat_q8_0IfLb0EEvPKvS1_PT_iiiii.num_vgpr, 162
	.set _ZL12mul_mat_q8_0IfLb0EEvPKvS1_PT_iiiii.num_agpr, 0
	.set _ZL12mul_mat_q8_0IfLb0EEvPKvS1_PT_iiiii.numbered_sgpr, 16
	.set _ZL12mul_mat_q8_0IfLb0EEvPKvS1_PT_iiiii.num_named_barrier, 0
	.set _ZL12mul_mat_q8_0IfLb0EEvPKvS1_PT_iiiii.private_seg_size, 0
	.set _ZL12mul_mat_q8_0IfLb0EEvPKvS1_PT_iiiii.uses_vcc, 1
	.set _ZL12mul_mat_q8_0IfLb0EEvPKvS1_PT_iiiii.uses_flat_scratch, 0
	.set _ZL12mul_mat_q8_0IfLb0EEvPKvS1_PT_iiiii.has_dyn_sized_stack, 0
	.set _ZL12mul_mat_q8_0IfLb0EEvPKvS1_PT_iiiii.has_recursion, 0
	.set _ZL12mul_mat_q8_0IfLb0EEvPKvS1_PT_iiiii.has_indirect_call, 0
	.section	.AMDGPU.csdata,"",@progbits
; Kernel info:
; codeLenInByte = 6220
; TotalNumSgprs: 22
; NumVgprs: 162
; NumAgprs: 0
; TotalNumVgprs: 162
; ScratchSize: 0
; MemoryBound: 0
; FloatMode: 240
; IeeeMode: 1
; LDSByteSize: 28224 bytes/workgroup (compile time only)
; SGPRBlocks: 12
; VGPRBlocks: 20
; NumSGPRsForWavesPerEU: 102
; NumVGPRsForWavesPerEU: 162
; AccumOffset: 164
; Occupancy: 3
; WaveLimiterHint : 0
; COMPUTE_PGM_RSRC2:SCRATCH_EN: 0
; COMPUTE_PGM_RSRC2:USER_SGPR: 2
; COMPUTE_PGM_RSRC2:TRAP_HANDLER: 0
; COMPUTE_PGM_RSRC2:TGID_X_EN: 1
; COMPUTE_PGM_RSRC2:TGID_Y_EN: 1
; COMPUTE_PGM_RSRC2:TGID_Z_EN: 0
; COMPUTE_PGM_RSRC2:TIDIG_COMP_CNT: 1
; COMPUTE_PGM_RSRC3_GFX90A:ACCUM_OFFSET: 40
; COMPUTE_PGM_RSRC3_GFX90A:TG_SPLIT: 0
	.section	.text._ZL12mul_mat_q8_0IfLb1EEvPKvS1_PT_iiiii,"axG",@progbits,_ZL12mul_mat_q8_0IfLb1EEvPKvS1_PT_iiiii,comdat
	.globl	_ZL12mul_mat_q8_0IfLb1EEvPKvS1_PT_iiiii ; -- Begin function _ZL12mul_mat_q8_0IfLb1EEvPKvS1_PT_iiiii
	.p2align	8
	.type	_ZL12mul_mat_q8_0IfLb1EEvPKvS1_PT_iiiii,@function
_ZL12mul_mat_q8_0IfLb1EEvPKvS1_PT_iiiii: ; @_ZL12mul_mat_q8_0IfLb1EEvPKvS1_PT_iiiii
; %bb.0:
	s_load_dwordx4 s[8:11], s[0:1], 0x18
	s_load_dword s14, s[0:1], 0x28
	s_lshl_b32 s15, s3, 6
	v_bfe_u32 v45, v0, 10, 10
	s_waitcnt lgkmcnt(0)
	s_cmp_gt_i32 s8, 31
	s_cbranch_scc1 .LBB126_2
; %bb.1:
	v_bfe_u32 v1, v0, 10, 10
	v_and_b32_e32 v37, 0x3ff, v0
	v_add_u32_e32 v47, s15, v1
	s_mov_b64 s[4:5], 0
	s_branch .LBB126_3
.LBB126_2:
	s_mov_b64 s[4:5], -1
                                        ; implicit-def: $vgpr1
                                        ; implicit-def: $vgpr37
                                        ; implicit-def: $vgpr47
.LBB126_3:
	s_load_dwordx2 s[12:13], s[0:1], 0x10
	s_lshl_b32 s6, s2, 7
	v_mov_b32_e32 v9, 0
	s_andn2_b64 vcc, exec, s[4:5]
	v_mov_b32_e32 v8, 0
	v_mov_b32_e32 v17, 0
	;; [unrolled: 1-line block ×31, first 2 shown]
	s_cbranch_vccnz .LBB126_9
; %bb.4:
	s_ashr_i32 s4, s8, 31
	s_load_dwordx4 s[0:3], s[0:1], 0x0
	s_lshr_b32 s4, s4, 27
	s_ashr_i32 s5, s11, 31
	s_add_i32 s4, s8, s4
	s_lshr_b32 s5, s5, 27
	s_ashr_i32 s4, s4, 5
	s_add_i32 s5, s11, s5
	s_ashr_i32 s11, s5, 5
	s_mul_i32 s5, s4, s6
	s_mul_hi_i32 s7, s5, 34
	s_mul_i32 s5, s5, 34
	s_waitcnt lgkmcnt(0)
	s_add_u32 s5, s0, s5
	s_addc_u32 s7, s1, s7
	s_not_b32 s0, s6
	s_add_i32 s8, s9, s0
	v_and_b32_e32 v37, 0x3ff, v0
	v_lshlrev_b32_e32 v2, 2, v37
	v_min_i32_e32 v1, s8, v45
	s_movk_i32 s9, 0x84
	v_add_u32_e32 v4, 8, v45
	v_mul_lo_u32 v44, v1, s4
	v_mad_u64_u32 v[46:47], s[0:1], v1, s9, v[2:3]
	v_min_i32_e32 v1, s8, v4
	v_add_u32_e32 v5, 16, v45
	v_mul_lo_u32 v48, v1, s4
	v_mad_u64_u32 v[50:51], s[0:1], v1, s9, v[2:3]
	v_min_i32_e32 v1, s8, v5
	;; [unrolled: 4-line block ×4, first 2 shown]
	v_mul_lo_u32 v60, v1, s4
	v_mad_u64_u32 v[62:63], s[0:1], v1, s9, v[2:3]
	v_add_u32_e32 v1, 64, v45
	v_min_i32_e32 v14, s8, v1
	v_add_u32_e32 v1, 0x48, v45
	v_min_i32_e32 v15, s8, v1
	;; [unrolled: 2-line block ×8, first 2 shown]
	v_bfe_u32 v1, v0, 2, 8
	v_add_u32_e32 v8, 40, v45
	v_add_u32_e32 v10, 48, v45
	;; [unrolled: 1-line block ×3, first 2 shown]
	v_lshl_add_u32 v1, v45, 3, v1
	v_min_i32_e32 v9, s8, v8
	v_min_i32_e32 v11, s8, v10
	;; [unrolled: 1-line block ×4, first 2 shown]
	v_and_b32_e32 v38, 28, v2
	v_mad_u64_u32 v[64:65], s[0:1], v9, s9, v[2:3]
	v_mad_u64_u32 v[66:67], s[0:1], v11, s9, v[2:3]
	v_mad_u64_u32 v[68:69], s[0:1], v13, s9, v[2:3]
	v_mad_u64_u32 v[70:71], s[0:1], v14, s9, v[2:3]
	v_mad_u64_u32 v[72:73], s[0:1], v15, s9, v[2:3]
	v_mad_u64_u32 v[74:75], s[0:1], v16, s9, v[2:3]
	v_mad_u64_u32 v[76:77], s[0:1], v17, s9, v[2:3]
	v_mad_u64_u32 v[78:79], s[0:1], v18, s9, v[2:3]
	v_mad_u64_u32 v[80:81], s[0:1], v19, s9, v[2:3]
	v_mad_u64_u32 v[82:83], s[0:1], v20, s9, v[2:3]
	v_mad_u64_u32 v[84:85], s[0:1], v21, s9, v[2:3]
	v_ashrrev_i32_e32 v2, 31, v22
	v_lshrrev_b32_e32 v2, 29, v2
	v_add_u32_e32 v2, v22, v2
	v_and_b32_e32 v86, 3, v0
	v_ashrrev_i32_e32 v2, 3, v2
	v_lshlrev_b32_e32 v2, 2, v2
	v_lshlrev_b32_e32 v23, 2, v86
	s_movk_i32 s0, 0x6200
	v_add3_u32 v24, v2, v23, s0
	v_add_u32_e32 v2, 64, v1
	v_min_i32_e32 v26, s8, v2
	v_ashrrev_i32_e32 v2, 31, v26
	v_lshrrev_b32_e32 v2, 29, v2
	v_bfe_u32 v36, v0, 3, 7
	v_add_u32_e32 v2, v26, v2
	v_and_b32_e32 v0, 31, v0
	v_mov_b32_e32 v29, 0x4200
	v_ashrrev_i32_e32 v2, 3, v2
	v_lshl_or_b32 v29, v0, 2, v29
	v_and_b32_e32 v0, 63, v1
	v_lshlrev_b32_e32 v2, 2, v2
	v_add_u32_e32 v47, s15, v45
	s_add_i32 s1, s10, -1
	v_or_b32_e32 v1, s15, v0
	v_lshl_or_b32 v0, v0, 4, v23
	v_add3_u32 v27, v2, v23, s0
	v_cvt_f64_i32_e32 v[2:3], s1
	v_min_i32_e32 v30, s1, v1
	v_add_u32_e32 v49, 0x6a40, v0
	v_cvt_f64_u32_e32 v[0:1], v47
	v_min_f64 v[0:1], v[0:1], v[2:3]
	v_cvt_i32_f64_e32 v0, v[0:1]
	v_mul_lo_u32 v51, s11, v0
	v_add_u32_e32 v0, 8, v47
	v_cvt_f64_u32_e32 v[0:1], v0
	v_min_f64 v[0:1], v[0:1], v[2:3]
	v_cvt_i32_f64_e32 v0, v[0:1]
	v_mul_lo_u32 v53, s11, v0
	;; [unrolled: 5-line block ×7, first 2 shown]
	v_add_u32_e32 v0, 56, v47
	v_cvt_f64_u32_e32 v[0:1], v0
	v_min_f64 v[0:1], v[0:1], v[2:3]
	v_add_u32_e32 v3, 0x60, v37
	v_cvt_i32_f64_e32 v0, v[0:1]
	v_add_u32_e32 v2, 64, v37
	v_lshrrev_b32_e32 v3, 1, v3
	v_mul_lo_u32 v65, s11, v0
	v_lshlrev_b32_e32 v0, 7, v12
	v_add_u32_e32 v1, 32, v37
	v_lshlrev_b32_e32 v12, 4, v37
	v_and_b32_e32 v3, 0xfc, v3
	s_movk_i32 s1, 0x6800
	v_lshrrev_b32_e32 v2, 1, v2
	v_add3_u32 v67, v12, v3, s1
	v_and_b32_e32 v2, 0xfc, v2
	s_movk_i32 s1, 0x6600
	v_lshrrev_b32_e32 v1, 1, v1
	v_add3_u32 v69, v12, v2, s1
	v_and_b32_e32 v1, 0xfc, v1
	s_movk_i32 s1, 0x6400
	v_mov_b32_e32 v39, 0
	v_lshlrev_b32_e32 v5, 7, v5
	v_add3_u32 v71, v12, v1, s1
	v_lshlrev_b32_e32 v1, 2, v36
	v_lshlrev_b32_e32 v25, 4, v22
	;; [unrolled: 1-line block ×9, first 2 shown]
	v_add3_u32 v73, v12, v1, s0
	v_mov_b32_e32 v1, 0x6a40
	v_add_u32_e32 v87, v29, v5
	v_mov_b32_e32 v40, v39
	v_mov_b32_e32 v41, v39
	v_lshl_add_u32 v75, v45, 4, v1
	v_add_u32_e32 v77, v24, v25
	v_add_u32_e32 v79, 0x4200, v23
	s_mov_b32 s8, 0
	v_add_u32_e32 v81, v27, v28
	v_add_u32_e32 v83, v29, v23
	;; [unrolled: 1-line block ×8, first 2 shown]
	v_mul_lo_u32 v88, v9, s4
	v_mul_lo_u32 v90, v11, s4
	;; [unrolled: 1-line block ×13, first 2 shown]
	v_mad_u64_u32 v[114:115], s[0:1], v30, s11, v[86:87]
	v_mul_u32_u24_e32 v99, 0x84, v37
	v_lshl_add_u64 v[116:117], s[2:3], 0, v[38:39]
	v_mov_b64_e32 v[30:31], v[40:41]
	v_mov_b64_e32 v[22:23], v[40:41]
	;; [unrolled: 1-line block ×15, first 2 shown]
.LBB126_5:                              ; =>This Loop Header: Depth=1
                                        ;     Child Loop BB126_6 Depth 2
	s_mul_i32 s0, s8, 34
	s_mul_hi_u32 s1, s8, 34
	s_add_u32 s0, s5, s0
	s_addc_u32 s1, s7, s1
	v_mad_u64_u32 v[0:1], s[16:17], v36, 34, s[0:1]
	v_mad_i64_i32 v[2:3], s[16:17], v44, 34, v[0:1]
	v_mad_i64_i32 v[4:5], s[16:17], v48, 34, v[0:1]
	;; [unrolled: 1-line block ×7, first 2 shown]
	v_lshl_add_u64 v[2:3], v[2:3], 0, v[38:39]
	v_lshl_add_u64 v[4:5], v[4:5], 0, v[38:39]
	;; [unrolled: 1-line block ×7, first 2 shown]
	v_mad_i64_i32 v[126:127], s[16:17], v92, 34, v[0:1]
	v_lshl_add_u64 v[126:127], v[126:127], 0, v[38:39]
	global_load_dword v101, v[2:3], off offset:2
	global_load_dword v103, v[4:5], off offset:2
	;; [unrolled: 1-line block ×8, first 2 shown]
	v_mad_i64_i32 v[2:3], s[16:17], v94, 34, v[0:1]
	v_mad_i64_i32 v[4:5], s[16:17], v96, 34, v[0:1]
	;; [unrolled: 1-line block ×8, first 2 shown]
	v_lshl_add_u64 v[2:3], v[2:3], 0, v[38:39]
	v_lshl_add_u64 v[0:1], v[0:1], 0, v[38:39]
	;; [unrolled: 1-line block ×8, first 2 shown]
	global_load_dword v126, v[2:3], off offset:2
	global_load_dword v127, v[4:5], off offset:2
                                        ; kill: killed $vgpr2_vgpr3
                                        ; kill: killed $vgpr4_vgpr5
	global_load_dword v128, v[6:7], off offset:2
	global_load_dword v129, v[118:119], off offset:2
	;; [unrolled: 1-line block ×4, first 2 shown]
                                        ; kill: killed $vgpr122_vgpr123
                                        ; kill: killed $vgpr6_vgpr7
                                        ; kill: killed $vgpr118_vgpr119
                                        ; kill: killed $vgpr120_vgpr121
	global_load_dword v132, v[124:125], off offset:2
	global_load_dword v133, v[0:1], off offset:2
	v_mad_u64_u32 v[0:1], s[0:1], v86, 34, s[0:1]
	v_mad_i64_i32 v[2:3], s[0:1], v110, 34, v[0:1]
	v_mad_i64_i32 v[0:1], s[0:1], v112, 34, v[0:1]
	v_add_u32_e32 v136, s8, v36
	global_load_ushort v134, v[2:3], off
	global_load_ushort v135, v[0:1], off
	v_add_u32_e32 v0, s8, v114
	v_add_u32_e32 v2, v136, v51
	;; [unrolled: 1-line block ×5, first 2 shown]
	v_mad_u64_u32 v[0:1], s[0:1], v0, 36, s[2:3]
	v_mad_i64_i32 v[2:3], s[0:1], v2, 36, v[116:117]
	v_mad_i64_i32 v[4:5], s[0:1], v4, 36, v[116:117]
	v_mad_i64_i32 v[6:7], s[0:1], v6, 36, v[116:117]
	v_mad_i64_i32 v[118:119], s[0:1], v118, 36, v[116:117]
	v_add_u32_e32 v120, v136, v59
	v_add_u32_e32 v122, v136, v61
	;; [unrolled: 1-line block ×3, first 2 shown]
	v_mad_i64_i32 v[120:121], s[0:1], v120, 36, v[116:117]
	v_mad_i64_i32 v[122:123], s[0:1], v122, 36, v[116:117]
	;; [unrolled: 1-line block ×3, first 2 shown]
	global_load_dword v137, v[0:1], off
	s_nop 0
	global_load_dword v2, v[2:3], off offset:4
	s_nop 0
	global_load_dword v3, v[4:5], off offset:4
	;; [unrolled: 2-line block ×3, first 2 shown]
	global_load_dword v5, v[118:119], off offset:4
	s_nop 0
	global_load_dword v6, v[120:121], off offset:4
	global_load_dword v7, v[122:123], off offset:4
	;; [unrolled: 1-line block ×3, first 2 shown]
	v_add_u32_e32 v0, v136, v65
	v_mad_i64_i32 v[0:1], s[0:1], v0, 36, v[116:117]
	global_load_dword v0, v[0:1], off offset:4
	s_waitcnt vmcnt(26)
	ds_write_b32 v46, v101
	s_waitcnt vmcnt(25)
	ds_write_b32 v50, v103
	s_waitcnt vmcnt(24)
	ds_write_b32 v54, v105
	s_waitcnt vmcnt(23)
	ds_write_b32 v58, v107
	s_waitcnt vmcnt(22)
	ds_write_b32 v62, v109
	s_waitcnt vmcnt(21)
	ds_write_b32 v64, v111
	s_waitcnt vmcnt(20)
	ds_write_b32 v66, v113
	s_waitcnt vmcnt(19)
	ds_write_b32 v68, v115
	s_waitcnt vmcnt(18)
	ds_write_b32 v70, v126
	s_waitcnt vmcnt(17)
	ds_write_b32 v72, v127
	s_waitcnt vmcnt(16)
	ds_write_b32 v74, v128
	s_waitcnt vmcnt(15)
	ds_write_b32 v76, v129
	s_waitcnt vmcnt(14)
	ds_write_b32 v78, v130
	s_waitcnt vmcnt(13)
	ds_write_b32 v80, v131
	s_mov_b32 s0, -8
	v_mov_b32_e32 v103, v75
	v_mov_b32_e32 v105, v73
	;; [unrolled: 1-line block ×6, first 2 shown]
	s_waitcnt vmcnt(10)
	v_cvt_f32_f16_e32 v1, v134
	s_waitcnt vmcnt(9)
	v_cvt_f32_f16_e32 v101, v135
	ds_write_b32 v82, v132
	ds_write_b32 v84, v133
	;; [unrolled: 1-line block ×4, first 2 shown]
	s_waitcnt vmcnt(7)
	ds_write_b32 v83, v2
	s_waitcnt vmcnt(6)
	ds_write_b32 v85, v3
	;; [unrolled: 2-line block ×5, first 2 shown]
	v_cvt_f32_f16_e32 v1, v137
	v_mov_b32_e32 v101, v79
	s_waitcnt vmcnt(2)
	ds_write_b32 v93, v7
	s_waitcnt vmcnt(1)
	ds_write_b32 v95, v118
	;; [unrolled: 2-line block ×3, first 2 shown]
	ds_write_b32 v49, v1
	s_waitcnt lgkmcnt(0)
	s_barrier
.LBB126_6:                              ;   Parent Loop BB126_5 Depth=1
                                        ; =>  This Inner Loop Header: Depth=2
	v_add_u32_e32 v6, 0x1080, v113
	ds_read2_b32 v[0:1], v103 offset1:32
	ds_read_b128 v[2:5], v101
	ds_read_b128 v[158:161], v101 offset:16
	ds_read_b32 v124, v105
	ds_read2_b32 v[150:151], v113 offset1:1
	ds_read2_b32 v[152:153], v113 offset0:2 offset1:3
	ds_read2_b32 v[154:155], v113 offset0:4 offset1:5
	;; [unrolled: 1-line block ×3, first 2 shown]
	ds_read_b32 v120, v107
	ds_read2_b32 v[126:127], v6 offset1:1
	v_add_u32_e32 v6, 0x1088, v113
	ds_read2_b32 v[130:131], v6 offset1:1
	v_add_u32_e32 v6, 0x1090, v113
	;; [unrolled: 2-line block ×4, first 2 shown]
	ds_read_b32 v122, v109
	ds_read2_b32 v[128:129], v6 offset1:1
	v_add_u32_e32 v6, 0x2108, v113
	ds_read2_b32 v[134:135], v6 offset1:1
	v_add_u32_e32 v6, 0x2110, v113
	;; [unrolled: 2-line block ×4, first 2 shown]
	ds_read_b32 v118, v111
	ds_read2_b32 v[132:133], v6 offset1:1
	v_mov_b32_e32 v115, 0
	v_mov_b32_e32 v119, 0
	;; [unrolled: 1-line block ×4, first 2 shown]
	s_waitcnt lgkmcnt(14)
	v_dot4c_i32_i8_e32 v115, v150, v2
	s_waitcnt lgkmcnt(10)
	v_dot4c_i32_i8_e32 v119, v126, v2
	;; [unrolled: 2-line block ×4, first 2 shown]
	v_add_u32_e32 v2, 0x3188, v113
	ds_read2_b32 v[138:139], v2 offset1:1
	v_add_u32_e32 v2, 0x3190, v113
	ds_read2_b32 v[144:145], v2 offset1:1
	v_add_u32_e32 v2, 0x3198, v113
	v_dot4c_i32_i8_e32 v115, v151, v3
	v_dot4c_i32_i8_e32 v119, v127, v3
	;; [unrolled: 1-line block ×4, first 2 shown]
	ds_read2_b32 v[148:149], v2 offset1:1
	v_dot4c_i32_i8_e32 v115, v152, v4
	v_dot4c_i32_i8_e32 v119, v130, v4
	v_dot4c_i32_i8_e32 v121, v134, v4
	s_waitcnt lgkmcnt(2)
	v_dot4c_i32_i8_e32 v123, v138, v4
	v_dot4c_i32_i8_e32 v115, v153, v5
	v_dot4c_i32_i8_e32 v119, v131, v5
	v_dot4c_i32_i8_e32 v121, v135, v5
	v_dot4c_i32_i8_e32 v123, v139, v5
	v_dot4c_i32_i8_e32 v115, v154, v158
	v_dot4c_i32_i8_e32 v119, v136, v158
	v_dot4c_i32_i8_e32 v121, v140, v158
	s_waitcnt lgkmcnt(1)
	v_dot4c_i32_i8_e32 v123, v144, v158
	v_dot4c_i32_i8_e32 v115, v155, v159
	v_dot4c_i32_i8_e32 v119, v137, v159
	v_dot4c_i32_i8_e32 v121, v141, v159
	v_dot4c_i32_i8_e32 v123, v145, v159
	;; [unrolled: 9-line block ×3, first 2 shown]
	ds_read_b128 v[2:5], v101 offset:1024
	ds_read_b128 v[158:161], v101 offset:1040
	v_mov_b32_e32 v125, 0
	v_cvt_f32_i32_e32 v162, v115
	v_mov_b32_e32 v115, 0
	s_waitcnt lgkmcnt(1)
	v_dot4c_i32_i8_e32 v125, v150, v2
	v_dot4c_i32_i8_e32 v125, v151, v3
	;; [unrolled: 1-line block ×4, first 2 shown]
	s_waitcnt lgkmcnt(0)
	v_dot4c_i32_i8_e32 v125, v154, v158
	v_dot4c_i32_i8_e32 v115, v126, v2
	;; [unrolled: 1-line block ×10, first 2 shown]
	v_cvt_f32_i32_e32 v163, v125
	v_dot4c_i32_i8_e32 v115, v142, v160
	v_pk_mul_f32 v[6:7], v[124:125], v[0:1] op_sel_hi:[0,1]
	v_dot4c_i32_i8_e32 v115, v143, v161
	v_pk_fma_f32 v[40:41], v[6:7], v[162:163], v[40:41]
	v_cvt_f32_i32_e32 v162, v119
	v_pk_mul_f32 v[6:7], v[120:121], v[0:1] op_sel_hi:[0,1]
	v_cvt_f32_i32_e32 v163, v115
	v_mov_b32_e32 v115, 0
	v_dot4c_i32_i8_e32 v115, v128, v2
	v_dot4c_i32_i8_e32 v115, v129, v3
	;; [unrolled: 1-line block ×8, first 2 shown]
	v_pk_fma_f32 v[42:43], v[6:7], v[162:163], v[42:43]
	v_cvt_f32_i32_e32 v162, v121
	v_pk_mul_f32 v[6:7], v[122:123], v[0:1] op_sel_hi:[0,1]
	v_cvt_f32_i32_e32 v163, v115
	v_pk_mul_f32 v[0:1], v[118:119], v[0:1] op_sel_hi:[0,1]
	v_mov_b32_e32 v115, 0
	v_mov_b32_e32 v119, 0
	v_pk_fma_f32 v[34:35], v[6:7], v[162:163], v[34:35]
	v_mov_b32_e32 v6, 0
	v_dot4c_i32_i8_e32 v6, v132, v2
	v_dot4c_i32_i8_e32 v6, v133, v3
	;; [unrolled: 1-line block ×8, first 2 shown]
	v_cvt_f32_i32_e32 v2, v123
	v_mov_b32_e32 v121, 0
	v_mov_b32_e32 v123, 0
	v_cvt_f32_i32_e32 v3, v6
	v_mov_b32_e32 v125, 0
	s_add_i32 s0, s0, 8
	v_add_u32_e32 v113, 32, v113
	v_pk_fma_f32 v[32:33], v[0:1], v[2:3], v[32:33]
	ds_read2_b32 v[0:1], v103 offset0:64 offset1:96
	ds_read_b128 v[2:5], v101 offset:2048
	ds_read_b128 v[158:161], v101 offset:2064
	v_add_u32_e32 v111, 4, v111
	v_add_u32_e32 v109, 4, v109
	;; [unrolled: 1-line block ×3, first 2 shown]
	s_waitcnt lgkmcnt(1)
	v_dot4c_i32_i8_e32 v115, v150, v2
	v_dot4c_i32_i8_e32 v119, v126, v2
	;; [unrolled: 1-line block ×16, first 2 shown]
	s_waitcnt lgkmcnt(0)
	v_dot4c_i32_i8_e32 v115, v154, v158
	v_dot4c_i32_i8_e32 v119, v136, v158
	;; [unrolled: 1-line block ×16, first 2 shown]
	ds_read_b128 v[2:5], v101 offset:3072
	ds_read_b128 v[158:161], v101 offset:3088
	v_cvt_f32_i32_e32 v162, v115
	v_mov_b32_e32 v115, 0
	v_add_u32_e32 v105, 4, v105
	s_waitcnt lgkmcnt(1)
	v_dot4c_i32_i8_e32 v125, v150, v2
	v_dot4c_i32_i8_e32 v125, v151, v3
	;; [unrolled: 1-line block ×4, first 2 shown]
	s_waitcnt lgkmcnt(0)
	v_dot4c_i32_i8_e32 v125, v154, v158
	v_dot4c_i32_i8_e32 v115, v126, v2
	;; [unrolled: 1-line block ×10, first 2 shown]
	v_cvt_f32_i32_e32 v163, v125
	v_dot4c_i32_i8_e32 v115, v142, v160
	v_pk_mul_f32 v[6:7], v[124:125], v[0:1] op_sel_hi:[0,1]
	v_dot4c_i32_i8_e32 v115, v143, v161
	v_pk_fma_f32 v[30:31], v[6:7], v[162:163], v[30:31]
	v_cvt_f32_i32_e32 v162, v119
	v_pk_mul_f32 v[6:7], v[120:121], v[0:1] op_sel_hi:[0,1]
	v_cvt_f32_i32_e32 v163, v115
	v_mov_b32_e32 v115, 0
	v_dot4c_i32_i8_e32 v115, v128, v2
	v_dot4c_i32_i8_e32 v115, v129, v3
	;; [unrolled: 1-line block ×8, first 2 shown]
	v_pk_fma_f32 v[28:29], v[6:7], v[162:163], v[28:29]
	v_cvt_f32_i32_e32 v162, v121
	v_pk_mul_f32 v[6:7], v[122:123], v[0:1] op_sel_hi:[0,1]
	v_cvt_f32_i32_e32 v163, v115
	v_pk_mul_f32 v[0:1], v[118:119], v[0:1] op_sel_hi:[0,1]
	v_mov_b32_e32 v115, 0
	v_mov_b32_e32 v119, 0
	v_pk_fma_f32 v[26:27], v[6:7], v[162:163], v[26:27]
	v_mov_b32_e32 v6, 0
	v_dot4c_i32_i8_e32 v6, v132, v2
	v_dot4c_i32_i8_e32 v6, v133, v3
	;; [unrolled: 1-line block ×8, first 2 shown]
	v_cvt_f32_i32_e32 v2, v123
	v_mov_b32_e32 v121, 0
	v_mov_b32_e32 v123, 0
	v_cvt_f32_i32_e32 v3, v6
	v_mov_b32_e32 v125, 0
	s_cmp_lt_u32 s0, 24
	v_pk_fma_f32 v[24:25], v[0:1], v[2:3], v[24:25]
	ds_read2_b32 v[0:1], v103 offset0:128 offset1:160
	ds_read_b128 v[2:5], v101 offset:4096
	ds_read_b128 v[158:161], v101 offset:4112
	s_waitcnt lgkmcnt(1)
	v_dot4c_i32_i8_e32 v115, v150, v2
	v_dot4c_i32_i8_e32 v119, v126, v2
	;; [unrolled: 1-line block ×16, first 2 shown]
	s_waitcnt lgkmcnt(0)
	v_dot4c_i32_i8_e32 v115, v154, v158
	v_dot4c_i32_i8_e32 v119, v136, v158
	;; [unrolled: 1-line block ×16, first 2 shown]
	ds_read_b128 v[2:5], v101 offset:5120
	ds_read_b128 v[158:161], v101 offset:5136
	v_cvt_f32_i32_e32 v162, v115
	v_mov_b32_e32 v115, 0
	s_waitcnt lgkmcnt(1)
	v_dot4c_i32_i8_e32 v125, v150, v2
	v_dot4c_i32_i8_e32 v125, v151, v3
	;; [unrolled: 1-line block ×4, first 2 shown]
	s_waitcnt lgkmcnt(0)
	v_dot4c_i32_i8_e32 v125, v154, v158
	v_dot4c_i32_i8_e32 v115, v126, v2
	;; [unrolled: 1-line block ×10, first 2 shown]
	v_cvt_f32_i32_e32 v163, v125
	v_dot4c_i32_i8_e32 v115, v142, v160
	v_pk_mul_f32 v[6:7], v[124:125], v[0:1] op_sel_hi:[0,1]
	v_dot4c_i32_i8_e32 v115, v143, v161
	v_pk_fma_f32 v[22:23], v[6:7], v[162:163], v[22:23]
	v_cvt_f32_i32_e32 v162, v119
	v_pk_mul_f32 v[6:7], v[120:121], v[0:1] op_sel_hi:[0,1]
	v_cvt_f32_i32_e32 v163, v115
	v_mov_b32_e32 v115, 0
	v_dot4c_i32_i8_e32 v115, v128, v2
	v_dot4c_i32_i8_e32 v115, v129, v3
	v_dot4c_i32_i8_e32 v115, v134, v4
	v_dot4c_i32_i8_e32 v115, v135, v5
	v_dot4c_i32_i8_e32 v115, v140, v158
	v_dot4c_i32_i8_e32 v115, v141, v159
	v_dot4c_i32_i8_e32 v115, v146, v160
	v_dot4c_i32_i8_e32 v115, v147, v161
	v_pk_fma_f32 v[20:21], v[6:7], v[162:163], v[20:21]
	v_cvt_f32_i32_e32 v162, v121
	v_pk_mul_f32 v[6:7], v[122:123], v[0:1] op_sel_hi:[0,1]
	v_cvt_f32_i32_e32 v163, v115
	v_pk_mul_f32 v[0:1], v[118:119], v[0:1] op_sel_hi:[0,1]
	v_mov_b32_e32 v119, 0
	v_mov_b32_e32 v115, 0
	v_pk_fma_f32 v[18:19], v[6:7], v[162:163], v[18:19]
	v_mov_b32_e32 v6, 0
	v_dot4c_i32_i8_e32 v6, v132, v2
	v_dot4c_i32_i8_e32 v6, v133, v3
	;; [unrolled: 1-line block ×8, first 2 shown]
	v_cvt_f32_i32_e32 v2, v123
	v_mov_b32_e32 v123, 0
	v_mov_b32_e32 v160, 0
	v_cvt_f32_i32_e32 v3, v6
	v_mov_b32_e32 v121, 0
	v_pk_fma_f32 v[16:17], v[0:1], v[2:3], v[16:17]
	ds_read2_b32 v[158:159], v103 offset0:192 offset1:224
	ds_read_b128 v[0:3], v101 offset:6144
	ds_read_b128 v[4:7], v101 offset:6160
	v_add_u32_e32 v103, 4, v103
	s_waitcnt lgkmcnt(2)
	v_pk_mul_f32 v[124:125], v[124:125], v[158:159] op_sel_hi:[0,1]
	s_waitcnt lgkmcnt(1)
	v_dot4c_i32_i8_e32 v119, v150, v0
	v_dot4c_i32_i8_e32 v123, v126, v0
	;; [unrolled: 1-line block ×16, first 2 shown]
	s_waitcnt lgkmcnt(0)
	v_dot4c_i32_i8_e32 v119, v154, v4
	v_dot4c_i32_i8_e32 v123, v136, v4
	;; [unrolled: 1-line block ×16, first 2 shown]
	ds_read_b128 v[4:7], v101 offset:7168
	ds_read_b128 v[0:3], v101 offset:7184
	v_add_u32_e32 v101, 32, v101
	s_waitcnt lgkmcnt(1)
	v_dot4c_i32_i8_e32 v121, v150, v4
	v_dot4c_i32_i8_e32 v121, v151, v5
	;; [unrolled: 1-line block ×4, first 2 shown]
	v_cvt_f32_i32_e32 v150, v119
	v_mov_b32_e32 v119, 0
	s_waitcnt lgkmcnt(0)
	v_dot4c_i32_i8_e32 v121, v154, v0
	v_dot4c_i32_i8_e32 v119, v126, v4
	;; [unrolled: 1-line block ×10, first 2 shown]
	v_cvt_f32_i32_e32 v151, v121
	v_dot4c_i32_i8_e32 v119, v142, v2
	v_dot4c_i32_i8_e32 v119, v143, v3
	v_pk_mul_f32 v[120:121], v[120:121], v[158:159] op_sel_hi:[0,1]
	v_pk_fma_f32 v[14:15], v[124:125], v[150:151], v[14:15]
	v_cvt_f32_i32_e32 v124, v123
	v_cvt_f32_i32_e32 v125, v119
	v_mov_b32_e32 v119, 0
	v_dot4c_i32_i8_e32 v119, v128, v4
	v_dot4c_i32_i8_e32 v119, v129, v5
	;; [unrolled: 1-line block ×8, first 2 shown]
	v_pk_fma_f32 v[12:13], v[120:121], v[124:125], v[12:13]
	v_pk_mul_f32 v[120:121], v[122:123], v[158:159] op_sel_hi:[0,1]
	v_cvt_f32_i32_e32 v122, v160
	v_cvt_f32_i32_e32 v123, v119
	v_mov_b32_e32 v119, 0
	v_dot4c_i32_i8_e32 v119, v132, v4
	v_dot4c_i32_i8_e32 v119, v133, v5
	;; [unrolled: 1-line block ×8, first 2 shown]
	v_cvt_f32_i32_e32 v2, v115
	v_pk_fma_f32 v[10:11], v[120:121], v[122:123], v[10:11]
	s_nop 0
	v_cvt_f32_i32_e32 v3, v119
	v_pk_mul_f32 v[0:1], v[118:119], v[158:159] op_sel_hi:[0,1]
	v_pk_fma_f32 v[8:9], v[0:1], v[2:3], v[8:9]
	s_cbranch_scc1 .LBB126_6
; %bb.7:                                ;   in Loop: Header=BB126_5 Depth=1
	s_add_i32 s8, s8, 4
	s_cmp_ge_i32 s8, s4
	s_barrier
	s_cbranch_scc0 .LBB126_5
; %bb.8:
	v_mov_b32_e32 v1, v45
.LBB126_9:
	v_cmp_gt_u32_e32 vcc, s10, v47
	s_and_saveexec_b64 s[0:1], vcc
	s_cbranch_execz .LBB126_60
; %bb.10:
	v_add_u32_e32 v0, s6, v37
	v_mul_lo_u32 v5, v47, s14
	v_cmp_gt_u32_e32 vcc, s14, v0
	s_and_saveexec_b64 s[0:1], vcc
	s_cbranch_execz .LBB126_12
; %bb.11:
	v_add_u32_e32 v2, v0, v5
	v_mov_b32_e32 v3, 0
	s_waitcnt lgkmcnt(0)
	v_lshl_add_u64 v[2:3], v[2:3], 2, s[12:13]
	global_store_dword v[2:3], v40, off
.LBB126_12:
	s_or_b64 exec, exec, s[0:1]
	v_add_u32_e32 v2, 32, v0
	v_cmp_gt_u32_e64 s[0:1], s14, v2
	s_and_saveexec_b64 s[2:3], s[0:1]
	s_cbranch_execz .LBB126_14
; %bb.13:
	v_add_u32_e32 v6, v2, v5
	v_mov_b32_e32 v7, 0
	s_waitcnt lgkmcnt(0)
	v_lshl_add_u64 v[6:7], v[6:7], 2, s[12:13]
	global_store_dword v[6:7], v42, off
.LBB126_14:
	s_or_b64 exec, exec, s[2:3]
	v_add_u32_e32 v3, 64, v0
	v_cmp_gt_u32_e64 s[2:3], s14, v3
	s_and_saveexec_b64 s[4:5], s[2:3]
	s_cbranch_execz .LBB126_16
; %bb.15:
	v_add_u32_e32 v6, v3, v5
	v_mov_b32_e32 v7, 0
	s_waitcnt lgkmcnt(0)
	v_lshl_add_u64 v[6:7], v[6:7], 2, s[12:13]
	global_store_dword v[6:7], v34, off
.LBB126_16:
	s_or_b64 exec, exec, s[4:5]
	v_add_u32_e32 v4, 0x60, v0
	v_cmp_gt_u32_e64 s[4:5], s14, v4
	s_and_saveexec_b64 s[6:7], s[4:5]
	s_cbranch_execz .LBB126_18
; %bb.17:
	v_add_u32_e32 v6, v4, v5
	v_mov_b32_e32 v7, 0
	s_waitcnt lgkmcnt(0)
	v_lshl_add_u64 v[6:7], v[6:7], 2, s[12:13]
	global_store_dword v[6:7], v32, off
.LBB126_18:
	s_or_b64 exec, exec, s[6:7]
	v_add3_u32 v5, v1, s15, 8
	v_cmp_gt_u32_e64 s[6:7], s10, v5
	s_and_b64 exec, exec, s[6:7]
	s_cbranch_execz .LBB126_60
; %bb.19:
	v_mul_lo_u32 v5, v5, s14
	s_and_saveexec_b64 s[6:7], vcc
	s_cbranch_execnz .LBB126_61
; %bb.20:
	s_or_b64 exec, exec, s[6:7]
	s_and_saveexec_b64 s[6:7], s[0:1]
	s_cbranch_execnz .LBB126_62
.LBB126_21:
	s_or_b64 exec, exec, s[6:7]
	s_and_saveexec_b64 s[6:7], s[2:3]
	s_cbranch_execnz .LBB126_63
.LBB126_22:
	s_or_b64 exec, exec, s[6:7]
	s_and_saveexec_b64 s[6:7], s[4:5]
	s_cbranch_execz .LBB126_24
.LBB126_23:
	v_add_u32_e32 v6, v5, v4
	v_mov_b32_e32 v7, 0
	s_waitcnt lgkmcnt(0)
	v_lshl_add_u64 v[6:7], v[6:7], 2, s[12:13]
	global_store_dword v[6:7], v33, off
.LBB126_24:
	s_or_b64 exec, exec, s[6:7]
	v_add3_u32 v5, v1, s15, 16
	v_cmp_gt_u32_e64 s[6:7], s10, v5
	s_and_b64 exec, exec, s[6:7]
	s_cbranch_execz .LBB126_60
; %bb.25:
	v_mul_lo_u32 v5, v5, s14
	s_and_saveexec_b64 s[6:7], vcc
	s_cbranch_execnz .LBB126_64
; %bb.26:
	s_or_b64 exec, exec, s[6:7]
	s_and_saveexec_b64 s[6:7], s[0:1]
	s_cbranch_execnz .LBB126_65
.LBB126_27:
	s_or_b64 exec, exec, s[6:7]
	s_and_saveexec_b64 s[6:7], s[2:3]
	s_cbranch_execnz .LBB126_66
.LBB126_28:
	s_or_b64 exec, exec, s[6:7]
	s_and_saveexec_b64 s[6:7], s[4:5]
	s_cbranch_execz .LBB126_30
.LBB126_29:
	v_add_u32_e32 v6, v5, v4
	v_mov_b32_e32 v7, 0
	s_waitcnt lgkmcnt(0)
	v_lshl_add_u64 v[6:7], v[6:7], 2, s[12:13]
	global_store_dword v[6:7], v24, off
.LBB126_30:
	s_or_b64 exec, exec, s[6:7]
	v_add3_u32 v5, v1, s15, 24
	v_cmp_gt_u32_e64 s[6:7], s10, v5
	s_and_b64 exec, exec, s[6:7]
	s_cbranch_execz .LBB126_60
; %bb.31:
	v_mul_lo_u32 v5, v5, s14
	s_and_saveexec_b64 s[6:7], vcc
	s_cbranch_execnz .LBB126_67
; %bb.32:
	s_or_b64 exec, exec, s[6:7]
	s_and_saveexec_b64 s[6:7], s[0:1]
	s_cbranch_execnz .LBB126_68
.LBB126_33:
	s_or_b64 exec, exec, s[6:7]
	s_and_saveexec_b64 s[6:7], s[2:3]
	s_cbranch_execnz .LBB126_69
.LBB126_34:
	s_or_b64 exec, exec, s[6:7]
	s_and_saveexec_b64 s[6:7], s[4:5]
	s_cbranch_execz .LBB126_36
.LBB126_35:
	v_add_u32_e32 v6, v5, v4
	v_mov_b32_e32 v7, 0
	s_waitcnt lgkmcnt(0)
	v_lshl_add_u64 v[6:7], v[6:7], 2, s[12:13]
	global_store_dword v[6:7], v25, off
.LBB126_36:
	s_or_b64 exec, exec, s[6:7]
	v_add3_u32 v5, v1, s15, 32
	v_cmp_gt_u32_e64 s[6:7], s10, v5
	s_and_b64 exec, exec, s[6:7]
	s_cbranch_execz .LBB126_60
; %bb.37:
	v_mul_lo_u32 v5, v5, s14
	s_and_saveexec_b64 s[6:7], vcc
	s_cbranch_execnz .LBB126_70
; %bb.38:
	s_or_b64 exec, exec, s[6:7]
	s_and_saveexec_b64 s[6:7], s[0:1]
	s_cbranch_execnz .LBB126_71
.LBB126_39:
	s_or_b64 exec, exec, s[6:7]
	s_and_saveexec_b64 s[6:7], s[2:3]
	s_cbranch_execnz .LBB126_72
.LBB126_40:
	s_or_b64 exec, exec, s[6:7]
	s_and_saveexec_b64 s[6:7], s[4:5]
	s_cbranch_execz .LBB126_42
.LBB126_41:
	v_add_u32_e32 v6, v5, v4
	v_mov_b32_e32 v7, 0
	s_waitcnt lgkmcnt(0)
	v_lshl_add_u64 v[6:7], v[6:7], 2, s[12:13]
	global_store_dword v[6:7], v16, off
.LBB126_42:
	s_or_b64 exec, exec, s[6:7]
	v_add3_u32 v5, v1, s15, 40
	v_cmp_gt_u32_e64 s[6:7], s10, v5
	s_and_b64 exec, exec, s[6:7]
	s_cbranch_execz .LBB126_60
; %bb.43:
	v_mul_lo_u32 v5, v5, s14
	s_and_saveexec_b64 s[6:7], vcc
	s_cbranch_execnz .LBB126_73
; %bb.44:
	s_or_b64 exec, exec, s[6:7]
	s_and_saveexec_b64 s[6:7], s[0:1]
	s_cbranch_execnz .LBB126_74
.LBB126_45:
	s_or_b64 exec, exec, s[6:7]
	s_and_saveexec_b64 s[6:7], s[2:3]
	s_cbranch_execnz .LBB126_75
.LBB126_46:
	s_or_b64 exec, exec, s[6:7]
	s_and_saveexec_b64 s[6:7], s[4:5]
	s_cbranch_execz .LBB126_48
.LBB126_47:
	v_add_u32_e32 v6, v5, v4
	v_mov_b32_e32 v7, 0
	s_waitcnt lgkmcnt(0)
	v_lshl_add_u64 v[6:7], v[6:7], 2, s[12:13]
	global_store_dword v[6:7], v17, off
.LBB126_48:
	s_or_b64 exec, exec, s[6:7]
	v_add3_u32 v5, v1, s15, 48
	v_cmp_gt_u32_e64 s[6:7], s10, v5
	s_and_b64 exec, exec, s[6:7]
	s_cbranch_execz .LBB126_60
; %bb.49:
	v_mul_lo_u32 v5, v5, s14
	s_and_saveexec_b64 s[6:7], vcc
	s_cbranch_execnz .LBB126_76
; %bb.50:
	s_or_b64 exec, exec, s[6:7]
	s_and_saveexec_b64 s[6:7], s[0:1]
	s_cbranch_execnz .LBB126_77
.LBB126_51:
	s_or_b64 exec, exec, s[6:7]
	s_and_saveexec_b64 s[6:7], s[2:3]
	s_cbranch_execnz .LBB126_78
.LBB126_52:
	s_or_b64 exec, exec, s[6:7]
	s_and_saveexec_b64 s[6:7], s[4:5]
	s_cbranch_execz .LBB126_54
.LBB126_53:
	v_add_u32_e32 v6, v5, v4
	v_mov_b32_e32 v7, 0
	s_waitcnt lgkmcnt(0)
	v_lshl_add_u64 v[6:7], v[6:7], 2, s[12:13]
	global_store_dword v[6:7], v8, off
.LBB126_54:
	s_or_b64 exec, exec, s[6:7]
	v_add3_u32 v1, v1, s15, 56
	v_cmp_gt_u32_e64 s[6:7], s10, v1
	s_and_b64 exec, exec, s[6:7]
	s_cbranch_execz .LBB126_60
; %bb.55:
	v_mul_lo_u32 v1, v1, s14
	s_and_saveexec_b64 s[6:7], vcc
	s_cbranch_execnz .LBB126_79
; %bb.56:
	s_or_b64 exec, exec, s[6:7]
	s_and_saveexec_b64 s[6:7], s[0:1]
	s_cbranch_execnz .LBB126_80
.LBB126_57:
	s_or_b64 exec, exec, s[6:7]
	s_and_saveexec_b64 s[0:1], s[2:3]
	s_cbranch_execnz .LBB126_81
.LBB126_58:
	s_or_b64 exec, exec, s[0:1]
	s_and_b64 exec, exec, s[4:5]
	s_cbranch_execz .LBB126_60
.LBB126_59:
	v_add_u32_e32 v0, v1, v4
	v_mov_b32_e32 v1, 0
	s_waitcnt lgkmcnt(0)
	v_lshl_add_u64 v[0:1], v[0:1], 2, s[12:13]
	global_store_dword v[0:1], v9, off
.LBB126_60:
	s_endpgm
.LBB126_61:
	v_add_u32_e32 v6, v5, v0
	v_mov_b32_e32 v7, 0
	s_waitcnt lgkmcnt(0)
	v_lshl_add_u64 v[6:7], v[6:7], 2, s[12:13]
	global_store_dword v[6:7], v41, off
	s_or_b64 exec, exec, s[6:7]
	s_and_saveexec_b64 s[6:7], s[0:1]
	s_cbranch_execz .LBB126_21
.LBB126_62:
	v_add_u32_e32 v6, v5, v2
	v_mov_b32_e32 v7, 0
	s_waitcnt lgkmcnt(0)
	v_lshl_add_u64 v[6:7], v[6:7], 2, s[12:13]
	global_store_dword v[6:7], v43, off
	s_or_b64 exec, exec, s[6:7]
	s_and_saveexec_b64 s[6:7], s[2:3]
	s_cbranch_execz .LBB126_22
.LBB126_63:
	v_add_u32_e32 v6, v5, v3
	v_mov_b32_e32 v7, 0
	s_waitcnt lgkmcnt(0)
	v_lshl_add_u64 v[6:7], v[6:7], 2, s[12:13]
	global_store_dword v[6:7], v35, off
	s_or_b64 exec, exec, s[6:7]
	s_and_saveexec_b64 s[6:7], s[4:5]
	s_cbranch_execnz .LBB126_23
	s_branch .LBB126_24
.LBB126_64:
	v_add_u32_e32 v6, v5, v0
	v_mov_b32_e32 v7, 0
	s_waitcnt lgkmcnt(0)
	v_lshl_add_u64 v[6:7], v[6:7], 2, s[12:13]
	global_store_dword v[6:7], v30, off
	s_or_b64 exec, exec, s[6:7]
	s_and_saveexec_b64 s[6:7], s[0:1]
	s_cbranch_execz .LBB126_27
.LBB126_65:
	v_add_u32_e32 v6, v5, v2
	v_mov_b32_e32 v7, 0
	s_waitcnt lgkmcnt(0)
	v_lshl_add_u64 v[6:7], v[6:7], 2, s[12:13]
	global_store_dword v[6:7], v28, off
	s_or_b64 exec, exec, s[6:7]
	s_and_saveexec_b64 s[6:7], s[2:3]
	s_cbranch_execz .LBB126_28
.LBB126_66:
	v_add_u32_e32 v6, v5, v3
	v_mov_b32_e32 v7, 0
	s_waitcnt lgkmcnt(0)
	v_lshl_add_u64 v[6:7], v[6:7], 2, s[12:13]
	global_store_dword v[6:7], v26, off
	s_or_b64 exec, exec, s[6:7]
	s_and_saveexec_b64 s[6:7], s[4:5]
	s_cbranch_execnz .LBB126_29
	s_branch .LBB126_30
.LBB126_67:
	v_add_u32_e32 v6, v5, v0
	v_mov_b32_e32 v7, 0
	s_waitcnt lgkmcnt(0)
	v_lshl_add_u64 v[6:7], v[6:7], 2, s[12:13]
	global_store_dword v[6:7], v31, off
	s_or_b64 exec, exec, s[6:7]
	s_and_saveexec_b64 s[6:7], s[0:1]
	s_cbranch_execz .LBB126_33
.LBB126_68:
	v_add_u32_e32 v6, v5, v2
	v_mov_b32_e32 v7, 0
	s_waitcnt lgkmcnt(0)
	v_lshl_add_u64 v[6:7], v[6:7], 2, s[12:13]
	global_store_dword v[6:7], v29, off
	s_or_b64 exec, exec, s[6:7]
	s_and_saveexec_b64 s[6:7], s[2:3]
	s_cbranch_execz .LBB126_34
.LBB126_69:
	v_add_u32_e32 v6, v5, v3
	v_mov_b32_e32 v7, 0
	s_waitcnt lgkmcnt(0)
	v_lshl_add_u64 v[6:7], v[6:7], 2, s[12:13]
	global_store_dword v[6:7], v27, off
	s_or_b64 exec, exec, s[6:7]
	s_and_saveexec_b64 s[6:7], s[4:5]
	s_cbranch_execnz .LBB126_35
	s_branch .LBB126_36
.LBB126_70:
	v_add_u32_e32 v6, v5, v0
	v_mov_b32_e32 v7, 0
	s_waitcnt lgkmcnt(0)
	v_lshl_add_u64 v[6:7], v[6:7], 2, s[12:13]
	global_store_dword v[6:7], v22, off
	s_or_b64 exec, exec, s[6:7]
	s_and_saveexec_b64 s[6:7], s[0:1]
	s_cbranch_execz .LBB126_39
.LBB126_71:
	v_add_u32_e32 v6, v5, v2
	v_mov_b32_e32 v7, 0
	s_waitcnt lgkmcnt(0)
	v_lshl_add_u64 v[6:7], v[6:7], 2, s[12:13]
	global_store_dword v[6:7], v20, off
	s_or_b64 exec, exec, s[6:7]
	s_and_saveexec_b64 s[6:7], s[2:3]
	s_cbranch_execz .LBB126_40
.LBB126_72:
	v_add_u32_e32 v6, v5, v3
	v_mov_b32_e32 v7, 0
	s_waitcnt lgkmcnt(0)
	v_lshl_add_u64 v[6:7], v[6:7], 2, s[12:13]
	global_store_dword v[6:7], v18, off
	s_or_b64 exec, exec, s[6:7]
	s_and_saveexec_b64 s[6:7], s[4:5]
	s_cbranch_execnz .LBB126_41
	s_branch .LBB126_42
.LBB126_73:
	v_add_u32_e32 v6, v5, v0
	v_mov_b32_e32 v7, 0
	s_waitcnt lgkmcnt(0)
	v_lshl_add_u64 v[6:7], v[6:7], 2, s[12:13]
	global_store_dword v[6:7], v23, off
	s_or_b64 exec, exec, s[6:7]
	s_and_saveexec_b64 s[6:7], s[0:1]
	s_cbranch_execz .LBB126_45
.LBB126_74:
	v_add_u32_e32 v6, v5, v2
	v_mov_b32_e32 v7, 0
	s_waitcnt lgkmcnt(0)
	v_lshl_add_u64 v[6:7], v[6:7], 2, s[12:13]
	global_store_dword v[6:7], v21, off
	s_or_b64 exec, exec, s[6:7]
	s_and_saveexec_b64 s[6:7], s[2:3]
	s_cbranch_execz .LBB126_46
.LBB126_75:
	v_add_u32_e32 v6, v5, v3
	v_mov_b32_e32 v7, 0
	s_waitcnt lgkmcnt(0)
	v_lshl_add_u64 v[6:7], v[6:7], 2, s[12:13]
	global_store_dword v[6:7], v19, off
	s_or_b64 exec, exec, s[6:7]
	s_and_saveexec_b64 s[6:7], s[4:5]
	s_cbranch_execnz .LBB126_47
	s_branch .LBB126_48
.LBB126_76:
	v_add_u32_e32 v6, v5, v0
	v_mov_b32_e32 v7, 0
	s_waitcnt lgkmcnt(0)
	v_lshl_add_u64 v[6:7], v[6:7], 2, s[12:13]
	global_store_dword v[6:7], v14, off
	s_or_b64 exec, exec, s[6:7]
	s_and_saveexec_b64 s[6:7], s[0:1]
	s_cbranch_execz .LBB126_51
.LBB126_77:
	v_add_u32_e32 v6, v5, v2
	v_mov_b32_e32 v7, 0
	s_waitcnt lgkmcnt(0)
	v_lshl_add_u64 v[6:7], v[6:7], 2, s[12:13]
	global_store_dword v[6:7], v12, off
	s_or_b64 exec, exec, s[6:7]
	s_and_saveexec_b64 s[6:7], s[2:3]
	s_cbranch_execz .LBB126_52
.LBB126_78:
	v_add_u32_e32 v6, v5, v3
	v_mov_b32_e32 v7, 0
	s_waitcnt lgkmcnt(0)
	v_lshl_add_u64 v[6:7], v[6:7], 2, s[12:13]
	global_store_dword v[6:7], v10, off
	s_or_b64 exec, exec, s[6:7]
	s_and_saveexec_b64 s[6:7], s[4:5]
	s_cbranch_execnz .LBB126_53
	s_branch .LBB126_54
.LBB126_79:
	v_add_u32_e32 v6, v1, v0
	v_mov_b32_e32 v7, 0
	s_waitcnt lgkmcnt(0)
	v_lshl_add_u64 v[6:7], v[6:7], 2, s[12:13]
	global_store_dword v[6:7], v15, off
	s_or_b64 exec, exec, s[6:7]
	s_and_saveexec_b64 s[6:7], s[0:1]
	s_cbranch_execz .LBB126_57
.LBB126_80:
	v_add_u32_e32 v6, v1, v2
	v_mov_b32_e32 v7, 0
	s_waitcnt lgkmcnt(0)
	v_lshl_add_u64 v[6:7], v[6:7], 2, s[12:13]
	global_store_dword v[6:7], v13, off
	s_or_b64 exec, exec, s[6:7]
	s_and_saveexec_b64 s[0:1], s[2:3]
	s_cbranch_execz .LBB126_58
.LBB126_81:
	v_add_u32_e32 v2, v1, v3
	v_mov_b32_e32 v3, 0
	s_waitcnt lgkmcnt(0)
	v_lshl_add_u64 v[2:3], v[2:3], 2, s[12:13]
	global_store_dword v[2:3], v11, off
	s_or_b64 exec, exec, s[0:1]
	s_and_b64 exec, exec, s[4:5]
	s_cbranch_execnz .LBB126_59
	s_branch .LBB126_60
	.section	.rodata,"a",@progbits
	.p2align	6, 0x0
	.amdhsa_kernel _ZL12mul_mat_q8_0IfLb1EEvPKvS1_PT_iiiii
		.amdhsa_group_segment_fixed_size 28224
		.amdhsa_private_segment_fixed_size 0
		.amdhsa_kernarg_size 44
		.amdhsa_user_sgpr_count 2
		.amdhsa_user_sgpr_dispatch_ptr 0
		.amdhsa_user_sgpr_queue_ptr 0
		.amdhsa_user_sgpr_kernarg_segment_ptr 1
		.amdhsa_user_sgpr_dispatch_id 0
		.amdhsa_user_sgpr_kernarg_preload_length 0
		.amdhsa_user_sgpr_kernarg_preload_offset 0
		.amdhsa_user_sgpr_private_segment_size 0
		.amdhsa_uses_dynamic_stack 0
		.amdhsa_enable_private_segment 0
		.amdhsa_system_sgpr_workgroup_id_x 1
		.amdhsa_system_sgpr_workgroup_id_y 1
		.amdhsa_system_sgpr_workgroup_id_z 0
		.amdhsa_system_sgpr_workgroup_info 0
		.amdhsa_system_vgpr_workitem_id 1
		.amdhsa_next_free_vgpr 164
		.amdhsa_next_free_sgpr 96
		.amdhsa_accum_offset 164
		.amdhsa_reserve_vcc 1
		.amdhsa_float_round_mode_32 0
		.amdhsa_float_round_mode_16_64 0
		.amdhsa_float_denorm_mode_32 3
		.amdhsa_float_denorm_mode_16_64 3
		.amdhsa_dx10_clamp 1
		.amdhsa_ieee_mode 1
		.amdhsa_fp16_overflow 0
		.amdhsa_tg_split 0
		.amdhsa_exception_fp_ieee_invalid_op 0
		.amdhsa_exception_fp_denorm_src 0
		.amdhsa_exception_fp_ieee_div_zero 0
		.amdhsa_exception_fp_ieee_overflow 0
		.amdhsa_exception_fp_ieee_underflow 0
		.amdhsa_exception_fp_ieee_inexact 0
		.amdhsa_exception_int_div_zero 0
	.end_amdhsa_kernel
	.section	.text._ZL12mul_mat_q8_0IfLb1EEvPKvS1_PT_iiiii,"axG",@progbits,_ZL12mul_mat_q8_0IfLb1EEvPKvS1_PT_iiiii,comdat
.Lfunc_end126:
	.size	_ZL12mul_mat_q8_0IfLb1EEvPKvS1_PT_iiiii, .Lfunc_end126-_ZL12mul_mat_q8_0IfLb1EEvPKvS1_PT_iiiii
                                        ; -- End function
	.set _ZL12mul_mat_q8_0IfLb1EEvPKvS1_PT_iiiii.num_vgpr, 164
	.set _ZL12mul_mat_q8_0IfLb1EEvPKvS1_PT_iiiii.num_agpr, 0
	.set _ZL12mul_mat_q8_0IfLb1EEvPKvS1_PT_iiiii.numbered_sgpr, 18
	.set _ZL12mul_mat_q8_0IfLb1EEvPKvS1_PT_iiiii.num_named_barrier, 0
	.set _ZL12mul_mat_q8_0IfLb1EEvPKvS1_PT_iiiii.private_seg_size, 0
	.set _ZL12mul_mat_q8_0IfLb1EEvPKvS1_PT_iiiii.uses_vcc, 1
	.set _ZL12mul_mat_q8_0IfLb1EEvPKvS1_PT_iiiii.uses_flat_scratch, 0
	.set _ZL12mul_mat_q8_0IfLb1EEvPKvS1_PT_iiiii.has_dyn_sized_stack, 0
	.set _ZL12mul_mat_q8_0IfLb1EEvPKvS1_PT_iiiii.has_recursion, 0
	.set _ZL12mul_mat_q8_0IfLb1EEvPKvS1_PT_iiiii.has_indirect_call, 0
	.section	.AMDGPU.csdata,"",@progbits
; Kernel info:
; codeLenInByte = 6396
; TotalNumSgprs: 24
; NumVgprs: 164
; NumAgprs: 0
; TotalNumVgprs: 164
; ScratchSize: 0
; MemoryBound: 0
; FloatMode: 240
; IeeeMode: 1
; LDSByteSize: 28224 bytes/workgroup (compile time only)
; SGPRBlocks: 12
; VGPRBlocks: 20
; NumSGPRsForWavesPerEU: 102
; NumVGPRsForWavesPerEU: 164
; AccumOffset: 164
; Occupancy: 3
; WaveLimiterHint : 0
; COMPUTE_PGM_RSRC2:SCRATCH_EN: 0
; COMPUTE_PGM_RSRC2:USER_SGPR: 2
; COMPUTE_PGM_RSRC2:TRAP_HANDLER: 0
; COMPUTE_PGM_RSRC2:TGID_X_EN: 1
; COMPUTE_PGM_RSRC2:TGID_Y_EN: 1
; COMPUTE_PGM_RSRC2:TGID_Z_EN: 0
; COMPUTE_PGM_RSRC2:TIDIG_COMP_CNT: 1
; COMPUTE_PGM_RSRC3_GFX90A:ACCUM_OFFSET: 40
; COMPUTE_PGM_RSRC3_GFX90A:TG_SPLIT: 0
	.section	.text._ZL12mul_mat_q2_KIfLb0EEvPKvS1_PT_iiiii,"axG",@progbits,_ZL12mul_mat_q2_KIfLb0EEvPKvS1_PT_iiiii,comdat
	.globl	_ZL12mul_mat_q2_KIfLb0EEvPKvS1_PT_iiiii ; -- Begin function _ZL12mul_mat_q2_KIfLb0EEvPKvS1_PT_iiiii
	.p2align	8
	.type	_ZL12mul_mat_q2_KIfLb0EEvPKvS1_PT_iiiii,@function
_ZL12mul_mat_q2_KIfLb0EEvPKvS1_PT_iiiii: ; @_ZL12mul_mat_q2_KIfLb0EEvPKvS1_PT_iiiii
; %bb.0:
	s_load_dword s7, s[0:1], 0x18
	s_load_dwordx4 s[8:11], s[0:1], 0x20
	s_waitcnt lgkmcnt(0)
	s_lshl_b32 s11, s3, 6
	v_bfe_u32 v43, v0, 10, 10
	s_cmpk_gt_i32 s7, 0xff
	s_cbranch_scc1 .LBB127_2
; %bb.1:
	v_bfe_u32 v1, v0, 10, 10
	v_and_b32_e32 v39, 0x3ff, v0
	v_add_u32_e32 v49, s11, v1
	s_mov_b64 s[4:5], 0
	s_branch .LBB127_3
.LBB127_2:
	s_mov_b64 s[4:5], -1
                                        ; implicit-def: $vgpr1
                                        ; implicit-def: $vgpr39
                                        ; implicit-def: $vgpr49
.LBB127_3:
	s_load_dwordx2 s[12:13], s[0:1], 0x10
	s_lshl_b32 s6, s2, 7
	s_andn2_b64 vcc, exec, s[4:5]
	s_mov_b32 s4, 0
	s_cbranch_vccnz .LBB127_16
; %bb.4:
	s_ashr_i32 s5, s7, 31
	s_lshr_b32 s5, s5, 24
	s_load_dwordx4 s[0:3], s[0:1], 0x0
	s_add_i32 s7, s7, s5
	s_ashr_i32 s5, s7, 8
	s_ashr_i32 s7, s9, 31
	s_lshr_b32 s7, s7, 27
	s_add_i32 s7, s9, s7
	s_mul_i32 s14, s5, s6
	s_ashr_i32 s9, s7, 5
	s_mul_hi_i32 s15, s14, 0x54
	s_mulk_i32 s14, 0x54
	v_and_b32_e32 v39, 0x3ff, v0
	s_waitcnt lgkmcnt(0)
	s_add_u32 s0, s0, s14
	v_lshlrev_b32_e32 v1, 2, v39
	s_movk_i32 s14, 0x84
	s_addc_u32 s1, s1, s15
	v_mad_u32_u24 v47, v43, s14, v1
	s_lshl_b32 s14, s5, 3
	v_mov_b32_e32 v2, s14
	v_mad_i32_i24 v46, s5, v43, v2
	v_lshlrev_b32_e32 v8, 4, v43
	v_bfe_u32 v2, v0, 1, 9
	v_and_b32_e32 v50, 1, v0
	v_add_u32_e32 v2, v2, v8
	v_and_b32_e32 v3, 0x7f, v2
	v_lshlrev_b32_e32 v4, 2, v50
	v_lshrrev_b32_e32 v2, 2, v2
	v_mul_i32_i24_e32 v52, s5, v3
	v_lshl_or_b32 v3, v3, 3, v4
	v_and_b32_e32 v2, 28, v2
	s_movk_i32 s15, 0x7280
	v_bfe_u32 v97, v0, 3, 7
	v_add3_u32 v95, v3, v2, s15
	v_lshl_add_u32 v2, v43, 2, v97
	v_and_b32_e32 v9, 7, v0
	v_and_b32_e32 v3, 0x7fc, v2
	v_lshlrev_b32_e32 v4, 2, v9
	s_movk_i32 s15, 0x6200
	s_lshl_b32 s18, s5, 5
	v_add3_u32 v10, v3, v4, s15
	v_add_u32_e32 v3, 32, v2
	v_mov_b32_e32 v5, s18
	v_mul_i32_i24_e32 v58, s5, v2
	v_lshlrev_b32_e32 v11, 5, v2
	v_mad_i32_i24 v60, s5, v2, v5
	v_and_b32_e32 v5, 0xffc, v3
	v_lshlrev_b32_e32 v13, 5, v3
	v_add_u32_e32 v3, 64, v2
	v_add_u32_e32 v2, 0x60, v2
	v_add3_u32 v12, v5, v4, s15
	v_and_b32_e32 v5, 0xffc, v3
	v_lshlrev_b32_e32 v15, 5, v3
	v_and_b32_e32 v3, 0xffc, v2
	v_and_b32_e32 v40, 60, v1
	;; [unrolled: 1-line block ×3, first 2 shown]
	v_add3_u32 v14, v5, v4, s15
	v_add3_u32 v16, v3, v4, s15
	v_and_b32_e32 v6, 31, v0
	v_and_b32_e32 v4, 28, v1
	v_mov_b32_e32 v1, 0x4200
	v_lshl_or_b32 v1, v6, 2, v1
	v_bfe_u32 v6, v0, 2, 8
	v_lshl_add_u32 v6, v43, 3, v6
	v_and_b32_e32 v7, 63, v6
	s_add_i32 s15, s8, -1
	v_or_b32_e32 v18, s11, v7
	v_and_b32_e32 v6, 3, v0
	v_min_i32_e32 v18, s15, v18
	v_mad_u64_u32 v[66:67], s[16:17], v18, s9, v[6:7]
	v_lshlrev_b32_e32 v6, 2, v6
	v_add_u32_e32 v49, s11, v43
	v_lshl_or_b32 v6, v7, 4, v6
	v_lshlrev_b32_e32 v17, 5, v2
	v_cvt_f64_i32_e32 v[2:3], s15
	v_add_u32_e32 v67, 0x76a0, v6
	v_cvt_f64_u32_e32 v[6:7], v49
	v_min_f64 v[6:7], v[6:7], v[2:3]
	v_cvt_i32_f64_e32 v6, v[6:7]
	v_mul_lo_u32 v99, s9, v6
	v_add_u32_e32 v6, 8, v49
	v_cvt_f64_u32_e32 v[6:7], v6
	v_min_f64 v[6:7], v[6:7], v[2:3]
	v_cvt_i32_f64_e32 v6, v[6:7]
	v_mul_lo_u32 v101, s9, v6
	;; [unrolled: 5-line block ×5, first 2 shown]
	v_add_u32_e32 v6, 40, v49
	v_cvt_f64_u32_e32 v[6:7], v6
	v_min_f64 v[6:7], v[6:7], v[2:3]
	v_cvt_i32_f64_e32 v6, v[6:7]
	v_add_u32_e32 v48, s14, v46
	v_mul_lo_u32 v109, s9, v6
	v_add_u32_e32 v6, 48, v49
	v_cvt_f64_u32_e32 v[6:7], v6
	v_add_u32_e32 v72, s14, v48
	v_min_f64 v[6:7], v[6:7], v[2:3]
	v_add_u32_e32 v74, s14, v72
	v_cvt_i32_f64_e32 v6, v[6:7]
	v_add_u32_e32 v76, s14, v74
	v_mul_lo_u32 v111, s9, v6
	v_add_u32_e32 v6, 56, v49
	v_add_u32_e32 v78, s14, v76
	v_cvt_f64_u32_e32 v[6:7], v6
	v_add_u32_e32 v80, s14, v78
	v_min_f64 v[2:3], v[6:7], v[2:3]
	v_add_u32_e32 v82, s14, v80
	v_cvt_i32_f64_e32 v2, v[2:3]
	v_mul_u32_u24_e32 v3, 33, v39
	v_add_u32_e32 v84, s14, v82
	v_bfe_u32 v38, v0, 4, 6
	v_add_u32_e32 v7, 32, v39
	v_lshlrev_b32_e32 v126, 2, v3
	v_lshlrev_b32_e32 v3, 5, v39
	v_and_b32_e32 v0, 0xfc, v0
	v_add_u32_e32 v86, s14, v84
	v_add_u32_e32 v27, 64, v39
	v_add_u32_e32 v129, v3, v0
	v_and_b32_e32 v0, 0x1fc, v7
	v_add_u32_e32 v88, s14, v86
	v_add_u32_e32 v30, 0x60, v39
	;; [unrolled: 1-line block ×3, first 2 shown]
	v_and_b32_e32 v0, 0x1fc, v27
	v_add_u32_e32 v90, s14, v88
	v_mov_b32_e32 v41, 0
	v_lshlrev_b32_e32 v18, 7, v43
	v_add_u32_e32 v133, v3, v0
	v_and_b32_e32 v0, 0x1fc, v30
	v_add_u32_e32 v92, s14, v90
	v_mov_b32_e32 v5, v41
	v_add_u32_e32 v19, 0x400, v18
	v_add_u32_e32 v20, 0x800, v18
	;; [unrolled: 1-line block ×6, first 2 shown]
	v_mul_lo_u32 v117, s9, v2
	v_add_u32_e32 v2, 0x1c00, v18
	v_lshlrev_b32_e32 v6, 1, v39
	v_lshlrev_b32_e32 v25, 1, v7
	v_lshrrev_b32_e32 v26, 4, v7
	v_lshlrev_b32_e32 v28, 1, v27
	v_lshrrev_b32_e32 v29, 4, v27
	;; [unrolled: 2-line block ×3, first 2 shown]
	v_add_u32_e32 v135, v3, v0
	v_mov_b32_e32 v54, v41
	v_mov_b32_e32 v55, v41
	v_add_u32_e32 v94, s14, v92
	v_cmp_lt_u32_e32 vcc, 3, v9
	v_add_u32_e32 v100, s18, v60
	s_movk_i32 s7, 0x54
	v_mul_i32_i24_e32 v42, s5, v43
	v_add_u32_e32 v51, 0x420, v47
	v_add_u32_e32 v53, 0x840, v47
	;; [unrolled: 1-line block ×15, first 2 shown]
	v_mov_b32_e32 v57, v41
	v_lshrrev_b32_e32 v119, 3, v7
	v_lshrrev_b32_e32 v124, 3, v27
	;; [unrolled: 1-line block ×3, first 2 shown]
	v_lshl_add_u64 v[70:71], s[2:3], 0, v[4:5]
	v_add_u32_e32 v127, 0x76a0, v8
	v_add_u32_e32 v128, 0x4200, v18
	;; [unrolled: 1-line block ×18, first 2 shown]
	v_lshlrev_b32_e32 v149, 2, v38
	v_lshlrev_b32_e32 v150, 2, v6
	;; [unrolled: 1-line block ×8, first 2 shown]
	s_mov_b32 s9, 0x1010101
	v_mov_b32_e32 v157, 4
	v_mov_b32_e32 v158, 15
	v_add_u32_e32 v96, s14, v94
	v_cndmask_b32_e64 v98, 0, 1, vcc
	v_add_u32_e32 v102, s18, v100
	v_mov_b64_e32 v[44:45], v[54:55]
	v_mov_b64_e32 v[30:31], v[54:55]
	;; [unrolled: 1-line block ×15, first 2 shown]
	s_branch .LBB127_6
.LBB127_5:                              ;   in Loop: Header=BB127_6 Depth=1
	s_add_i32 s4, s4, 2
	s_cmp_ge_i32 s4, s5
	s_cbranch_scc1 .LBB127_18
.LBB127_6:                              ; =>This Loop Header: Depth=1
                                        ;     Child Loop BB127_7 Depth 2
                                        ;     Child Loop BB127_9 Depth 2
	;; [unrolled: 1-line block ×4, first 2 shown]
	s_mul_i32 s14, s4, 0x54
	s_mul_hi_u32 s15, s4, 0x54
	s_add_u32 s14, s0, s14
	s_addc_u32 s15, s1, s15
	v_mov_b64_e32 v[0:1], s[14:15]
	v_mad_u64_u32 v[2:3], s[14:15], v38, s7, v[0:1]
	v_mad_u64_u32 v[4:5], s[14:15], v42, s7, v[2:3]
	;; [unrolled: 1-line block ×9, first 2 shown]
	v_lshl_add_u64 v[4:5], v[4:5], 0, v[40:41]
	v_lshl_add_u64 v[6:7], v[6:7], 0, v[40:41]
	;; [unrolled: 1-line block ×8, first 2 shown]
	global_load_dword v104, v[4:5], off offset:16
	global_load_dword v106, v[6:7], off offset:16
	;; [unrolled: 1-line block ×7, first 2 shown]
	s_nop 0
	global_load_dword v114, v[114:115], off offset:16
	v_mad_u64_u32 v[4:5], s[14:15], v82, s7, v[2:3]
	v_mad_u64_u32 v[6:7], s[14:15], v84, s7, v[2:3]
	;; [unrolled: 1-line block ×8, first 2 shown]
	v_lshl_add_u64 v[4:5], v[4:5], 0, v[40:41]
	v_lshl_add_u64 v[10:11], v[10:11], 0, v[40:41]
	;; [unrolled: 1-line block ×8, first 2 shown]
	global_load_dword v115, v[4:5], off offset:16
	global_load_dword v121, v[6:7], off offset:16
	;; [unrolled: 1-line block ×3, first 2 shown]
	s_nop 0
	global_load_dword v10, v[10:11], off offset:16
	s_nop 0
	global_load_dword v11, v[12:13], off offset:16
	;; [unrolled: 2-line block ×3, first 2 shown]
	global_load_dword v13, v[112:113], off offset:16
	s_nop 0
	global_load_dword v14, v[2:3], off offset:16
	v_mad_u64_u32 v[2:3], s[14:15], v52, s7, v[0:1]
	v_mad_u64_u32 v[0:1], s[14:15], v98, s7, v[0:1]
	v_lshl_add_u64 v[0:1], v[0:1], 0, v[56:57]
	v_mad_u64_u32 v[2:3], s[14:15], v50, s7, v[2:3]
	v_mad_u64_u32 v[4:5], s[14:15], v58, s7, v[0:1]
	;; [unrolled: 1-line block ×5, first 2 shown]
	s_lshl_b32 s14, s4, 3
	s_nop 0
	v_add_u32_e32 v161, s14, v97
	global_load_dword v15, v[2:3], off offset:80
	global_load_dword v112, v[4:5], off
	global_load_dword v113, v[6:7], off
	;; [unrolled: 1-line block ×4, first 2 shown]
	v_add_u32_e32 v0, v161, v99
	v_add_u32_e32 v2, v161, v101
	;; [unrolled: 1-line block ×3, first 2 shown]
	v_mad_i64_i32 v[0:1], s[16:17], v0, 36, v[70:71]
	v_mad_i64_i32 v[2:3], s[16:17], v2, 36, v[70:71]
	v_add_u32_e32 v4, v161, v103
	v_add_u32_e32 v6, v161, v105
	v_mad_i64_i32 v[8:9], s[16:17], v8, 36, v[70:71]
	v_add_u32_e32 v159, s14, v66
	v_mad_i64_i32 v[4:5], s[16:17], v4, 36, v[70:71]
	v_mad_i64_i32 v[6:7], s[16:17], v6, 36, v[70:71]
	global_load_dword v162, v[0:1], off offset:4
	global_load_dword v163, v[2:3], off offset:4
	;; [unrolled: 1-line block ×4, first 2 shown]
	s_nop 0
	global_load_dword v8, v[8:9], off offset:4
	v_add_u32_e32 v0, v161, v109
	v_add_u32_e32 v2, v161, v111
	v_mad_i64_i32 v[0:1], s[16:17], v0, 36, v[70:71]
	v_mad_i64_i32 v[2:3], s[16:17], v2, 36, v[70:71]
	v_add_u32_e32 v4, v161, v117
	v_mad_u64_u32 v[6:7], s[16:17], v159, 36, s[2:3]
	v_mad_i64_i32 v[4:5], s[16:17], v4, 36, v[70:71]
	global_load_dword v6, v[6:7], off
	s_nop 0
	global_load_dword v0, v[0:1], off offset:4
	s_nop 0
	global_load_dword v1, v[2:3], off offset:4
	;; [unrolled: 2-line block ×3, first 2 shown]
	s_waitcnt vmcnt(29)
	ds_write_b32 v47, v104
	s_waitcnt vmcnt(28)
	ds_write_b32 v51, v106
	;; [unrolled: 2-line block ×26, first 2 shown]
	v_mov_b32_e32 v113, v128
	v_mov_b32_e32 v115, v127
	s_mov_b32 s15, 0
	s_waitcnt vmcnt(3)
	v_cvt_f32_f16_e32 v3, v6
	s_waitcnt vmcnt(2)
	ds_write_b32 v146, v0
	s_waitcnt vmcnt(1)
	ds_write_b32 v147, v1
	;; [unrolled: 2-line block ×3, first 2 shown]
	ds_write_b32 v67, v3
	s_waitcnt lgkmcnt(0)
	s_barrier
.LBB127_7:                              ;   Parent Loop BB127_6 Depth=1
                                        ; =>  This Inner Loop Header: Depth=2
	s_and_b32 s17, s15, 0x3ffffff8
	v_lshl_add_u32 v10, s17, 2, v126
	ds_read2_b32 v[120:121], v115 offset1:32
	ds_read_b128 v[4:7], v113
	ds_read_b128 v[0:3], v113 offset:16
	ds_read2_b32 v[8:9], v10 offset1:1
	s_lshr_b32 s17, s15, 2
	s_and_b32 s17, s17, 0x3ffffffc
	s_addk_i32 s17, 0x7280
	s_and_b32 s16, s15, -16
	s_waitcnt lgkmcnt(0)
	v_ashrrev_i32_e32 v8, s15, v8
	v_and_b32_e32 v171, 0x3030303, v8
	v_ashrrev_i32_e32 v8, s15, v9
	v_and_b32_e32 v168, 0x3030303, v8
	ds_read2_b32 v[8:9], v10 offset0:2 offset1:3
	s_add_i32 s16, s15, s16
	v_add_u32_e32 v193, s16, v130
	v_mov_b32_e32 v200, 0
	v_mov_b32_e32 v204, 0
	s_waitcnt lgkmcnt(0)
	v_ashrrev_i32_e32 v8, s15, v8
	v_and_b32_e32 v169, 0x3030303, v8
	v_ashrrev_i32_e32 v8, s15, v9
	v_and_b32_e32 v170, 0x3030303, v8
	ds_read2_b32 v[8:9], v10 offset0:4 offset1:5
	v_mov_b32_e32 v122, 0
	v_mov_b32_e32 v198, 0
	v_dot4c_i32_i8_e32 v122, v171, v4
	v_mov_b32_e32 v123, 0
	s_waitcnt lgkmcnt(0)
	v_ashrrev_i32_e32 v8, s15, v8
	v_and_b32_e32 v164, 0x3030303, v8
	v_ashrrev_i32_e32 v8, s15, v9
	v_and_b32_e32 v165, 0x3030303, v8
	ds_read2_b32 v[8:9], v10 offset0:6 offset1:7
	v_mov_b32_e32 v199, 0
	v_dot4c_i32_i8_e32 v122, v168, v5
	v_dot4c_i32_i8_e32 v123, v164, v0
	v_dot4c_i32_i8_e32 v122, v169, v6
	s_waitcnt lgkmcnt(0)
	v_ashrrev_i32_e32 v8, s15, v8
	v_and_b32_e32 v166, 0x3030303, v8
	v_ashrrev_i32_e32 v8, s15, v9
	v_and_b32_e32 v167, 0x3030303, v8
	v_add3_u32 v8, s17, v149, v150
	ds_read_b32 v8, v8
	v_dot4c_i32_i8_e32 v123, v165, v1
	v_dot4c_i32_i8_e32 v122, v170, v7
	;; [unrolled: 1-line block ×4, first 2 shown]
	s_waitcnt lgkmcnt(0)
	v_cvt_f32_f16_e32 v108, v8
	v_cvt_f32_f16_sdwa v110, v8 dst_sel:DWORD dst_unused:UNUSED_PAD src0_sel:WORD_1
	v_add_u32_e32 v8, 0x1080, v10
	ds_read2_b32 v[8:9], v8 offset1:1
	v_add_u32_e32 v197, s16, v132
	v_add_u32_e32 v201, s16, v134
	;; [unrolled: 1-line block ×3, first 2 shown]
	v_mov_b32_e32 v209, 0
	s_waitcnt lgkmcnt(0)
	v_ashrrev_i32_e32 v8, s15, v8
	v_and_b32_e32 v191, 0x3030303, v8
	v_ashrrev_i32_e32 v8, s15, v9
	v_and_b32_e32 v185, 0x3030303, v8
	v_add_u32_e32 v8, 0x1088, v10
	ds_read2_b32 v[8:9], v8 offset1:1
	v_mov_b32_e32 v212, 0
	v_mov_b32_e32 v202, 0
	v_dot4c_i32_i8_e32 v202, v191, v4
	v_mov_b32_e32 v203, 0
	s_waitcnt lgkmcnt(0)
	v_ashrrev_i32_e32 v8, s15, v8
	v_and_b32_e32 v189, 0x3030303, v8
	v_ashrrev_i32_e32 v8, s15, v9
	v_and_b32_e32 v190, 0x3030303, v8
	v_add_u32_e32 v8, 0x1090, v10
	ds_read2_b32 v[8:9], v8 offset1:1
	v_dot4c_i32_i8_e32 v202, v185, v5
	v_dot4c_i32_i8_e32 v202, v189, v6
	;; [unrolled: 1-line block ×3, first 2 shown]
	v_mov_b32_e32 v213, 0
	s_waitcnt lgkmcnt(0)
	v_ashrrev_i32_e32 v8, s15, v8
	v_and_b32_e32 v180, 0x3030303, v8
	v_ashrrev_i32_e32 v8, s15, v9
	v_and_b32_e32 v181, 0x3030303, v8
	v_add_u32_e32 v8, 0x1098, v10
	ds_read2_b32 v[8:9], v8 offset1:1
	v_dot4c_i32_i8_e32 v203, v180, v0
	v_dot4c_i32_i8_e32 v203, v181, v1
	v_mov_b32_e32 v205, 0
	v_mov_b32_e32 v208, 0
	s_waitcnt lgkmcnt(0)
	v_ashrrev_i32_e32 v8, s15, v8
	v_and_b32_e32 v182, 0x3030303, v8
	v_ashrrev_i32_e32 v8, s15, v9
	v_and_b32_e32 v183, 0x3030303, v8
	v_add3_u32 v8, s17, v151, v152
	ds_read_b32 v8, v8
	v_dot4c_i32_i8_e32 v203, v182, v2
	v_dot4c_i32_i8_e32 v203, v183, v3
	v_mov_b32_e32 v206, 0
	v_mov_b32_e32 v207, 0
	s_waitcnt lgkmcnt(0)
	v_cvt_f32_f16_e32 v116, v8
	v_cvt_f32_f16_sdwa v118, v8 dst_sel:DWORD dst_unused:UNUSED_PAD src0_sel:WORD_1
	v_add_u32_e32 v8, 0x2100, v10
	ds_read2_b32 v[8:9], v8 offset1:1
	v_mov_b32_e32 v214, 0
	s_waitcnt lgkmcnt(0)
	v_ashrrev_i32_e32 v8, s15, v8
	v_and_b32_e32 v179, 0x3030303, v8
	v_ashrrev_i32_e32 v8, s15, v9
	v_and_b32_e32 v176, 0x3030303, v8
	v_add_u32_e32 v8, 0x2108, v10
	ds_read2_b32 v[8:9], v8 offset1:1
	v_dot4c_i32_i8_e32 v205, v179, v4
	v_dot4c_i32_i8_e32 v205, v176, v5
	s_waitcnt lgkmcnt(0)
	v_ashrrev_i32_e32 v8, s15, v8
	v_and_b32_e32 v177, 0x3030303, v8
	v_ashrrev_i32_e32 v8, s15, v9
	v_and_b32_e32 v178, 0x3030303, v8
	v_add_u32_e32 v8, 0x2110, v10
	ds_read2_b32 v[8:9], v8 offset1:1
	v_dot4c_i32_i8_e32 v205, v177, v6
	v_dot4c_i32_i8_e32 v205, v178, v7
	;; [unrolled: 9-line block ×3, first 2 shown]
	s_waitcnt lgkmcnt(0)
	v_ashrrev_i32_e32 v8, s15, v8
	v_and_b32_e32 v174, 0x3030303, v8
	v_ashrrev_i32_e32 v8, s15, v9
	v_and_b32_e32 v175, 0x3030303, v8
	v_add3_u32 v8, s17, v153, v154
	ds_read_b32 v8, v8
	v_dot4c_i32_i8_e32 v208, v174, v2
	v_dot4c_i32_i8_e32 v208, v175, v3
	s_waitcnt lgkmcnt(0)
	v_cvt_f32_f16_e32 v112, v8
	v_cvt_f32_f16_sdwa v114, v8 dst_sel:DWORD dst_unused:UNUSED_PAD src0_sel:WORD_1
	v_add_u32_e32 v8, 0x3180, v10
	ds_read2_b32 v[8:9], v8 offset1:1
	s_waitcnt lgkmcnt(0)
	v_ashrrev_i32_e32 v8, s15, v8
	v_and_b32_e32 v186, 0x3030303, v8
	v_ashrrev_i32_e32 v8, s15, v9
	v_and_b32_e32 v184, 0x3030303, v8
	v_add_u32_e32 v8, 0x3188, v10
	ds_read2_b32 v[8:9], v8 offset1:1
	v_dot4c_i32_i8_e32 v206, v186, v4
	v_dot4c_i32_i8_e32 v206, v184, v5
	s_waitcnt lgkmcnt(0)
	v_ashrrev_i32_e32 v8, s15, v8
	v_and_b32_e32 v187, 0x3030303, v8
	v_ashrrev_i32_e32 v8, s15, v9
	v_and_b32_e32 v188, 0x3030303, v8
	v_add_u32_e32 v8, 0x3190, v10
	ds_read2_b32 v[8:9], v8 offset1:1
	v_dot4c_i32_i8_e32 v206, v187, v6
	v_dot4c_i32_i8_e32 v206, v188, v7
	;; [unrolled: 9-line block ×3, first 2 shown]
	s_waitcnt lgkmcnt(0)
	v_ashrrev_i32_e32 v8, s15, v8
	v_and_b32_e32 v162, 0x3030303, v8
	v_ashrrev_i32_e32 v8, s15, v9
	v_and_b32_e32 v163, 0x3030303, v8
	v_add3_u32 v8, s17, v155, v156
	ds_read_b32 v8, v8
	v_dot4c_i32_i8_e32 v207, v162, v2
	v_dot4c_i32_i8_e32 v207, v163, v3
	s_waitcnt lgkmcnt(0)
	v_cvt_f32_f16_e32 v104, v8
	v_cvt_f32_f16_sdwa v106, v8 dst_sel:DWORD dst_unused:UNUSED_PAD src0_sel:WORD_1
	ds_read_b128 v[12:15], v113 offset:1024
	ds_read_b128 v[8:11], v113 offset:1040
	ds_read_u16 v195, v193
	s_waitcnt lgkmcnt(2)
	v_dot4c_i32_i8_e32 v199, v171, v12
	s_waitcnt lgkmcnt(1)
	v_dot4c_i32_i8_e32 v198, v164, v8
	s_waitcnt lgkmcnt(0)
	v_bfe_u32 v193, v195, 4, 4
	v_mul_lo_u32 v193, v193, s9
	v_dot4c_i32_i8_e32 v200, v193, v4
	v_dot4c_i32_i8_e32 v204, v193, v12
	;; [unrolled: 1-line block ×5, first 2 shown]
	v_lshrrev_b32_sdwa v194, v157, v195 dst_sel:DWORD dst_unused:UNUSED_PAD src0_sel:DWORD src1_sel:BYTE_1
	v_dot4c_i32_i8_e32 v204, v193, v14
	v_dot4c_i32_i8_e32 v198, v165, v9
	;; [unrolled: 1-line block ×3, first 2 shown]
	v_mul_lo_u32 v194, v194, s9
	v_dot4c_i32_i8_e32 v204, v193, v15
	v_dot4c_i32_i8_e32 v199, v168, v13
	;; [unrolled: 1-line block ×4, first 2 shown]
	v_and_b32_e32 v196, 15, v195
	v_and_b32_sdwa v195, v195, v158 dst_sel:DWORD dst_unused:UNUSED_PAD src0_sel:BYTE_1 src1_sel:DWORD
	v_dot4c_i32_i8_e32 v204, v194, v8
	v_dot4c_i32_i8_e32 v199, v169, v14
	;; [unrolled: 1-line block ×4, first 2 shown]
	v_and_b32_e32 v195, 0xffff, v195
	v_and_b32_e32 v196, 0xffff, v196
	v_dot4c_i32_i8_e32 v204, v194, v9
	v_dot4c_i32_i8_e32 v199, v170, v15
	;; [unrolled: 1-line block ×4, first 2 shown]
	v_mul_lo_u32 v122, v122, v196
	v_mul_lo_u32 v198, v198, v195
	v_dot4c_i32_i8_e32 v200, v194, v3
	v_dot4c_i32_i8_e32 v204, v194, v11
	v_mad_u64_u32 v[198:199], s[16:17], v199, v196, v[198:199]
	v_mad_u64_u32 v[122:123], s[16:17], v123, v195, v[122:123]
	v_cvt_f32_i32_e32 v123, v122
	v_cvt_f32_i32_e32 v122, v198
	v_cvt_f32_i32_e32 v199, v200
	v_cvt_f32_i32_e32 v198, v204
	v_mov_b32_e32 v204, 0
	v_dot4c_i32_i8_e32 v204, v180, v8
	v_dot4c_i32_i8_e32 v204, v181, v9
	v_pk_mul_f32 v[198:199], v[110:111], v[198:199] op_sel_hi:[0,1]
	v_pk_fma_f32 v[198:199], v[108:109], v[122:123], v[198:199] op_sel_hi:[0,1,1] neg_lo:[0,0,1] neg_hi:[0,0,1]
	v_mov_b32_e32 v123, v120
	ds_read_u16 v120, v197
	v_mov_b32_e32 v122, v121
	v_pk_fma_f32 v[54:55], v[122:123], v[198:199], v[54:55]
	v_mov_b32_e32 v121, 0
	v_dot4c_i32_i8_e32 v121, v191, v12
	s_waitcnt lgkmcnt(0)
	v_bfe_u32 v197, v120, 4, 4
	v_mul_lo_u32 v197, v197, s9
	v_dot4c_i32_i8_e32 v209, v197, v4
	v_dot4c_i32_i8_e32 v212, v197, v12
	;; [unrolled: 1-line block ×5, first 2 shown]
	v_lshrrev_b32_sdwa v198, v157, v120 dst_sel:DWORD dst_unused:UNUSED_PAD src0_sel:DWORD src1_sel:BYTE_1
	v_dot4c_i32_i8_e32 v212, v197, v14
	v_dot4c_i32_i8_e32 v209, v197, v7
	v_mul_lo_u32 v198, v198, s9
	v_dot4c_i32_i8_e32 v212, v197, v15
	v_dot4c_i32_i8_e32 v209, v198, v0
	;; [unrolled: 1-line block ×6, first 2 shown]
	v_and_b32_e32 v200, 15, v120
	v_and_b32_sdwa v120, v120, v158 dst_sel:DWORD dst_unused:UNUSED_PAD src0_sel:BYTE_1 src1_sel:DWORD
	v_dot4c_i32_i8_e32 v212, v198, v9
	v_dot4c_i32_i8_e32 v121, v189, v14
	;; [unrolled: 1-line block ×4, first 2 shown]
	v_and_b32_e32 v199, 0xffff, v120
	v_and_b32_e32 v200, 0xffff, v200
	v_dot4c_i32_i8_e32 v212, v198, v10
	v_dot4c_i32_i8_e32 v121, v190, v15
	;; [unrolled: 1-line block ×4, first 2 shown]
	v_mul_lo_u32 v120, v202, v200
	v_mul_lo_u32 v202, v204, v199
	v_mad_u64_u32 v[210:211], s[16:17], v121, v200, v[202:203]
	v_mad_u64_u32 v[120:121], s[16:17], v203, v199, v[120:121]
	v_cvt_f32_i32_e32 v203, v209
	v_cvt_f32_i32_e32 v202, v212
	;; [unrolled: 1-line block ×4, first 2 shown]
	v_mov_b32_e32 v212, 0
	v_pk_mul_f32 v[202:203], v[118:119], v[202:203] op_sel_hi:[0,1]
	v_mov_b32_e32 v209, 0
	v_pk_fma_f32 v[120:121], v[116:117], v[120:121], v[202:203] op_sel_hi:[0,1,1] neg_lo:[0,0,1] neg_hi:[0,0,1]
	v_pk_fma_f32 v[68:69], v[122:123], v[120:121], v[68:69]
	ds_read_u16 v120, v201
	v_mov_b32_e32 v121, 0
	v_dot4c_i32_i8_e32 v209, v172, v8
	v_dot4c_i32_i8_e32 v121, v179, v12
	;; [unrolled: 1-line block ×3, first 2 shown]
	s_waitcnt lgkmcnt(0)
	v_bfe_u32 v201, v120, 4, 4
	v_mul_lo_u32 v201, v201, s9
	v_dot4c_i32_i8_e32 v212, v201, v4
	v_dot4c_i32_i8_e32 v213, v201, v12
	;; [unrolled: 1-line block ×5, first 2 shown]
	v_lshrrev_b32_sdwa v202, v157, v120 dst_sel:DWORD dst_unused:UNUSED_PAD src0_sel:DWORD src1_sel:BYTE_1
	v_dot4c_i32_i8_e32 v213, v201, v14
	v_dot4c_i32_i8_e32 v212, v201, v7
	v_mul_lo_u32 v202, v202, s9
	v_dot4c_i32_i8_e32 v213, v201, v15
	v_dot4c_i32_i8_e32 v212, v202, v0
	v_dot4c_i32_i8_e32 v213, v202, v8
	v_dot4c_i32_i8_e32 v121, v176, v13
	v_dot4c_i32_i8_e32 v209, v174, v10
	v_dot4c_i32_i8_e32 v212, v202, v1
	v_and_b32_e32 v204, 15, v120
	v_and_b32_sdwa v120, v120, v158 dst_sel:DWORD dst_unused:UNUSED_PAD src0_sel:BYTE_1 src1_sel:DWORD
	v_dot4c_i32_i8_e32 v213, v202, v9
	v_dot4c_i32_i8_e32 v121, v177, v14
	;; [unrolled: 1-line block ×4, first 2 shown]
	v_and_b32_e32 v203, 0xffff, v120
	v_and_b32_e32 v204, 0xffff, v204
	v_dot4c_i32_i8_e32 v213, v202, v10
	v_dot4c_i32_i8_e32 v121, v178, v15
	;; [unrolled: 1-line block ×4, first 2 shown]
	v_mul_lo_u32 v120, v205, v204
	v_mul_lo_u32 v210, v209, v203
	v_mad_u64_u32 v[210:211], s[16:17], v121, v204, v[210:211]
	v_mad_u64_u32 v[120:121], s[16:17], v208, v203, v[120:121]
	v_cvt_f32_i32_e32 v209, v212
	v_cvt_f32_i32_e32 v208, v213
	;; [unrolled: 1-line block ×4, first 2 shown]
	v_mov_b32_e32 v210, 0
	v_pk_mul_f32 v[208:209], v[114:115], v[208:209] op_sel_hi:[0,1]
	v_mov_b32_e32 v211, 0
	v_pk_fma_f32 v[120:121], v[112:113], v[120:121], v[208:209] op_sel_hi:[0,1,1] neg_lo:[0,0,1] neg_hi:[0,0,1]
	v_pk_fma_f32 v[64:65], v[122:123], v[120:121], v[64:65]
	ds_read_u16 v121, v192
	v_mov_b32_e32 v209, 0
	v_mov_b32_e32 v208, 0
	v_dot4c_i32_i8_e32 v209, v160, v8
	v_dot4c_i32_i8_e32 v208, v186, v12
	s_waitcnt lgkmcnt(0)
	v_bfe_u32 v120, v121, 4, 4
	v_mul_lo_u32 v205, v120, s9
	v_dot4c_i32_i8_e32 v210, v205, v4
	v_lshrrev_b32_sdwa v4, v157, v121 dst_sel:DWORD dst_unused:UNUSED_PAD src0_sel:DWORD src1_sel:BYTE_1
	v_mul_lo_u32 v120, v4, s9
	v_mov_b32_e32 v4, 0
	v_dot4c_i32_i8_e32 v210, v205, v5
	v_dot4c_i32_i8_e32 v4, v205, v12
	v_dot4c_i32_i8_e32 v210, v205, v6
	v_dot4c_i32_i8_e32 v4, v205, v13
	v_dot4c_i32_i8_e32 v210, v205, v7
	v_dot4c_i32_i8_e32 v4, v205, v14
	v_dot4c_i32_i8_e32 v209, v161, v9
	v_dot4c_i32_i8_e32 v210, v120, v0
	v_dot4c_i32_i8_e32 v4, v205, v15
	v_dot4c_i32_i8_e32 v208, v184, v13
	v_dot4c_i32_i8_e32 v209, v162, v10
	v_dot4c_i32_i8_e32 v210, v120, v1
	v_and_b32_e32 v0, 15, v121
	v_and_b32_sdwa v1, v121, v158 dst_sel:DWORD dst_unused:UNUSED_PAD src0_sel:BYTE_1 src1_sel:DWORD
	v_dot4c_i32_i8_e32 v4, v120, v8
	v_dot4c_i32_i8_e32 v208, v187, v14
	;; [unrolled: 1-line block ×3, first 2 shown]
	v_and_b32_e32 v121, 0xffff, v1
	v_and_b32_e32 v192, 0xffff, v0
	v_dot4c_i32_i8_e32 v4, v120, v9
	v_dot4c_i32_i8_e32 v208, v188, v15
	;; [unrolled: 1-line block ×4, first 2 shown]
	v_mul_lo_u32 v0, v206, v192
	v_mul_lo_u32 v2, v209, v121
	v_dot4c_i32_i8_e32 v210, v120, v3
	v_dot4c_i32_i8_e32 v4, v120, v11
	v_mad_u64_u32 v[2:3], s[16:17], v208, v192, v[2:3]
	v_mad_u64_u32 v[0:1], s[16:17], v207, v121, v[0:1]
	v_cvt_f32_i32_e32 v1, v0
	v_cvt_f32_i32_e32 v0, v2
	;; [unrolled: 1-line block ×4, first 2 shown]
	v_mov_b32_e32 v206, 0
	v_mov_b32_e32 v209, 0
	;; [unrolled: 1-line block ×3, first 2 shown]
	v_pk_mul_f32 v[2:3], v[106:107], v[2:3] op_sel_hi:[0,1]
	v_pk_fma_f32 v[0:1], v[104:105], v[0:1], v[2:3] op_sel_hi:[0,1,1] neg_lo:[0,0,1] neg_hi:[0,0,1]
	v_pk_fma_f32 v[62:63], v[122:123], v[0:1], v[62:63]
	ds_read2_b32 v[8:9], v115 offset0:64 offset1:96
	ds_read_b128 v[4:7], v113 offset:2048
	ds_read_b128 v[0:3], v113 offset:2064
	v_mov_b32_e32 v122, 0
	v_mov_b32_e32 v13, 0
	;; [unrolled: 1-line block ×3, first 2 shown]
	s_waitcnt lgkmcnt(1)
	v_dot4c_i32_i8_e32 v122, v193, v4
	v_dot4c_i32_i8_e32 v206, v197, v4
	;; [unrolled: 1-line block ×13, first 2 shown]
	v_mov_b32_e32 v123, 0
	v_dot4c_i32_i8_e32 v206, v197, v7
	v_mov_b32_e32 v207, 0
	v_mov_b32_e32 v208, 0
	v_dot4c_i32_i8_e32 v209, v201, v7
	v_mov_b32_e32 v210, 0
	v_mov_b32_e32 v10, 0
	v_dot4c_i32_i8_e32 v11, v205, v7
	v_dot4c_i32_i8_e32 v13, v171, v4
	s_waitcnt lgkmcnt(0)
	v_dot4c_i32_i8_e32 v14, v164, v0
	v_dot4c_i32_i8_e32 v122, v194, v0
	;; [unrolled: 1-line block ×47, first 2 shown]
	ds_read_b128 v[4:7], v113 offset:3072
	ds_read_b128 v[0:3], v113 offset:3088
	v_mov_b32_e32 v212, 0
	v_mov_b32_e32 v12, 0
	v_mov_b32_e32 v213, 0
	s_waitcnt lgkmcnt(1)
	v_dot4c_i32_i8_e32 v212, v193, v4
	v_dot4c_i32_i8_e32 v212, v193, v5
	;; [unrolled: 1-line block ×6, first 2 shown]
	s_waitcnt lgkmcnt(0)
	v_dot4c_i32_i8_e32 v213, v164, v0
	v_dot4c_i32_i8_e32 v12, v169, v6
	;; [unrolled: 1-line block ×9, first 2 shown]
	v_mul_lo_u32 v12, v12, v196
	v_mul_lo_u32 v14, v14, v195
	v_dot4c_i32_i8_e32 v212, v194, v3
	v_mad_u64_u32 v[14:15], s[16:17], v13, v196, v[14:15]
	v_mad_u64_u32 v[12:13], s[16:17], v213, v195, v[12:13]
	v_cvt_f32_i32_e32 v13, v12
	v_cvt_f32_i32_e32 v12, v14
	;; [unrolled: 1-line block ×4, first 2 shown]
	v_mov_b32_e32 v122, 0
	v_dot4c_i32_i8_e32 v122, v197, v4
	v_dot4c_i32_i8_e32 v122, v197, v5
	v_pk_mul_f32 v[14:15], v[110:111], v[14:15] op_sel_hi:[0,1]
	v_pk_fma_f32 v[12:13], v[108:109], v[12:13], v[14:15] op_sel_hi:[0,1,1] neg_lo:[0,0,1] neg_hi:[0,0,1]
	v_pk_fma_f32 v[44:45], v[8:9], v[12:13], v[44:45]
	v_mov_b32_e32 v12, 0
	v_dot4c_i32_i8_e32 v12, v191, v4
	v_dot4c_i32_i8_e32 v122, v197, v6
	v_mov_b32_e32 v13, 0
	v_dot4c_i32_i8_e32 v12, v185, v5
	v_dot4c_i32_i8_e32 v122, v197, v7
	;; [unrolled: 1-line block ×11, first 2 shown]
	v_mul_lo_u32 v12, v12, v200
	v_mul_lo_u32 v14, v207, v199
	v_dot4c_i32_i8_e32 v122, v198, v3
	v_mad_u64_u32 v[14:15], s[16:17], v123, v200, v[14:15]
	v_mad_u64_u32 v[12:13], s[16:17], v13, v199, v[12:13]
	v_cvt_f32_i32_e32 v13, v12
	v_cvt_f32_i32_e32 v12, v14
	;; [unrolled: 1-line block ×4, first 2 shown]
	v_mov_b32_e32 v122, 0
	v_dot4c_i32_i8_e32 v122, v201, v4
	v_dot4c_i32_i8_e32 v122, v201, v5
	v_pk_mul_f32 v[14:15], v[118:119], v[14:15] op_sel_hi:[0,1]
	v_pk_fma_f32 v[12:13], v[116:117], v[12:13], v[14:15] op_sel_hi:[0,1,1] neg_lo:[0,0,1] neg_hi:[0,0,1]
	v_pk_fma_f32 v[36:37], v[8:9], v[12:13], v[36:37]
	v_mov_b32_e32 v12, 0
	v_dot4c_i32_i8_e32 v12, v179, v4
	v_dot4c_i32_i8_e32 v122, v201, v6
	v_mov_b32_e32 v13, 0
	v_dot4c_i32_i8_e32 v12, v176, v5
	v_dot4c_i32_i8_e32 v122, v201, v7
	;; [unrolled: 1-line block ×11, first 2 shown]
	v_mul_lo_u32 v12, v12, v204
	v_mul_lo_u32 v14, v210, v203
	v_dot4c_i32_i8_e32 v122, v202, v3
	v_mad_u64_u32 v[14:15], s[16:17], v208, v204, v[14:15]
	v_mad_u64_u32 v[12:13], s[16:17], v13, v203, v[12:13]
	v_cvt_f32_i32_e32 v13, v12
	v_cvt_f32_i32_e32 v12, v14
	;; [unrolled: 1-line block ×4, first 2 shown]
	v_mov_b32_e32 v212, 0
	v_mov_b32_e32 v123, 0
	;; [unrolled: 1-line block ×3, first 2 shown]
	v_pk_mul_f32 v[14:15], v[114:115], v[14:15] op_sel_hi:[0,1]
	v_pk_fma_f32 v[12:13], v[112:113], v[12:13], v[14:15] op_sel_hi:[0,1,1] neg_lo:[0,0,1] neg_hi:[0,0,1]
	v_pk_fma_f32 v[34:35], v[8:9], v[12:13], v[34:35]
	v_mov_b32_e32 v13, 0
	v_dot4c_i32_i8_e32 v13, v205, v4
	v_mov_b32_e32 v12, 0
	v_dot4c_i32_i8_e32 v13, v205, v5
	v_dot4c_i32_i8_e32 v12, v186, v4
	;; [unrolled: 1-line block ×3, first 2 shown]
	v_mov_b32_e32 v4, 0
	v_dot4c_i32_i8_e32 v12, v184, v5
	v_dot4c_i32_i8_e32 v13, v205, v7
	;; [unrolled: 1-line block ×11, first 2 shown]
	v_mul_lo_u32 v0, v12, v192
	v_mul_lo_u32 v2, v211, v121
	v_dot4c_i32_i8_e32 v13, v120, v3
	v_mad_u64_u32 v[2:3], s[16:17], v10, v192, v[2:3]
	v_mad_u64_u32 v[0:1], s[16:17], v4, v121, v[0:1]
	v_cvt_f32_i32_e32 v1, v0
	v_cvt_f32_i32_e32 v0, v2
	;; [unrolled: 1-line block ×4, first 2 shown]
	v_mov_b32_e32 v14, 0
	v_mov_b32_e32 v11, 0
	;; [unrolled: 1-line block ×3, first 2 shown]
	v_pk_mul_f32 v[2:3], v[106:107], v[2:3] op_sel_hi:[0,1]
	v_pk_fma_f32 v[0:1], v[104:105], v[0:1], v[2:3] op_sel_hi:[0,1,1] neg_lo:[0,0,1] neg_hi:[0,0,1]
	v_pk_fma_f32 v[32:33], v[8:9], v[0:1], v[32:33]
	ds_read2_b32 v[8:9], v115 offset0:128 offset1:160
	ds_read_b128 v[4:7], v113 offset:4096
	ds_read_b128 v[0:3], v113 offset:4112
	v_mov_b32_e32 v122, 0
	v_mov_b32_e32 v206, 0
	;; [unrolled: 1-line block ×3, first 2 shown]
	s_waitcnt lgkmcnt(1)
	v_dot4c_i32_i8_e32 v212, v193, v4
	v_dot4c_i32_i8_e32 v123, v197, v4
	;; [unrolled: 1-line block ×15, first 2 shown]
	v_mov_b32_e32 v15, 0
	v_mov_b32_e32 v10, 0
	v_dot4c_i32_i8_e32 v11, v205, v7
	v_mov_b32_e32 v12, 0
	v_dot4c_i32_i8_e32 v207, v171, v4
	s_waitcnt lgkmcnt(0)
	v_dot4c_i32_i8_e32 v209, v164, v0
	v_dot4c_i32_i8_e32 v212, v194, v0
	;; [unrolled: 1-line block ×47, first 2 shown]
	ds_read_b128 v[4:7], v113 offset:5120
	ds_read_b128 v[0:3], v113 offset:5136
	v_mov_b32_e32 v213, 0
	v_mov_b32_e32 v208, 0
	v_mul_lo_u32 v210, v209, v195
	s_waitcnt lgkmcnt(1)
	v_dot4c_i32_i8_e32 v213, v193, v4
	v_dot4c_i32_i8_e32 v213, v193, v5
	;; [unrolled: 1-line block ×6, first 2 shown]
	s_waitcnt lgkmcnt(0)
	v_dot4c_i32_i8_e32 v214, v164, v0
	v_dot4c_i32_i8_e32 v208, v169, v6
	;; [unrolled: 1-line block ×9, first 2 shown]
	v_mul_lo_u32 v208, v208, v196
	v_dot4c_i32_i8_e32 v213, v194, v3
	v_mad_u64_u32 v[210:211], s[16:17], v207, v196, v[210:211]
	v_mad_u64_u32 v[208:209], s[16:17], v214, v195, v[208:209]
	v_cvt_f32_i32_e32 v209, v208
	v_cvt_f32_i32_e32 v208, v210
	;; [unrolled: 1-line block ×4, first 2 shown]
	v_mov_b32_e32 v207, 0
	v_dot4c_i32_i8_e32 v207, v191, v4
	v_dot4c_i32_i8_e32 v207, v185, v5
	v_pk_mul_f32 v[210:211], v[110:111], v[210:211] op_sel_hi:[0,1]
	v_pk_fma_f32 v[208:209], v[108:109], v[208:209], v[210:211] op_sel_hi:[0,1,1] neg_lo:[0,0,1] neg_hi:[0,0,1]
	v_mov_b32_e32 v210, 0
	v_dot4c_i32_i8_e32 v210, v197, v4
	v_dot4c_i32_i8_e32 v210, v197, v5
	v_pk_fma_f32 v[30:31], v[8:9], v[208:209], v[30:31]
	v_dot4c_i32_i8_e32 v210, v197, v6
	v_mov_b32_e32 v209, 0
	v_dot4c_i32_i8_e32 v210, v197, v7
	v_dot4c_i32_i8_e32 v209, v180, v0
	;; [unrolled: 1-line block ×10, first 2 shown]
	v_mul_lo_u32 v208, v207, v200
	v_mul_lo_u32 v206, v206, v199
	v_dot4c_i32_i8_e32 v210, v198, v3
	v_mad_u64_u32 v[206:207], s[16:17], v122, v200, v[206:207]
	v_mad_u64_u32 v[208:209], s[16:17], v209, v199, v[208:209]
	v_cvt_f32_i32_e32 v207, v208
	v_cvt_f32_i32_e32 v209, v210
	;; [unrolled: 1-line block ×5, first 2 shown]
	v_mov_b32_e32 v210, 0
	v_pk_mul_f32 v[122:123], v[118:119], v[208:209] op_sel_hi:[0,1]
	v_mov_b32_e32 v208, 0
	v_dot4c_i32_i8_e32 v208, v201, v4
	v_pk_fma_f32 v[122:123], v[116:117], v[206:207], v[122:123] op_sel_hi:[0,1,1] neg_lo:[0,0,1] neg_hi:[0,0,1]
	v_dot4c_i32_i8_e32 v208, v201, v5
	v_pk_fma_f32 v[28:29], v[8:9], v[122:123], v[28:29]
	v_mov_b32_e32 v122, 0
	v_dot4c_i32_i8_e32 v208, v201, v6
	v_dot4c_i32_i8_e32 v122, v179, v4
	;; [unrolled: 1-line block ×3, first 2 shown]
	v_mov_b32_e32 v123, 0
	v_dot4c_i32_i8_e32 v122, v176, v5
	v_dot4c_i32_i8_e32 v123, v172, v0
	v_dot4c_i32_i8_e32 v208, v202, v0
	v_dot4c_i32_i8_e32 v122, v177, v6
	v_dot4c_i32_i8_e32 v123, v173, v1
	v_dot4c_i32_i8_e32 v208, v202, v1
	v_dot4c_i32_i8_e32 v122, v178, v7
	v_dot4c_i32_i8_e32 v123, v174, v2
	v_dot4c_i32_i8_e32 v208, v202, v2
	v_dot4c_i32_i8_e32 v123, v175, v3
	v_dot4c_i32_i8_e32 v208, v202, v3
	v_mul_lo_u32 v122, v122, v204
	v_mul_lo_u32 v206, v15, v203
	v_mad_u64_u32 v[206:207], s[16:17], v13, v204, v[206:207]
	v_mad_u64_u32 v[122:123], s[16:17], v123, v203, v[122:123]
	v_cvt_f32_i32_e32 v15, v208
	v_cvt_f32_i32_e32 v123, v122
	;; [unrolled: 1-line block ×3, first 2 shown]
	v_mov_b32_e32 v13, 0
	v_pk_mul_f32 v[14:15], v[114:115], v[14:15] op_sel_hi:[0,1]
	v_dot4c_i32_i8_e32 v13, v186, v4
	v_pk_fma_f32 v[14:15], v[112:113], v[122:123], v[14:15] op_sel_hi:[0,1,1] neg_lo:[0,0,1] neg_hi:[0,0,1]
	v_pk_fma_f32 v[26:27], v[8:9], v[14:15], v[26:27]
	v_mov_b32_e32 v14, 0
	v_dot4c_i32_i8_e32 v14, v205, v4
	v_dot4c_i32_i8_e32 v14, v205, v5
	;; [unrolled: 1-line block ×3, first 2 shown]
	v_mov_b32_e32 v4, 0
	v_dot4c_i32_i8_e32 v13, v184, v5
	v_dot4c_i32_i8_e32 v14, v205, v7
	;; [unrolled: 1-line block ×11, first 2 shown]
	v_mul_lo_u32 v0, v13, v192
	v_mul_lo_u32 v2, v12, v121
	v_dot4c_i32_i8_e32 v14, v120, v3
	v_mad_u64_u32 v[2:3], s[16:17], v10, v192, v[2:3]
	v_mad_u64_u32 v[0:1], s[16:17], v4, v121, v[0:1]
	v_cvt_f32_i32_e32 v1, v0
	v_cvt_f32_i32_e32 v0, v2
	;; [unrolled: 1-line block ×4, first 2 shown]
	v_mov_b32_e32 v207, 0
	v_mov_b32_e32 v123, 0
	;; [unrolled: 1-line block ×3, first 2 shown]
	v_pk_mul_f32 v[2:3], v[106:107], v[2:3] op_sel_hi:[0,1]
	v_pk_fma_f32 v[0:1], v[104:105], v[0:1], v[2:3] op_sel_hi:[0,1,1] neg_lo:[0,0,1] neg_hi:[0,0,1]
	v_pk_fma_f32 v[24:25], v[8:9], v[0:1], v[24:25]
	ds_read2_b32 v[8:9], v115 offset0:192 offset1:224
	ds_read_b128 v[4:7], v113 offset:6144
	ds_read_b128 v[0:3], v113 offset:6160
	v_mov_b32_e32 v11, 0
	v_mov_b32_e32 v206, 0
	;; [unrolled: 1-line block ×3, first 2 shown]
	s_waitcnt lgkmcnt(1)
	v_dot4c_i32_i8_e32 v207, v193, v4
	v_dot4c_i32_i8_e32 v123, v197, v4
	;; [unrolled: 1-line block ×13, first 2 shown]
	v_mov_b32_e32 v122, 0
	v_dot4c_i32_i8_e32 v123, v197, v7
	v_mov_b32_e32 v209, 0
	v_mov_b32_e32 v13, 0
	v_dot4c_i32_i8_e32 v14, v201, v7
	v_mov_b32_e32 v15, 0
	;; [unrolled: 3-line block ×3, first 2 shown]
	v_dot4c_i32_i8_e32 v206, v171, v4
	s_waitcnt lgkmcnt(0)
	v_dot4c_i32_i8_e32 v208, v164, v0
	v_dot4c_i32_i8_e32 v207, v194, v0
	;; [unrolled: 1-line block ×47, first 2 shown]
	ds_read_b128 v[4:7], v113 offset:7168
	ds_read_b128 v[0:3], v113 offset:7184
	v_cvt_f32_i32_e32 v14, v14
	s_waitcnt lgkmcnt(1)
	v_dot4c_i32_i8_e32 v210, v171, v4
	v_mov_b32_e32 v171, 0
	v_dot4c_i32_i8_e32 v171, v193, v4
	v_dot4c_i32_i8_e32 v171, v193, v5
	;; [unrolled: 1-line block ×4, first 2 shown]
	v_mov_b32_e32 v168, 0
	v_dot4c_i32_i8_e32 v171, v193, v7
	s_waitcnt lgkmcnt(0)
	v_dot4c_i32_i8_e32 v168, v164, v0
	v_dot4c_i32_i8_e32 v210, v169, v6
	;; [unrolled: 1-line block ×9, first 2 shown]
	v_mul_lo_u32 v164, v210, v196
	v_mul_lo_u32 v166, v208, v195
	v_dot4c_i32_i8_e32 v171, v194, v3
	v_mad_u64_u32 v[166:167], s[16:17], v206, v196, v[166:167]
	v_mad_u64_u32 v[164:165], s[16:17], v168, v195, v[164:165]
	v_cvt_f32_i32_e32 v165, v164
	v_cvt_f32_i32_e32 v164, v166
	;; [unrolled: 1-line block ×4, first 2 shown]
	v_mov_b32_e32 v168, 0
	v_dot4c_i32_i8_e32 v168, v197, v4
	v_dot4c_i32_i8_e32 v168, v197, v5
	v_pk_mul_f32 v[166:167], v[110:111], v[166:167] op_sel_hi:[0,1]
	v_pk_fma_f32 v[164:165], v[108:109], v[164:165], v[166:167] op_sel_hi:[0,1,1] neg_lo:[0,0,1] neg_hi:[0,0,1]
	v_mov_b32_e32 v108, 0
	v_dot4c_i32_i8_e32 v108, v191, v4
	v_dot4c_i32_i8_e32 v168, v197, v6
	v_mov_b32_e32 v166, 0
	v_dot4c_i32_i8_e32 v108, v185, v5
	v_dot4c_i32_i8_e32 v168, v197, v7
	;; [unrolled: 1-line block ×11, first 2 shown]
	v_mul_lo_u32 v108, v108, v200
	v_mul_lo_u32 v110, v209, v199
	v_pk_fma_f32 v[22:23], v[8:9], v[164:165], v[22:23]
	v_dot4c_i32_i8_e32 v168, v198, v3
	v_mad_u64_u32 v[164:165], s[16:17], v122, v200, v[110:111]
	v_mad_u64_u32 v[166:167], s[16:17], v166, v199, v[108:109]
	v_cvt_f32_i32_e32 v165, v166
	v_cvt_f32_i32_e32 v167, v168
	;; [unrolled: 1-line block ×4, first 2 shown]
	v_mov_b32_e32 v108, 0
	v_dot4c_i32_i8_e32 v108, v179, v4
	v_pk_mul_f32 v[122:123], v[118:119], v[166:167] op_sel_hi:[0,1]
	v_pk_fma_f32 v[122:123], v[116:117], v[164:165], v[122:123] op_sel_hi:[0,1,1] neg_lo:[0,0,1] neg_hi:[0,0,1]
	v_mov_b32_e32 v116, 0
	v_dot4c_i32_i8_e32 v116, v201, v4
	v_dot4c_i32_i8_e32 v116, v201, v5
	;; [unrolled: 1-line block ×4, first 2 shown]
	v_mov_b32_e32 v118, 0
	v_dot4c_i32_i8_e32 v108, v176, v5
	v_dot4c_i32_i8_e32 v118, v172, v0
	;; [unrolled: 1-line block ×11, first 2 shown]
	v_mul_lo_u32 v108, v108, v204
	v_mul_lo_u32 v110, v15, v203
	v_pk_fma_f32 v[20:21], v[8:9], v[122:123], v[20:21]
	v_mad_u64_u32 v[122:123], s[16:17], v13, v204, v[110:111]
	v_mad_u64_u32 v[164:165], s[16:17], v118, v203, v[108:109]
	v_cvt_f32_i32_e32 v15, v116
	v_cvt_f32_i32_e32 v123, v164
	;; [unrolled: 1-line block ×3, first 2 shown]
	v_mov_b32_e32 v13, 0
	v_pk_mul_f32 v[14:15], v[114:115], v[14:15] op_sel_hi:[0,1]
	v_dot4c_i32_i8_e32 v13, v205, v4
	v_pk_fma_f32 v[14:15], v[112:113], v[122:123], v[14:15] op_sel_hi:[0,1,1] neg_lo:[0,0,1] neg_hi:[0,0,1]
	v_pk_fma_f32 v[18:19], v[8:9], v[14:15], v[18:19]
	v_mov_b32_e32 v14, 0
	v_dot4c_i32_i8_e32 v13, v205, v5
	v_dot4c_i32_i8_e32 v14, v186, v4
	;; [unrolled: 1-line block ×3, first 2 shown]
	v_mov_b32_e32 v4, 0
	v_dot4c_i32_i8_e32 v14, v184, v5
	v_dot4c_i32_i8_e32 v13, v205, v7
	;; [unrolled: 1-line block ×11, first 2 shown]
	v_mul_lo_u32 v0, v14, v192
	v_mul_lo_u32 v2, v12, v121
	v_dot4c_i32_i8_e32 v13, v120, v3
	v_mad_u64_u32 v[2:3], s[16:17], v10, v192, v[2:3]
	v_mad_u64_u32 v[0:1], s[16:17], v4, v121, v[0:1]
	v_cvt_f32_i32_e32 v1, v0
	v_cvt_f32_i32_e32 v0, v2
	;; [unrolled: 1-line block ×4, first 2 shown]
	s_add_i32 s16, s15, 2
	v_add_u32_e32 v115, 4, v115
	v_add_u32_e32 v113, 32, v113
	v_pk_mul_f32 v[2:3], v[106:107], v[2:3] op_sel_hi:[0,1]
	v_pk_fma_f32 v[0:1], v[104:105], v[0:1], v[2:3] op_sel_hi:[0,1,1] neg_lo:[0,0,1] neg_hi:[0,0,1]
	v_pk_fma_f32 v[16:17], v[8:9], v[0:1], v[16:17]
	s_cmp_lt_u32 s15, 6
	s_mov_b32 s15, s16
	s_cbranch_scc1 .LBB127_7
; %bb.8:                                ;   in Loop: Header=BB127_6 Depth=1
	v_add_u32_e32 v14, s14, v119
	v_add_u32_e32 v0, v14, v99
	;; [unrolled: 1-line block ×6, first 2 shown]
	v_mad_i64_i32 v[0:1], s[16:17], v0, 36, v[70:71]
	v_mad_i64_i32 v[2:3], s[16:17], v2, 36, v[70:71]
	;; [unrolled: 1-line block ×4, first 2 shown]
	v_add_u32_e32 v8, v14, v107
	v_add_u32_e32 v10, v14, v109
	;; [unrolled: 1-line block ×4, first 2 shown]
	v_mad_u64_u32 v[112:113], s[16:17], v104, 36, s[2:3]
	s_barrier
	v_mad_i64_i32 v[8:9], s[16:17], v8, 36, v[70:71]
	v_mad_i64_i32 v[10:11], s[16:17], v10, 36, v[70:71]
	;; [unrolled: 1-line block ×4, first 2 shown]
	global_load_dword v104, v[112:113], off
	s_nop 0
	global_load_dword v0, v[0:1], off offset:4
	s_nop 0
	global_load_dword v1, v[2:3], off offset:4
	s_nop 0
	global_load_dword v2, v[4:5], off offset:4
	global_load_dword v3, v[6:7], off offset:4
	s_nop 0
	global_load_dword v4, v[8:9], off offset:4
	global_load_dword v5, v[10:11], off offset:4
	;; [unrolled: 1-line block ×4, first 2 shown]
	s_mov_b32 s15, 8
	v_mov_b32_e32 v113, v128
	v_mov_b32_e32 v115, v127
	s_waitcnt vmcnt(8)
	v_cvt_f32_f16_e32 v8, v104
	s_waitcnt vmcnt(7)
	ds_write_b32 v141, v0
	s_waitcnt vmcnt(6)
	ds_write_b32 v142, v1
	;; [unrolled: 2-line block ×8, first 2 shown]
	ds_write_b32 v67, v8
	s_waitcnt lgkmcnt(0)
	s_barrier
.LBB127_9:                              ;   Parent Loop BB127_6 Depth=1
                                        ; =>  This Inner Loop Header: Depth=2
	s_and_b32 s18, s15, 0x3ffffff8
	v_lshl_add_u32 v10, s18, 2, v126
	ds_read2_b32 v[120:121], v115 offset1:32
	ds_read_b128 v[4:7], v113
	ds_read_b128 v[0:3], v113 offset:16
	ds_read2_b32 v[8:9], v10 offset1:1
	s_add_i32 s16, s15, -8
	s_lshr_b32 s18, s15, 2
	s_and_b32 s18, s18, 0x3ffffffc
	s_addk_i32 s18, 0x7280
	s_waitcnt lgkmcnt(0)
	v_ashrrev_i32_e32 v8, s16, v8
	v_and_b32_e32 v175, 0x3030303, v8
	v_ashrrev_i32_e32 v8, s16, v9
	v_and_b32_e32 v172, 0x3030303, v8
	ds_read2_b32 v[8:9], v10 offset0:2 offset1:3
	s_and_b32 s17, s15, -16
	s_add_i32 s17, s15, s17
	v_add_u32_e32 v123, s17, v129
	v_mov_b32_e32 v205, 0
	s_waitcnt lgkmcnt(0)
	v_ashrrev_i32_e32 v8, s16, v8
	v_and_b32_e32 v173, 0x3030303, v8
	v_ashrrev_i32_e32 v8, s16, v9
	v_and_b32_e32 v174, 0x3030303, v8
	ds_read2_b32 v[8:9], v10 offset0:4 offset1:5
	v_mov_b32_e32 v209, 0
	v_mov_b32_e32 v198, 0
	;; [unrolled: 1-line block ×4, first 2 shown]
	s_waitcnt lgkmcnt(0)
	v_ashrrev_i32_e32 v8, s16, v8
	v_and_b32_e32 v164, 0x3030303, v8
	v_ashrrev_i32_e32 v8, s16, v9
	v_and_b32_e32 v165, 0x3030303, v8
	ds_read2_b32 v[8:9], v10 offset0:6 offset1:7
	v_dot4c_i32_i8_e32 v198, v164, v0
	v_dot4c_i32_i8_e32 v122, v175, v4
	;; [unrolled: 1-line block ×4, first 2 shown]
	s_waitcnt lgkmcnt(0)
	v_ashrrev_i32_e32 v8, s16, v8
	v_and_b32_e32 v166, 0x3030303, v8
	v_ashrrev_i32_e32 v8, s16, v9
	v_and_b32_e32 v167, 0x3030303, v8
	v_add3_u32 v8, s18, v149, v150
	ds_read_b32 v8, v8
	v_dot4c_i32_i8_e32 v198, v166, v2
	v_dot4c_i32_i8_e32 v122, v173, v6
	;; [unrolled: 1-line block ×4, first 2 shown]
	s_waitcnt lgkmcnt(0)
	v_cvt_f32_f16_e32 v108, v8
	v_cvt_f32_f16_sdwa v110, v8 dst_sel:DWORD dst_unused:UNUSED_PAD src0_sel:WORD_1
	v_add_u32_e32 v8, 0x1080, v10
	ds_read2_b32 v[8:9], v8 offset1:1
	v_add_u32_e32 v199, s17, v135
                                        ; kill: def $vgpr201 killed $sgpr0 killed $exec
	v_add_u32_e32 v197, s17, v131
	v_add_u32_e32 v203, s17, v133
	v_mov_b32_e32 v204, 0
	s_waitcnt lgkmcnt(0)
	v_ashrrev_i32_e32 v8, s16, v8
	v_and_b32_e32 v183, 0x3030303, v8
	v_ashrrev_i32_e32 v8, s16, v9
	v_and_b32_e32 v176, 0x3030303, v8
	v_add_u32_e32 v8, 0x1088, v10
	ds_read2_b32 v[8:9], v8 offset1:1
	v_mov_b32_e32 v210, 0
	v_mov_b32_e32 v202, 0
	v_dot4c_i32_i8_e32 v202, v183, v4
	v_dot4c_i32_i8_e32 v202, v176, v5
	s_waitcnt lgkmcnt(0)
	v_ashrrev_i32_e32 v8, s16, v8
	v_and_b32_e32 v179, 0x3030303, v8
	v_ashrrev_i32_e32 v8, s16, v9
	v_and_b32_e32 v180, 0x3030303, v8
	v_add_u32_e32 v8, 0x1090, v10
	ds_read2_b32 v[8:9], v8 offset1:1
	v_dot4c_i32_i8_e32 v202, v179, v6
	v_dot4c_i32_i8_e32 v202, v180, v7
	v_mov_b32_e32 v206, 0
	v_mov_b32_e32 v212, 0
	s_waitcnt lgkmcnt(0)
	v_ashrrev_i32_e32 v8, s16, v8
	v_and_b32_e32 v168, 0x3030303, v8
	v_ashrrev_i32_e32 v8, s16, v9
	v_and_b32_e32 v169, 0x3030303, v8
	v_add_u32_e32 v8, 0x1098, v10
	ds_read2_b32 v[8:9], v8 offset1:1
	v_dot4c_i32_i8_e32 v204, v168, v0
	v_dot4c_i32_i8_e32 v204, v169, v1
	v_mov_b32_e32 v207, 0
	v_mov_b32_e32 v196, 0
	s_waitcnt lgkmcnt(0)
	v_ashrrev_i32_e32 v8, s16, v8
	v_and_b32_e32 v170, 0x3030303, v8
	v_ashrrev_i32_e32 v8, s16, v9
	v_and_b32_e32 v171, 0x3030303, v8
	v_add3_u32 v8, s18, v151, v152
	ds_read_b32 v8, v8
	v_dot4c_i32_i8_e32 v204, v170, v2
	v_dot4c_i32_i8_e32 v204, v171, v3
	v_mov_b32_e32 v208, 0
	v_mov_b32_e32 v213, 0
	s_waitcnt lgkmcnt(0)
	v_cvt_f32_f16_e32 v112, v8
	v_cvt_f32_f16_sdwa v114, v8 dst_sel:DWORD dst_unused:UNUSED_PAD src0_sel:WORD_1
	v_add_u32_e32 v8, 0x2100, v10
	ds_read2_b32 v[8:9], v8 offset1:1
	v_mov_b32_e32 v214, 0
	s_waitcnt lgkmcnt(0)
	v_ashrrev_i32_e32 v8, s16, v8
	v_and_b32_e32 v187, 0x3030303, v8
	v_ashrrev_i32_e32 v8, s16, v9
	v_and_b32_e32 v184, 0x3030303, v8
	v_add_u32_e32 v8, 0x2108, v10
	ds_read2_b32 v[8:9], v8 offset1:1
	v_dot4c_i32_i8_e32 v196, v187, v4
	v_dot4c_i32_i8_e32 v196, v184, v5
	s_waitcnt lgkmcnt(0)
	v_ashrrev_i32_e32 v8, s16, v8
	v_and_b32_e32 v185, 0x3030303, v8
	v_ashrrev_i32_e32 v8, s16, v9
	v_and_b32_e32 v186, 0x3030303, v8
	v_add_u32_e32 v8, 0x2110, v10
	ds_read2_b32 v[8:9], v8 offset1:1
	v_dot4c_i32_i8_e32 v196, v185, v6
	v_dot4c_i32_i8_e32 v196, v186, v7
	;; [unrolled: 9-line block ×3, first 2 shown]
	s_waitcnt lgkmcnt(0)
	v_ashrrev_i32_e32 v8, s16, v8
	v_and_b32_e32 v181, 0x3030303, v8
	v_ashrrev_i32_e32 v8, s16, v9
	v_and_b32_e32 v182, 0x3030303, v8
	v_add3_u32 v8, s18, v153, v154
	ds_read_b32 v8, v8
	v_dot4c_i32_i8_e32 v206, v181, v2
	v_dot4c_i32_i8_e32 v206, v182, v3
	s_waitcnt lgkmcnt(0)
	v_cvt_f32_f16_e32 v116, v8
	v_cvt_f32_f16_sdwa v118, v8 dst_sel:DWORD dst_unused:UNUSED_PAD src0_sel:WORD_1
	v_add_u32_e32 v8, 0x3180, v10
	ds_read2_b32 v[8:9], v8 offset1:1
	s_waitcnt lgkmcnt(0)
	v_ashrrev_i32_e32 v8, s16, v8
	v_and_b32_e32 v191, 0x3030303, v8
	v_ashrrev_i32_e32 v8, s16, v9
	v_and_b32_e32 v188, 0x3030303, v8
	v_add_u32_e32 v8, 0x3188, v10
	ds_read2_b32 v[8:9], v8 offset1:1
	v_dot4c_i32_i8_e32 v207, v191, v4
	v_dot4c_i32_i8_e32 v207, v188, v5
	s_waitcnt lgkmcnt(0)
	v_ashrrev_i32_e32 v8, s16, v8
	v_and_b32_e32 v189, 0x3030303, v8
	v_ashrrev_i32_e32 v8, s16, v9
	v_and_b32_e32 v190, 0x3030303, v8
	v_add_u32_e32 v8, 0x3190, v10
	ds_read2_b32 v[8:9], v8 offset1:1
	v_dot4c_i32_i8_e32 v207, v189, v6
	v_dot4c_i32_i8_e32 v207, v190, v7
	;; [unrolled: 9-line block ×3, first 2 shown]
	s_waitcnt lgkmcnt(0)
	v_ashrrev_i32_e32 v8, s16, v8
	v_and_b32_e32 v162, 0x3030303, v8
	v_ashrrev_i32_e32 v8, s16, v9
	v_and_b32_e32 v163, 0x3030303, v8
	v_add3_u32 v8, s18, v155, v156
	ds_read_b32 v8, v8
	v_dot4c_i32_i8_e32 v208, v162, v2
	v_dot4c_i32_i8_e32 v208, v163, v3
	s_waitcnt lgkmcnt(0)
	v_cvt_f32_f16_e32 v104, v8
	v_cvt_f32_f16_sdwa v106, v8 dst_sel:DWORD dst_unused:UNUSED_PAD src0_sel:WORD_1
	ds_read_b128 v[12:15], v113 offset:1024
	ds_read_b128 v[8:11], v113 offset:1040
	ds_read_u16 v123, v123 offset:25088
	s_waitcnt lgkmcnt(2)
	v_dot4c_i32_i8_e32 v200, v175, v12
	v_dot4c_i32_i8_e32 v200, v172, v13
	s_waitcnt lgkmcnt(0)
	v_bfe_u32 v192, v123, 4, 4
	v_mul_lo_u32 v195, v192, s9
	v_dot4c_i32_i8_e32 v205, v195, v4
	v_dot4c_i32_i8_e32 v209, v195, v12
	;; [unrolled: 1-line block ×3, first 2 shown]
	v_and_b32_sdwa v192, v123, v158 dst_sel:DWORD dst_unused:UNUSED_PAD src0_sel:BYTE_1 src1_sel:DWORD
	v_and_b32_e32 v193, 15, v123
	v_lshrrev_b32_sdwa v123, v157, v123 dst_sel:DWORD dst_unused:UNUSED_PAD src0_sel:DWORD src1_sel:BYTE_1
	v_dot4c_i32_i8_e32 v209, v195, v13
	v_dot4c_i32_i8_e32 v205, v195, v6
	v_mul_lo_u32 v194, v123, s9
	v_dot4c_i32_i8_e32 v209, v195, v14
	v_mov_b32_e32 v123, 0
	v_dot4c_i32_i8_e32 v205, v195, v7
	v_dot4c_i32_i8_e32 v209, v195, v15
	;; [unrolled: 1-line block ×8, first 2 shown]
	v_and_b32_e32 v193, 0xffff, v193
	v_and_b32_e32 v192, 0xffff, v192
	v_dot4c_i32_i8_e32 v205, v194, v1
	v_dot4c_i32_i8_e32 v209, v194, v9
	;; [unrolled: 1-line block ×4, first 2 shown]
	v_mul_lo_u32 v198, v198, v192
	v_mul_lo_u32 v200, v200, v193
	v_dot4c_i32_i8_e32 v209, v194, v10
	v_dot4c_i32_i8_e32 v123, v167, v11
	v_dot4c_i32_i8_e32 v205, v194, v3
	v_dot4c_i32_i8_e32 v209, v194, v11
	s_nop 0
	v_mad_u64_u32 v[200:201], s[16:17], v123, v192, v[200:201]
	v_mad_u64_u32 v[122:123], s[16:17], v193, v122, v[198:199]
	v_cvt_f32_i32_e32 v123, v122
	v_cvt_f32_i32_e32 v122, v200
	;; [unrolled: 1-line block ×4, first 2 shown]
	ds_read_u16 v199, v199 offset:28160
	v_mov_b32_e32 v209, 0
                                        ; kill: def $vgpr205 killed $sgpr0 killed $exec
	v_pk_mul_f32 v[200:201], v[110:111], v[200:201] op_sel_hi:[0,1]
	v_pk_fma_f32 v[200:201], v[108:109], v[122:123], v[200:201] op_sel_hi:[0,1,1] neg_lo:[0,0,1] neg_hi:[0,0,1]
	v_mov_b32_e32 v123, v120
	ds_read_u16 v120, v197 offset:26112
	v_mov_b32_e32 v122, v121
	v_mov_b32_e32 v121, 0
	v_dot4c_i32_i8_e32 v121, v183, v12
	v_dot4c_i32_i8_e32 v121, v176, v13
	s_waitcnt lgkmcnt(0)
	v_bfe_u32 v197, v120, 4, 4
	v_pk_fma_f32 v[54:55], v[122:123], v[200:201], v[54:55]
	v_dot4c_i32_i8_e32 v121, v179, v14
	v_mul_lo_u32 v201, v197, s9
	v_and_b32_sdwa v197, v120, v158 dst_sel:DWORD dst_unused:UNUSED_PAD src0_sel:BYTE_1 src1_sel:DWORD
	v_and_b32_e32 v198, 15, v120
	v_dot4c_i32_i8_e32 v121, v180, v15
	v_dot4c_i32_i8_e32 v209, v201, v4
	v_and_b32_e32 v198, 0xffff, v198
	v_and_b32_e32 v197, 0xffff, v197
	v_lshrrev_b32_sdwa v120, v157, v120 dst_sel:DWORD dst_unused:UNUSED_PAD src0_sel:DWORD src1_sel:BYTE_1
	v_dot4c_i32_i8_e32 v210, v201, v12
	v_dot4c_i32_i8_e32 v209, v201, v5
	v_mul_lo_u32 v200, v120, s9
	v_dot4c_i32_i8_e32 v210, v201, v13
	v_mul_lo_u32 v120, v204, v197
	v_mul_lo_u32 v204, v121, v198
	v_mov_b32_e32 v121, 0
	v_dot4c_i32_i8_e32 v209, v201, v6
	v_dot4c_i32_i8_e32 v210, v201, v14
	;; [unrolled: 1-line block ×15, first 2 shown]
	v_mad_u64_u32 v[204:205], s[16:17], v121, v197, v[204:205]
                                        ; kill: def $vgpr121 killed $sgpr0 killed $exec
	v_dot4c_i32_i8_e32 v210, v200, v11
	v_mad_u64_u32 v[120:121], s[16:17], v198, v202, v[120:121]
	v_cvt_f32_i32_e32 v121, v120
	v_cvt_f32_i32_e32 v120, v204
	v_cvt_f32_i32_e32 v205, v209
	v_cvt_f32_i32_e32 v204, v210
	v_mov_b32_e32 v209, 0
	v_pk_mul_f32 v[204:205], v[114:115], v[204:205] op_sel_hi:[0,1]
	v_pk_fma_f32 v[120:121], v[112:113], v[120:121], v[204:205] op_sel_hi:[0,1,1] neg_lo:[0,0,1] neg_hi:[0,0,1]
	v_pk_fma_f32 v[68:69], v[122:123], v[120:121], v[68:69]
	ds_read_u16 v120, v203 offset:27136
	v_mov_b32_e32 v121, 0
	v_dot4c_i32_i8_e32 v121, v187, v12
	v_dot4c_i32_i8_e32 v121, v184, v13
	;; [unrolled: 1-line block ×3, first 2 shown]
	s_waitcnt lgkmcnt(0)
	v_bfe_u32 v202, v120, 4, 4
	v_mul_lo_u32 v205, v202, s9
	v_and_b32_sdwa v202, v120, v158 dst_sel:DWORD dst_unused:UNUSED_PAD src0_sel:BYTE_1 src1_sel:DWORD
	v_and_b32_e32 v203, 15, v120
	v_dot4c_i32_i8_e32 v121, v186, v15
	v_dot4c_i32_i8_e32 v209, v205, v4
	v_and_b32_e32 v203, 0xffff, v203
	v_and_b32_e32 v202, 0xffff, v202
	v_lshrrev_b32_sdwa v120, v157, v120 dst_sel:DWORD dst_unused:UNUSED_PAD src0_sel:DWORD src1_sel:BYTE_1
	v_dot4c_i32_i8_e32 v212, v205, v12
	v_dot4c_i32_i8_e32 v209, v205, v5
	v_mul_lo_u32 v204, v120, s9
	v_dot4c_i32_i8_e32 v212, v205, v13
	v_mul_lo_u32 v120, v206, v202
	v_mul_lo_u32 v206, v121, v203
	v_mov_b32_e32 v121, 0
	v_dot4c_i32_i8_e32 v209, v205, v6
	v_dot4c_i32_i8_e32 v212, v205, v14
	;; [unrolled: 1-line block ×15, first 2 shown]
	v_mad_u64_u32 v[210:211], s[16:17], v121, v202, v[206:207]
                                        ; kill: def $vgpr121 killed $sgpr0 killed $exec
	v_dot4c_i32_i8_e32 v212, v204, v11
	v_mad_u64_u32 v[120:121], s[16:17], v203, v196, v[120:121]
	v_cvt_f32_i32_e32 v121, v120
	v_cvt_f32_i32_e32 v120, v210
	;; [unrolled: 1-line block ×4, first 2 shown]
	v_mov_b32_e32 v209, 0
	v_mov_b32_e32 v212, 0
	v_pk_mul_f32 v[210:211], v[118:119], v[210:211] op_sel_hi:[0,1]
	v_pk_fma_f32 v[120:121], v[116:117], v[120:121], v[210:211] op_sel_hi:[0,1,1] neg_lo:[0,0,1] neg_hi:[0,0,1]
	v_pk_fma_f32 v[64:65], v[122:123], v[120:121], v[64:65]
	v_bfe_u32 v121, v199, 4, 4
	v_mul_lo_u32 v206, v121, s9
	v_dot4c_i32_i8_e32 v209, v206, v4
	v_dot4c_i32_i8_e32 v209, v206, v5
	v_and_b32_sdwa v4, v199, v158 dst_sel:DWORD dst_unused:UNUSED_PAD src0_sel:BYTE_1 src1_sel:DWORD
	v_dot4c_i32_i8_e32 v209, v206, v6
	v_and_b32_e32 v121, 0xffff, v4
	v_lshrrev_b32_sdwa v4, v157, v199 dst_sel:DWORD dst_unused:UNUSED_PAD src0_sel:DWORD src1_sel:BYTE_1
	v_dot4c_i32_i8_e32 v209, v206, v7
	v_and_b32_e32 v5, 15, v199
	v_mul_lo_u32 v199, v4, s9
	v_mov_b32_e32 v4, 0
	v_mov_b32_e32 v120, 0
	v_dot4c_i32_i8_e32 v209, v199, v0
	v_dot4c_i32_i8_e32 v4, v206, v12
	;; [unrolled: 1-line block ×5, first 2 shown]
	v_mov_b32_e32 v1, 0
	v_dot4c_i32_i8_e32 v120, v188, v13
	v_dot4c_i32_i8_e32 v4, v206, v14
	;; [unrolled: 1-line block ×7, first 2 shown]
	v_and_b32_e32 v196, 0xffff, v5
	v_dot4c_i32_i8_e32 v209, v199, v2
	v_dot4c_i32_i8_e32 v4, v199, v8
	v_dot4c_i32_i8_e32 v1, v162, v10
	v_dot4c_i32_i8_e32 v209, v199, v3
	v_mul_lo_u32 v2, v120, v196
	v_dot4c_i32_i8_e32 v4, v199, v9
	v_dot4c_i32_i8_e32 v1, v163, v11
                                        ; kill: def $vgpr3 killed $sgpr0 killed $exec
	v_mul_lo_u32 v0, v208, v121
	v_dot4c_i32_i8_e32 v4, v199, v10
	v_dot4c_i32_i8_e32 v4, v199, v11
	v_mad_u64_u32 v[2:3], s[16:17], v1, v121, v[2:3]
                                        ; kill: def $vgpr1 killed $sgpr0 killed $exec
	v_cvt_f32_i32_e32 v3, v209
	v_mad_u64_u32 v[0:1], s[16:17], v196, v207, v[0:1]
	v_cvt_f32_i32_e32 v1, v0
	v_cvt_f32_i32_e32 v0, v2
	v_cvt_f32_i32_e32 v2, v4
	v_mov_b32_e32 v10, 0
	v_mov_b32_e32 v207, 0
	;; [unrolled: 1-line block ×3, first 2 shown]
	v_pk_mul_f32 v[2:3], v[106:107], v[2:3] op_sel_hi:[0,1]
	v_pk_fma_f32 v[0:1], v[104:105], v[0:1], v[2:3] op_sel_hi:[0,1,1] neg_lo:[0,0,1] neg_hi:[0,0,1]
	v_pk_fma_f32 v[62:63], v[122:123], v[0:1], v[62:63]
	ds_read2_b32 v[8:9], v115 offset0:64 offset1:96
	ds_read_b128 v[4:7], v113 offset:2048
	ds_read_b128 v[0:3], v113 offset:2064
	v_mov_b32_e32 v11, 0
	v_mov_b32_e32 v123, 0
	;; [unrolled: 1-line block ×3, first 2 shown]
	s_waitcnt lgkmcnt(1)
	v_dot4c_i32_i8_e32 v207, v195, v4
	s_waitcnt lgkmcnt(0)
	v_dot4c_i32_i8_e32 v10, v164, v0
	v_dot4c_i32_i8_e32 v10, v165, v1
	;; [unrolled: 1-line block ×7, first 2 shown]
	v_mul_lo_u32 v120, v10, v192
	v_mov_b32_e32 v10, 0
	v_dot4c_i32_i8_e32 v10, v168, v0
	v_dot4c_i32_i8_e32 v10, v169, v1
	;; [unrolled: 1-line block ×7, first 2 shown]
	v_mov_b32_e32 v13, 0
	v_dot4c_i32_i8_e32 v11, v206, v5
	v_dot4c_i32_i8_e32 v123, v175, v4
	;; [unrolled: 1-line block ×5, first 2 shown]
	v_mul_lo_u32 v14, v10, v197
	v_dot4c_i32_i8_e32 v122, v187, v4
	v_dot4c_i32_i8_e32 v15, v205, v6
	v_mov_b32_e32 v10, 0
	v_dot4c_i32_i8_e32 v13, v191, v4
	v_dot4c_i32_i8_e32 v11, v206, v6
	v_mov_b32_e32 v4, 0
	v_dot4c_i32_i8_e32 v207, v195, v7
	v_dot4c_i32_i8_e32 v213, v201, v7
	;; [unrolled: 1-line block ×38, first 2 shown]
	v_mul_lo_u32 v12, v10, v202
	v_dot4c_i32_i8_e32 v13, v190, v7
	v_dot4c_i32_i8_e32 v11, v199, v3
	v_mul_lo_u32 v10, v4, v121
	ds_read_b128 v[4:7], v113 offset:3072
	ds_read_b128 v[0:3], v113 offset:3088
	v_mov_b32_e32 v208, 0
	v_mov_b32_e32 v209, 0
	v_mad_u64_u32 v[210:211], s[16:17], v123, v193, v[120:121]
	s_waitcnt lgkmcnt(1)
	v_dot4c_i32_i8_e32 v214, v195, v4
	v_dot4c_i32_i8_e32 v214, v195, v5
	;; [unrolled: 1-line block ×6, first 2 shown]
	s_waitcnt lgkmcnt(0)
	v_dot4c_i32_i8_e32 v209, v164, v0
	v_dot4c_i32_i8_e32 v208, v173, v6
	;; [unrolled: 1-line block ×8, first 2 shown]
	v_mul_lo_u32 v208, v208, v193
	v_dot4c_i32_i8_e32 v209, v167, v3
	v_mov_b32_e32 v123, 0
	v_dot4c_i32_i8_e32 v214, v194, v3
	v_mov_b32_e32 v120, 0
	v_mad_u64_u32 v[208:209], s[16:17], v209, v192, v[208:209]
	v_dot4c_i32_i8_e32 v123, v201, v4
	v_cvt_f32_i32_e32 v209, v208
	v_cvt_f32_i32_e32 v208, v210
	v_cvt_f32_i32_e32 v211, v214
	v_cvt_f32_i32_e32 v210, v207
	v_dot4c_i32_i8_e32 v120, v183, v4
	v_dot4c_i32_i8_e32 v123, v201, v5
	v_mov_b32_e32 v207, 0
	v_dot4c_i32_i8_e32 v120, v176, v5
	v_dot4c_i32_i8_e32 v123, v201, v6
	;; [unrolled: 1-line block ×9, first 2 shown]
	v_pk_mul_f32 v[210:211], v[110:111], v[210:211] op_sel_hi:[0,1]
	v_mul_lo_u32 v120, v120, v198
	v_dot4c_i32_i8_e32 v123, v200, v1
	v_dot4c_i32_i8_e32 v207, v171, v3
	v_pk_fma_f32 v[208:209], v[108:109], v[208:209], v[210:211] op_sel_hi:[0,1,1] neg_lo:[0,0,1] neg_hi:[0,0,1]
	v_dot4c_i32_i8_e32 v123, v200, v2
	v_pk_fma_f32 v[44:45], v[8:9], v[208:209], v[44:45]
	v_mad_u64_u32 v[210:211], s[16:17], v207, v197, v[120:121]
	v_mov_b32_e32 v120, 0
	v_dot4c_i32_i8_e32 v123, v200, v3
	v_mad_u64_u32 v[208:209], s[16:17], v212, v198, v[14:15]
	v_dot4c_i32_i8_e32 v120, v205, v4
	v_cvt_f32_i32_e32 v209, v210
	v_cvt_f32_i32_e32 v211, v123
	;; [unrolled: 1-line block ×3, first 2 shown]
	v_mov_b32_e32 v14, 0
	v_dot4c_i32_i8_e32 v120, v205, v5
	v_cvt_f32_i32_e32 v208, v208
	v_dot4c_i32_i8_e32 v14, v187, v4
	v_dot4c_i32_i8_e32 v120, v205, v6
	v_mov_b32_e32 v207, 0
	v_dot4c_i32_i8_e32 v14, v184, v5
	v_dot4c_i32_i8_e32 v120, v205, v7
	;; [unrolled: 1-line block ×6, first 2 shown]
	v_pk_mul_f32 v[210:211], v[114:115], v[210:211] op_sel_hi:[0,1]
	v_dot4c_i32_i8_e32 v14, v186, v7
	v_dot4c_i32_i8_e32 v120, v204, v1
	;; [unrolled: 1-line block ×3, first 2 shown]
	v_pk_fma_f32 v[208:209], v[112:113], v[208:209], v[210:211] op_sel_hi:[0,1,1] neg_lo:[0,0,1] neg_hi:[0,0,1]
	v_mul_lo_u32 v14, v14, v203
	v_dot4c_i32_i8_e32 v120, v204, v2
	v_dot4c_i32_i8_e32 v207, v182, v3
	v_pk_fma_f32 v[36:37], v[8:9], v[208:209], v[36:37]
	v_dot4c_i32_i8_e32 v120, v204, v3
	v_mad_u64_u32 v[122:123], s[16:17], v122, v203, v[12:13]
	v_mad_u64_u32 v[208:209], s[16:17], v207, v202, v[14:15]
	v_cvt_f32_i32_e32 v123, v208
	v_cvt_f32_i32_e32 v209, v120
	v_cvt_f32_i32_e32 v208, v15
	v_cvt_f32_i32_e32 v122, v122
	v_mov_b32_e32 v12, 0
	v_dot4c_i32_i8_e32 v12, v191, v4
	v_pk_mul_f32 v[14:15], v[118:119], v[208:209] op_sel_hi:[0,1]
	v_pk_fma_f32 v[14:15], v[116:117], v[122:123], v[14:15] op_sel_hi:[0,1,1] neg_lo:[0,0,1] neg_hi:[0,0,1]
	v_pk_fma_f32 v[34:35], v[8:9], v[14:15], v[34:35]
	v_mov_b32_e32 v14, 0
	v_dot4c_i32_i8_e32 v14, v206, v4
	v_dot4c_i32_i8_e32 v14, v206, v5
	;; [unrolled: 1-line block ×4, first 2 shown]
	v_mov_b32_e32 v5, 0
	v_dot4c_i32_i8_e32 v14, v206, v7
	v_dot4c_i32_i8_e32 v5, v160, v0
	;; [unrolled: 1-line block ×9, first 2 shown]
	v_mul_lo_u32 v4, v12, v196
	v_dot4c_i32_i8_e32 v5, v163, v3
	v_dot4c_i32_i8_e32 v14, v199, v3
	v_mad_u64_u32 v[0:1], s[16:17], v13, v196, v[10:11]
	s_nop 0
	v_mad_u64_u32 v[2:3], s[16:17], v5, v121, v[4:5]
	v_cvt_f32_i32_e32 v1, v2
	v_cvt_f32_i32_e32 v3, v14
	;; [unrolled: 1-line block ×4, first 2 shown]
	v_mov_b32_e32 v10, 0
	v_mov_b32_e32 v207, 0
	v_pk_mul_f32 v[2:3], v[106:107], v[2:3] op_sel_hi:[0,1]
	v_pk_fma_f32 v[0:1], v[104:105], v[0:1], v[2:3] op_sel_hi:[0,1,1] neg_lo:[0,0,1] neg_hi:[0,0,1]
	v_pk_fma_f32 v[32:33], v[8:9], v[0:1], v[32:33]
	ds_read2_b32 v[8:9], v115 offset0:128 offset1:160
	ds_read_b128 v[4:7], v113 offset:4096
	ds_read_b128 v[0:3], v113 offset:4112
	v_mov_b32_e32 v213, 0
	v_mov_b32_e32 v15, 0
	;; [unrolled: 1-line block ×3, first 2 shown]
	s_waitcnt lgkmcnt(1)
	v_dot4c_i32_i8_e32 v207, v195, v4
	s_waitcnt lgkmcnt(0)
	v_dot4c_i32_i8_e32 v10, v164, v0
	v_dot4c_i32_i8_e32 v10, v165, v1
	;; [unrolled: 1-line block ×7, first 2 shown]
	v_mul_lo_u32 v120, v10, v192
	v_mov_b32_e32 v10, 0
	v_dot4c_i32_i8_e32 v10, v168, v0
	v_dot4c_i32_i8_e32 v10, v169, v1
	;; [unrolled: 1-line block ×3, first 2 shown]
	v_mov_b32_e32 v123, 0
	v_dot4c_i32_i8_e32 v207, v195, v5
	v_mov_b32_e32 v212, 0
	v_dot4c_i32_i8_e32 v213, v201, v5
	v_dot4c_i32_i8_e32 v10, v171, v3
	v_mov_b32_e32 v122, 0
	v_dot4c_i32_i8_e32 v15, v205, v5
	v_mov_b32_e32 v13, 0
	v_dot4c_i32_i8_e32 v11, v206, v5
	v_dot4c_i32_i8_e32 v123, v175, v4
	;; [unrolled: 1-line block ×5, first 2 shown]
	v_mul_lo_u32 v14, v10, v197
	v_dot4c_i32_i8_e32 v122, v187, v4
	v_dot4c_i32_i8_e32 v15, v205, v6
	v_mov_b32_e32 v10, 0
	v_dot4c_i32_i8_e32 v13, v191, v4
	v_dot4c_i32_i8_e32 v11, v206, v6
	v_mov_b32_e32 v4, 0
	v_dot4c_i32_i8_e32 v207, v195, v7
	v_dot4c_i32_i8_e32 v213, v201, v7
	;; [unrolled: 1-line block ×38, first 2 shown]
	v_mul_lo_u32 v12, v10, v202
	v_dot4c_i32_i8_e32 v13, v190, v7
	v_dot4c_i32_i8_e32 v11, v199, v3
	v_mul_lo_u32 v10, v4, v121
	ds_read_b128 v[4:7], v113 offset:5120
	ds_read_b128 v[0:3], v113 offset:5136
	v_mov_b32_e32 v214, 0
	v_mov_b32_e32 v208, 0
	;; [unrolled: 1-line block ×3, first 2 shown]
	s_waitcnt lgkmcnt(1)
	v_dot4c_i32_i8_e32 v214, v195, v4
	v_dot4c_i32_i8_e32 v214, v195, v5
	;; [unrolled: 1-line block ×6, first 2 shown]
	s_waitcnt lgkmcnt(0)
	v_dot4c_i32_i8_e32 v209, v164, v0
	v_dot4c_i32_i8_e32 v208, v173, v6
	;; [unrolled: 1-line block ×8, first 2 shown]
	v_mul_lo_u32 v208, v208, v193
	v_dot4c_i32_i8_e32 v209, v167, v3
	v_mad_u64_u32 v[210:211], s[16:17], v123, v193, v[120:121]
	v_mov_b32_e32 v123, 0
	v_dot4c_i32_i8_e32 v214, v194, v3
	v_mad_u64_u32 v[208:209], s[16:17], v209, v192, v[208:209]
	v_mov_b32_e32 v120, 0
	v_dot4c_i32_i8_e32 v123, v201, v4
	v_cvt_f32_i32_e32 v209, v208
	v_cvt_f32_i32_e32 v208, v210
	;; [unrolled: 1-line block ×4, first 2 shown]
	v_dot4c_i32_i8_e32 v120, v183, v4
	v_dot4c_i32_i8_e32 v123, v201, v5
	v_mov_b32_e32 v207, 0
	v_dot4c_i32_i8_e32 v120, v176, v5
	v_dot4c_i32_i8_e32 v123, v201, v6
	v_dot4c_i32_i8_e32 v207, v168, v0
	v_dot4c_i32_i8_e32 v120, v179, v6
	v_dot4c_i32_i8_e32 v123, v201, v7
	v_dot4c_i32_i8_e32 v207, v169, v1
	v_dot4c_i32_i8_e32 v120, v180, v7
	v_dot4c_i32_i8_e32 v123, v200, v0
	v_dot4c_i32_i8_e32 v207, v170, v2
	v_pk_mul_f32 v[210:211], v[110:111], v[210:211] op_sel_hi:[0,1]
	v_mul_lo_u32 v120, v120, v198
	v_dot4c_i32_i8_e32 v123, v200, v1
	v_dot4c_i32_i8_e32 v207, v171, v3
	v_pk_fma_f32 v[208:209], v[108:109], v[208:209], v[210:211] op_sel_hi:[0,1,1] neg_lo:[0,0,1] neg_hi:[0,0,1]
	v_dot4c_i32_i8_e32 v123, v200, v2
	v_pk_fma_f32 v[30:31], v[8:9], v[208:209], v[30:31]
	v_mad_u64_u32 v[210:211], s[16:17], v207, v197, v[120:121]
	v_mov_b32_e32 v120, 0
	v_dot4c_i32_i8_e32 v123, v200, v3
	v_mad_u64_u32 v[208:209], s[16:17], v212, v198, v[14:15]
	v_dot4c_i32_i8_e32 v120, v205, v4
	v_cvt_f32_i32_e32 v209, v210
	v_cvt_f32_i32_e32 v211, v123
	;; [unrolled: 1-line block ×3, first 2 shown]
	v_mov_b32_e32 v14, 0
	v_dot4c_i32_i8_e32 v120, v205, v5
	v_cvt_f32_i32_e32 v208, v208
	v_dot4c_i32_i8_e32 v14, v187, v4
	v_dot4c_i32_i8_e32 v120, v205, v6
	v_mov_b32_e32 v207, 0
	v_dot4c_i32_i8_e32 v14, v184, v5
	v_dot4c_i32_i8_e32 v120, v205, v7
	;; [unrolled: 1-line block ×6, first 2 shown]
	v_pk_mul_f32 v[210:211], v[114:115], v[210:211] op_sel_hi:[0,1]
	v_dot4c_i32_i8_e32 v14, v186, v7
	v_dot4c_i32_i8_e32 v120, v204, v1
	;; [unrolled: 1-line block ×3, first 2 shown]
	v_pk_fma_f32 v[208:209], v[112:113], v[208:209], v[210:211] op_sel_hi:[0,1,1] neg_lo:[0,0,1] neg_hi:[0,0,1]
	v_mul_lo_u32 v14, v14, v203
	v_dot4c_i32_i8_e32 v120, v204, v2
	v_dot4c_i32_i8_e32 v207, v182, v3
	v_pk_fma_f32 v[28:29], v[8:9], v[208:209], v[28:29]
	v_dot4c_i32_i8_e32 v120, v204, v3
	v_mad_u64_u32 v[122:123], s[16:17], v122, v203, v[12:13]
	v_mad_u64_u32 v[208:209], s[16:17], v207, v202, v[14:15]
	v_cvt_f32_i32_e32 v123, v208
	v_cvt_f32_i32_e32 v209, v120
	;; [unrolled: 1-line block ×4, first 2 shown]
	v_mov_b32_e32 v12, 0
	v_dot4c_i32_i8_e32 v12, v191, v4
	v_pk_mul_f32 v[14:15], v[118:119], v[208:209] op_sel_hi:[0,1]
	v_pk_fma_f32 v[14:15], v[116:117], v[122:123], v[14:15] op_sel_hi:[0,1,1] neg_lo:[0,0,1] neg_hi:[0,0,1]
	v_pk_fma_f32 v[26:27], v[8:9], v[14:15], v[26:27]
	v_mov_b32_e32 v14, 0
	v_dot4c_i32_i8_e32 v14, v206, v4
	v_dot4c_i32_i8_e32 v14, v206, v5
	;; [unrolled: 1-line block ×4, first 2 shown]
	v_mov_b32_e32 v5, 0
	v_dot4c_i32_i8_e32 v14, v206, v7
	v_dot4c_i32_i8_e32 v5, v160, v0
	;; [unrolled: 1-line block ×9, first 2 shown]
	v_mul_lo_u32 v4, v12, v196
	v_dot4c_i32_i8_e32 v5, v163, v3
	v_dot4c_i32_i8_e32 v14, v199, v3
	v_mad_u64_u32 v[0:1], s[16:17], v13, v196, v[10:11]
	s_nop 0
	v_mad_u64_u32 v[2:3], s[16:17], v5, v121, v[4:5]
	v_cvt_f32_i32_e32 v1, v2
	v_cvt_f32_i32_e32 v3, v14
	;; [unrolled: 1-line block ×4, first 2 shown]
	v_mov_b32_e32 v10, 0
	v_mov_b32_e32 v207, 0
	v_pk_mul_f32 v[2:3], v[106:107], v[2:3] op_sel_hi:[0,1]
	v_pk_fma_f32 v[0:1], v[104:105], v[0:1], v[2:3] op_sel_hi:[0,1,1] neg_lo:[0,0,1] neg_hi:[0,0,1]
	v_pk_fma_f32 v[24:25], v[8:9], v[0:1], v[24:25]
	ds_read2_b32 v[8:9], v115 offset0:192 offset1:224
	ds_read_b128 v[4:7], v113 offset:6144
	ds_read_b128 v[0:3], v113 offset:6160
	v_mov_b32_e32 v209, 0
	v_mov_b32_e32 v15, 0
	;; [unrolled: 1-line block ×3, first 2 shown]
	s_waitcnt lgkmcnt(1)
	v_dot4c_i32_i8_e32 v207, v195, v4
	s_waitcnt lgkmcnt(0)
	v_dot4c_i32_i8_e32 v10, v164, v0
	v_dot4c_i32_i8_e32 v10, v165, v1
	;; [unrolled: 1-line block ×7, first 2 shown]
	v_mul_lo_u32 v120, v10, v192
	v_mov_b32_e32 v10, 0
	v_dot4c_i32_i8_e32 v10, v168, v0
	v_dot4c_i32_i8_e32 v10, v169, v1
	;; [unrolled: 1-line block ×3, first 2 shown]
	v_mov_b32_e32 v123, 0
	v_dot4c_i32_i8_e32 v207, v195, v5
	v_mov_b32_e32 v208, 0
	v_dot4c_i32_i8_e32 v209, v201, v5
	v_dot4c_i32_i8_e32 v10, v171, v3
	v_mov_b32_e32 v122, 0
	v_dot4c_i32_i8_e32 v15, v205, v5
	v_mov_b32_e32 v13, 0
	v_dot4c_i32_i8_e32 v11, v206, v5
	v_dot4c_i32_i8_e32 v123, v175, v4
	;; [unrolled: 1-line block ×5, first 2 shown]
	v_mul_lo_u32 v14, v10, v197
	v_dot4c_i32_i8_e32 v122, v187, v4
	v_dot4c_i32_i8_e32 v15, v205, v6
	v_mov_b32_e32 v10, 0
	v_dot4c_i32_i8_e32 v13, v191, v4
	v_dot4c_i32_i8_e32 v11, v206, v6
	v_mov_b32_e32 v4, 0
	v_dot4c_i32_i8_e32 v207, v195, v7
	v_dot4c_i32_i8_e32 v209, v201, v7
	;; [unrolled: 1-line block ×38, first 2 shown]
	v_mul_lo_u32 v12, v10, v202
	v_dot4c_i32_i8_e32 v13, v190, v7
	v_dot4c_i32_i8_e32 v11, v199, v3
	v_mul_lo_u32 v10, v4, v121
	ds_read_b128 v[4:7], v113 offset:7168
	ds_read_b128 v[0:3], v113 offset:7184
	v_mov_b32_e32 v210, 0
	s_waitcnt lgkmcnt(1)
	v_dot4c_i32_i8_e32 v210, v175, v4
	v_mov_b32_e32 v175, 0
	v_dot4c_i32_i8_e32 v175, v195, v4
	v_dot4c_i32_i8_e32 v210, v172, v5
	;; [unrolled: 1-line block ×5, first 2 shown]
	v_mov_b32_e32 v173, 0
	v_dot4c_i32_i8_e32 v175, v195, v7
	s_waitcnt lgkmcnt(0)
	v_dot4c_i32_i8_e32 v173, v164, v0
	v_dot4c_i32_i8_e32 v175, v194, v0
	v_dot4c_i32_i8_e32 v173, v165, v1
	v_dot4c_i32_i8_e32 v210, v174, v7
	v_dot4c_i32_i8_e32 v175, v194, v1
	v_dot4c_i32_i8_e32 v173, v166, v2
	v_dot4c_i32_i8_e32 v175, v194, v2
	v_mul_lo_u32 v172, v210, v193
	v_dot4c_i32_i8_e32 v173, v167, v3
	v_dot4c_i32_i8_e32 v175, v194, v3
	v_mad_u64_u32 v[164:165], s[16:17], v123, v193, v[120:121]
	s_nop 0
	v_mad_u64_u32 v[166:167], s[16:17], v173, v192, v[172:173]
	v_cvt_f32_i32_e32 v165, v166
	v_cvt_f32_i32_e32 v167, v175
	;; [unrolled: 1-line block ×4, first 2 shown]
	v_mov_b32_e32 v120, 0
	v_dot4c_i32_i8_e32 v120, v168, v0
	v_pk_mul_f32 v[166:167], v[110:111], v[166:167] op_sel_hi:[0,1]
	v_mov_b32_e32 v110, 0
	v_pk_fma_f32 v[164:165], v[108:109], v[164:165], v[166:167] op_sel_hi:[0,1,1] neg_lo:[0,0,1] neg_hi:[0,0,1]
	v_mov_b32_e32 v108, 0
	v_dot4c_i32_i8_e32 v110, v201, v4
	v_dot4c_i32_i8_e32 v108, v183, v4
	;; [unrolled: 1-line block ×12, first 2 shown]
	v_mul_lo_u32 v108, v108, v198
	v_dot4c_i32_i8_e32 v120, v171, v3
	v_dot4c_i32_i8_e32 v110, v200, v2
	v_pk_fma_f32 v[22:23], v[8:9], v[164:165], v[22:23]
	v_dot4c_i32_i8_e32 v110, v200, v3
	v_mad_u64_u32 v[166:167], s[16:17], v120, v197, v[108:109]
	v_mov_b32_e32 v108, 0
	v_mad_u64_u32 v[164:165], s[16:17], v208, v198, v[14:15]
	v_dot4c_i32_i8_e32 v108, v205, v4
	v_cvt_f32_i32_e32 v165, v166
	v_cvt_f32_i32_e32 v167, v110
	;; [unrolled: 1-line block ×3, first 2 shown]
	v_mov_b32_e32 v14, 0
	v_dot4c_i32_i8_e32 v108, v205, v5
	v_cvt_f32_i32_e32 v164, v164
	v_dot4c_i32_i8_e32 v14, v187, v4
	v_dot4c_i32_i8_e32 v108, v205, v6
	v_mov_b32_e32 v110, 0
	v_dot4c_i32_i8_e32 v14, v184, v5
	v_dot4c_i32_i8_e32 v108, v205, v7
	;; [unrolled: 1-line block ×6, first 2 shown]
	v_pk_mul_f32 v[166:167], v[114:115], v[166:167] op_sel_hi:[0,1]
	v_dot4c_i32_i8_e32 v14, v186, v7
	v_dot4c_i32_i8_e32 v108, v204, v1
	;; [unrolled: 1-line block ×3, first 2 shown]
	v_pk_fma_f32 v[164:165], v[112:113], v[164:165], v[166:167] op_sel_hi:[0,1,1] neg_lo:[0,0,1] neg_hi:[0,0,1]
	v_mul_lo_u32 v14, v14, v203
	v_dot4c_i32_i8_e32 v108, v204, v2
	v_dot4c_i32_i8_e32 v110, v182, v3
	v_pk_fma_f32 v[20:21], v[8:9], v[164:165], v[20:21]
	v_dot4c_i32_i8_e32 v108, v204, v3
	v_mad_u64_u32 v[122:123], s[16:17], v122, v203, v[12:13]
	v_mad_u64_u32 v[164:165], s[16:17], v110, v202, v[14:15]
	v_cvt_f32_i32_e32 v123, v164
	v_cvt_f32_i32_e32 v165, v108
	v_cvt_f32_i32_e32 v164, v15
	v_cvt_f32_i32_e32 v122, v122
	v_mov_b32_e32 v12, 0
	v_dot4c_i32_i8_e32 v12, v191, v4
	v_pk_mul_f32 v[14:15], v[118:119], v[164:165] op_sel_hi:[0,1]
	v_pk_fma_f32 v[14:15], v[116:117], v[122:123], v[14:15] op_sel_hi:[0,1,1] neg_lo:[0,0,1] neg_hi:[0,0,1]
	v_pk_fma_f32 v[18:19], v[8:9], v[14:15], v[18:19]
	v_mov_b32_e32 v14, 0
	v_dot4c_i32_i8_e32 v14, v206, v4
	v_dot4c_i32_i8_e32 v14, v206, v5
	;; [unrolled: 1-line block ×4, first 2 shown]
	v_mov_b32_e32 v5, 0
	v_dot4c_i32_i8_e32 v14, v206, v7
	v_dot4c_i32_i8_e32 v5, v160, v0
	;; [unrolled: 1-line block ×9, first 2 shown]
	v_mul_lo_u32 v4, v12, v196
	v_dot4c_i32_i8_e32 v5, v163, v3
	v_dot4c_i32_i8_e32 v14, v199, v3
	v_mad_u64_u32 v[0:1], s[16:17], v13, v196, v[10:11]
	s_nop 0
	v_mad_u64_u32 v[2:3], s[16:17], v5, v121, v[4:5]
	v_cvt_f32_i32_e32 v1, v2
	v_cvt_f32_i32_e32 v3, v14
	;; [unrolled: 1-line block ×4, first 2 shown]
	s_add_i32 s16, s15, 2
	v_add_u32_e32 v115, 4, v115
	v_pk_mul_f32 v[2:3], v[106:107], v[2:3] op_sel_hi:[0,1]
	v_pk_fma_f32 v[0:1], v[104:105], v[0:1], v[2:3] op_sel_hi:[0,1,1] neg_lo:[0,0,1] neg_hi:[0,0,1]
	v_pk_fma_f32 v[16:17], v[8:9], v[0:1], v[16:17]
	v_add_u32_e32 v113, 32, v113
	s_cmp_lt_u32 s15, 14
	s_mov_b32 s15, s16
	s_cbranch_scc1 .LBB127_9
; %bb.10:                               ;   in Loop: Header=BB127_6 Depth=1
	s_or_b32 s15, s4, 1
	s_cmp_ge_i32 s15, s5
	s_barrier
	s_cbranch_scc1 .LBB127_5
; %bb.11:                               ;   in Loop: Header=BB127_6 Depth=1
	v_add_u32_e32 v14, s14, v124
	v_add_u32_e32 v0, v14, v99
	;; [unrolled: 1-line block ×6, first 2 shown]
	v_mad_i64_i32 v[0:1], s[16:17], v0, 36, v[70:71]
	v_mad_i64_i32 v[2:3], s[16:17], v2, 36, v[70:71]
	;; [unrolled: 1-line block ×4, first 2 shown]
	v_add_u32_e32 v8, v14, v107
	v_add_u32_e32 v10, v14, v109
	;; [unrolled: 1-line block ×4, first 2 shown]
	v_mad_u64_u32 v[112:113], s[16:17], v104, 36, s[2:3]
	v_mad_i64_i32 v[8:9], s[16:17], v8, 36, v[70:71]
	v_mad_i64_i32 v[10:11], s[16:17], v10, 36, v[70:71]
	;; [unrolled: 1-line block ×4, first 2 shown]
	global_load_dword v104, v[112:113], off
	s_nop 0
	global_load_dword v0, v[0:1], off offset:4
	s_nop 0
	global_load_dword v1, v[2:3], off offset:4
	s_nop 0
	global_load_dword v2, v[4:5], off offset:4
	global_load_dword v3, v[6:7], off offset:4
	s_nop 0
	global_load_dword v4, v[8:9], off offset:4
	global_load_dword v5, v[10:11], off offset:4
	;; [unrolled: 1-line block ×4, first 2 shown]
	s_mov_b32 s15, 16
	v_mov_b32_e32 v9, v128
	v_mov_b32_e32 v11, v127
	s_waitcnt vmcnt(8)
	v_cvt_f32_f16_e32 v8, v104
	s_waitcnt vmcnt(7)
	ds_write_b32 v141, v0
	s_waitcnt vmcnt(6)
	ds_write_b32 v142, v1
	;; [unrolled: 2-line block ×8, first 2 shown]
	ds_write_b32 v67, v8
	s_waitcnt lgkmcnt(0)
	s_barrier
.LBB127_12:                             ;   Parent Loop BB127_6 Depth=1
                                        ; =>  This Inner Loop Header: Depth=2
	s_and_b32 s18, s15, 0x3ffffff8
	v_lshl_add_u32 v12, s18, 2, v126
	ds_read2_b32 v[112:113], v11 offset1:32
	ds_read_b128 v[4:7], v9
	ds_read_b128 v[0:3], v9 offset:16
	ds_read2_b32 v[14:15], v12 offset1:1
	ds_read2_b32 v[114:115], v12 offset0:6 offset1:7
	s_add_i32 s16, s15, -16
	s_lshr_b32 s18, s15, 2
	s_and_b32 s18, s18, 0x3ffffffc
	s_waitcnt lgkmcnt(1)
	v_ashrrev_i32_e32 v8, s16, v14
	v_and_b32_e32 v163, 0x3030303, v8
	v_ashrrev_i32_e32 v8, s16, v15
	ds_read2_b32 v[14:15], v12 offset0:2 offset1:3
	v_and_b32_e32 v122, 0x3030303, v8
	s_and_b32 s17, s15, -16
	s_addk_i32 s18, 0x7280
	s_add_i32 s17, s15, s17
	s_waitcnt lgkmcnt(0)
	v_ashrrev_i32_e32 v8, s16, v14
	v_and_b32_e32 v161, 0x3030303, v8
	v_ashrrev_i32_e32 v8, s16, v15
	ds_read2_b32 v[14:15], v12 offset0:4 offset1:5
	v_and_b32_e32 v162, 0x3030303, v8
	v_add3_u32 v10, s18, v149, v150
	v_add3_u32 v104, s18, v151, v152
	;; [unrolled: 1-line block ×3, first 2 shown]
	s_waitcnt lgkmcnt(0)
	v_ashrrev_i32_e32 v8, s16, v14
	v_and_b32_e32 v13, 0x3030303, v8
	v_ashrrev_i32_e32 v8, s16, v15
	v_and_b32_e32 v15, 0x3030303, v8
	;; [unrolled: 2-line block ×3, first 2 shown]
	v_ashrrev_i32_e32 v8, s16, v115
	v_add_u32_e32 v14, 0x1080, v12
	v_and_b32_e32 v118, 0x3030303, v8
	v_add_u32_e32 v8, s17, v129
	ds_read_b32 v10, v10
	ds_read_u16 v193, v8 offset:25072
	ds_read2_b32 v[120:121], v14 offset1:1
	v_mov_b32_e32 v115, 0
	v_mov_b32_e32 v200, 0
	;; [unrolled: 1-line block ×3, first 2 shown]
	s_waitcnt lgkmcnt(1)
	v_bfe_u32 v8, v193, 4, 4
	s_waitcnt lgkmcnt(0)
	v_ashrrev_i32_e32 v14, s16, v120
	v_and_b32_e32 v171, 0x3030303, v14
	v_ashrrev_i32_e32 v14, s16, v121
	v_and_b32_e32 v168, 0x3030303, v14
	v_add_u32_e32 v14, 0x1088, v12
	ds_read2_b32 v[120:121], v14 offset1:1
	v_mul_lo_u32 v173, v8, s9
	v_mov_b32_e32 v206, 0
	v_dot4c_i32_i8_e32 v115, v173, v4
	v_mov_b32_e32 v114, 0
	s_waitcnt lgkmcnt(0)
	v_ashrrev_i32_e32 v14, s16, v120
	v_and_b32_e32 v169, 0x3030303, v14
	v_ashrrev_i32_e32 v14, s16, v121
	v_and_b32_e32 v170, 0x3030303, v14
	v_add_u32_e32 v14, 0x1090, v12
	ds_read2_b32 v[120:121], v14 offset1:1
	v_dot4c_i32_i8_e32 v115, v173, v5
	v_mov_b32_e32 v199, 0
	v_mov_b32_e32 v202, 0
	;; [unrolled: 1-line block ×3, first 2 shown]
	s_waitcnt lgkmcnt(0)
	v_ashrrev_i32_e32 v14, s16, v120
	v_and_b32_e32 v164, 0x3030303, v14
	v_ashrrev_i32_e32 v14, s16, v121
	v_and_b32_e32 v165, 0x3030303, v14
	v_add_u32_e32 v14, 0x1098, v12
	ds_read2_b32 v[120:121], v14 offset1:1
	v_dot4c_i32_i8_e32 v114, v163, v4
	v_dot4c_i32_i8_e32 v115, v173, v6
	v_lshrrev_b32_sdwa v8, v157, v193 dst_sel:DWORD dst_unused:UNUSED_PAD src0_sel:DWORD src1_sel:BYTE_1
	v_dot4c_i32_i8_e32 v199, v171, v4
	s_waitcnt lgkmcnt(0)
	v_ashrrev_i32_e32 v14, s16, v120
	v_and_b32_e32 v166, 0x3030303, v14
	v_ashrrev_i32_e32 v14, s16, v121
	v_and_b32_e32 v167, 0x3030303, v14
	v_add_u32_e32 v14, s17, v131
	ds_read_b32 v106, v104
	ds_read_u16 v192, v14 offset:26096
	v_dot4c_i32_i8_e32 v115, v173, v7
	v_mul_lo_u32 v174, v8, s9
	v_mov_b32_e32 v196, 0
	v_mov_b32_e32 v204, 0
	s_waitcnt lgkmcnt(0)
	v_bfe_u32 v14, v192, 4, 4
	v_mul_lo_u32 v172, v14, s9
	v_lshrrev_b32_sdwa v14, v157, v192 dst_sel:DWORD dst_unused:UNUSED_PAD src0_sel:DWORD src1_sel:BYTE_1
	v_mul_lo_u32 v185, v14, s9
	v_add_u32_e32 v14, 0x2100, v12
	ds_read2_b32 v[120:121], v14 offset1:1
	v_dot4c_i32_i8_e32 v200, v172, v4
	v_dot4c_i32_i8_e32 v200, v172, v5
	;; [unrolled: 1-line block ×4, first 2 shown]
	s_waitcnt lgkmcnt(0)
	v_ashrrev_i32_e32 v14, s16, v120
	v_and_b32_e32 v182, 0x3030303, v14
	v_ashrrev_i32_e32 v14, s16, v121
	v_and_b32_e32 v179, 0x3030303, v14
	v_add_u32_e32 v14, 0x2108, v12
	ds_read2_b32 v[120:121], v14 offset1:1
	v_dot4c_i32_i8_e32 v202, v182, v4
	v_mov_b32_e32 v207, 0
	v_mov_b32_e32 v208, 0
	v_dot4c_i32_i8_e32 v196, v13, v0
	s_waitcnt lgkmcnt(0)
	v_ashrrev_i32_e32 v14, s16, v120
	v_and_b32_e32 v180, 0x3030303, v14
	v_ashrrev_i32_e32 v14, s16, v121
	v_and_b32_e32 v181, 0x3030303, v14
	v_add_u32_e32 v14, 0x2110, v12
	ds_read2_b32 v[120:121], v14 offset1:1
	v_dot4c_i32_i8_e32 v115, v174, v0
	v_dot4c_i32_i8_e32 v204, v164, v0
	;; [unrolled: 1-line block ×4, first 2 shown]
	s_waitcnt lgkmcnt(0)
	v_ashrrev_i32_e32 v14, s16, v120
	v_and_b32_e32 v175, 0x3030303, v14
	v_ashrrev_i32_e32 v14, s16, v121
	v_and_b32_e32 v176, 0x3030303, v14
	v_add_u32_e32 v14, 0x2118, v12
	ds_read2_b32 v[120:121], v14 offset1:1
	v_dot4c_i32_i8_e32 v207, v175, v0
	v_dot4c_i32_i8_e32 v196, v15, v1
	;; [unrolled: 1-line block ×4, first 2 shown]
	s_waitcnt lgkmcnt(0)
	v_ashrrev_i32_e32 v14, s16, v120
	v_and_b32_e32 v177, 0x3030303, v14
	v_ashrrev_i32_e32 v14, s16, v121
	v_and_b32_e32 v178, 0x3030303, v14
	v_add_u32_e32 v14, s17, v133
	ds_read_b32 v110, v108
	ds_read_u16 v198, v14 offset:27120
	v_dot4c_i32_i8_e32 v204, v165, v1
	v_dot4c_i32_i8_e32 v200, v185, v1
	;; [unrolled: 1-line block ×4, first 2 shown]
	s_waitcnt lgkmcnt(0)
	v_bfe_u32 v14, v198, 4, 4
	v_mul_lo_u32 v184, v14, s9
	v_lshrrev_b32_sdwa v14, v157, v198 dst_sel:DWORD dst_unused:UNUSED_PAD src0_sel:DWORD src1_sel:BYTE_1
	v_mul_lo_u32 v191, v14, s9
	v_add_u32_e32 v14, 0x3180, v12
	ds_read2_b32 v[120:121], v14 offset1:1
	v_dot4c_i32_i8_e32 v203, v184, v4
	v_dot4c_i32_i8_e32 v203, v184, v5
	;; [unrolled: 1-line block ×4, first 2 shown]
	s_waitcnt lgkmcnt(0)
	v_ashrrev_i32_e32 v14, s16, v120
	v_and_b32_e32 v189, 0x3030303, v14
	v_ashrrev_i32_e32 v14, s16, v121
	v_and_b32_e32 v186, 0x3030303, v14
	v_add_u32_e32 v14, 0x3188, v12
	ds_read2_b32 v[120:121], v14 offset1:1
	v_dot4c_i32_i8_e32 v205, v189, v4
	v_dot4c_i32_i8_e32 v203, v191, v0
	;; [unrolled: 1-line block ×4, first 2 shown]
	s_waitcnt lgkmcnt(0)
	v_ashrrev_i32_e32 v14, s16, v120
	v_and_b32_e32 v187, 0x3030303, v14
	v_ashrrev_i32_e32 v14, s16, v121
	v_and_b32_e32 v188, 0x3030303, v14
	v_add_u32_e32 v14, 0x3190, v12
	ds_read2_b32 v[120:121], v14 offset1:1
	v_add_u32_e32 v12, 0x3198, v12
	ds_read2_b32 v[194:195], v12 offset1:1
	v_dot4c_i32_i8_e32 v114, v161, v6
	v_dot4c_i32_i8_e32 v196, v116, v2
	s_waitcnt lgkmcnt(1)
	v_ashrrev_i32_e32 v14, s16, v120
	v_and_b32_e32 v120, 0x3030303, v14
	v_ashrrev_i32_e32 v14, s16, v121
	s_waitcnt lgkmcnt(0)
	v_ashrrev_i32_e32 v12, s16, v194
	v_and_b32_e32 v121, 0x3030303, v14
	v_and_b32_e32 v123, 0x3030303, v12
	v_ashrrev_i32_e32 v12, s16, v195
	v_add3_u32 v14, s18, v155, v156
	v_and_b32_e32 v160, 0x3030303, v12
	v_add_u32_e32 v12, s17, v135
	ds_read_b32 v14, v14
	ds_read_u16 v201, v12 offset:28144
	v_dot4c_i32_i8_e32 v208, v120, v0
	v_dot4c_i32_i8_e32 v208, v121, v1
	;; [unrolled: 1-line block ×4, first 2 shown]
	s_waitcnt lgkmcnt(0)
	v_bfe_u32 v12, v201, 4, 4
	v_mul_lo_u32 v190, v12, s9
	v_dot4c_i32_i8_e32 v206, v190, v4
	v_dot4c_i32_i8_e32 v206, v190, v5
	;; [unrolled: 1-line block ×3, first 2 shown]
	v_lshrrev_b32_sdwa v4, v157, v201 dst_sel:DWORD dst_unused:UNUSED_PAD src0_sel:DWORD src1_sel:BYTE_1
	v_dot4c_i32_i8_e32 v206, v190, v7
	v_mul_lo_u32 v183, v4, s9
	v_dot4c_i32_i8_e32 v206, v183, v0
	v_dot4c_i32_i8_e32 v206, v183, v1
	;; [unrolled: 1-line block ×22, first 2 shown]
	ds_read_b128 v[4:7], v9 offset:1024
	ds_read_b128 v[0:3], v9 offset:1040
	v_mov_b32_e32 v209, 0
	v_mov_b32_e32 v197, 0
	;; [unrolled: 1-line block ×3, first 2 shown]
	s_waitcnt lgkmcnt(1)
	v_dot4c_i32_i8_e32 v209, v173, v4
	v_dot4c_i32_i8_e32 v209, v173, v5
	;; [unrolled: 1-line block ×6, first 2 shown]
	s_waitcnt lgkmcnt(0)
	v_dot4c_i32_i8_e32 v211, v13, v0
	v_dot4c_i32_i8_e32 v209, v174, v0
	;; [unrolled: 1-line block ×8, first 2 shown]
	v_and_b32_sdwa v195, v193, v158 dst_sel:DWORD dst_unused:UNUSED_PAD src0_sel:BYTE_0 src1_sel:DWORD
	v_and_b32_sdwa v194, v193, v158 dst_sel:DWORD dst_unused:UNUSED_PAD src0_sel:BYTE_1 src1_sel:DWORD
	v_dot4c_i32_i8_e32 v211, v118, v3
	v_dot4c_i32_i8_e32 v209, v174, v3
	v_mul_lo_u32 v196, v194, v196
	v_mul_lo_u32 v210, v195, v197
	v_cvt_f32_f16_e32 v8, v10
	v_cvt_f32_f16_sdwa v10, v10 dst_sel:DWORD dst_unused:UNUSED_PAD src0_sel:WORD_1
	v_mad_u64_u32 v[210:211], s[16:17], v194, v211, v[210:211]
	v_mad_u64_u32 v[196:197], s[16:17], v195, v114, v[196:197]
	v_cvt_f32_i32_e32 v115, v115
	v_cvt_f32_i32_e32 v114, v209
	;; [unrolled: 1-line block ×4, first 2 shown]
	v_mov_b32_e32 v209, 0
	v_pk_mul_f32 v[114:115], v[10:11], v[114:115] op_sel_hi:[0,1]
	v_dot4c_i32_i8_e32 v209, v172, v4
	v_pk_fma_f32 v[196:197], v[8:9], v[196:197], v[114:115] op_sel_hi:[0,1,1] neg_lo:[0,0,1] neg_hi:[0,0,1]
	v_mov_b32_e32 v114, v113
	v_mov_b32_e32 v113, 0
	v_dot4c_i32_i8_e32 v209, v172, v5
	v_dot4c_i32_i8_e32 v113, v171, v4
	v_dot4c_i32_i8_e32 v209, v172, v6
	v_mov_b32_e32 v193, 0
	v_dot4c_i32_i8_e32 v113, v168, v5
	v_dot4c_i32_i8_e32 v209, v172, v7
	v_dot4c_i32_i8_e32 v193, v164, v0
	;; [unrolled: 4-line block ×3, first 2 shown]
	v_pk_fma_f32 v[54:55], v[114:115], v[196:197], v[54:55]
	v_dot4c_i32_i8_e32 v113, v170, v7
	v_dot4c_i32_i8_e32 v209, v185, v1
	;; [unrolled: 1-line block ×3, first 2 shown]
	v_and_b32_sdwa v197, v192, v158 dst_sel:DWORD dst_unused:UNUSED_PAD src0_sel:BYTE_0 src1_sel:DWORD
	v_and_b32_sdwa v196, v192, v158 dst_sel:DWORD dst_unused:UNUSED_PAD src0_sel:BYTE_1 src1_sel:DWORD
	v_dot4c_i32_i8_e32 v209, v185, v2
	v_dot4c_i32_i8_e32 v193, v167, v3
	v_mul_lo_u32 v112, v196, v204
	v_mul_lo_u32 v192, v197, v113
                                        ; kill: def $vgpr113 killed $sgpr0 killed $exec
	v_dot4c_i32_i8_e32 v209, v185, v3
	v_mad_u64_u32 v[192:193], s[16:17], v196, v193, v[192:193]
	v_mad_u64_u32 v[112:113], s[16:17], v197, v199, v[112:113]
	v_cvt_f32_f16_e32 v104, v106
	v_cvt_f32_f16_sdwa v106, v106 dst_sel:DWORD dst_unused:UNUSED_PAD src0_sel:WORD_1
	v_cvt_f32_i32_e32 v113, v112
	v_cvt_f32_i32_e32 v112, v192
	;; [unrolled: 1-line block ×4, first 2 shown]
	v_mov_b32_e32 v200, 0
	v_dot4c_i32_i8_e32 v200, v184, v4
	v_dot4c_i32_i8_e32 v200, v184, v5
	v_pk_mul_f32 v[192:193], v[106:107], v[192:193] op_sel_hi:[0,1]
	v_pk_fma_f32 v[112:113], v[104:105], v[112:113], v[192:193] op_sel_hi:[0,1,1] neg_lo:[0,0,1] neg_hi:[0,0,1]
	v_pk_fma_f32 v[68:69], v[114:115], v[112:113], v[68:69]
	v_mov_b32_e32 v113, 0
	v_dot4c_i32_i8_e32 v113, v182, v4
	v_dot4c_i32_i8_e32 v200, v184, v6
	v_mov_b32_e32 v193, 0
	v_dot4c_i32_i8_e32 v113, v179, v5
	v_dot4c_i32_i8_e32 v200, v184, v7
	;; [unrolled: 1-line block ×9, first 2 shown]
	v_and_b32_sdwa v199, v198, v158 dst_sel:DWORD dst_unused:UNUSED_PAD src0_sel:BYTE_0 src1_sel:DWORD
	v_and_b32_sdwa v198, v198, v158 dst_sel:DWORD dst_unused:UNUSED_PAD src0_sel:BYTE_1 src1_sel:DWORD
	v_dot4c_i32_i8_e32 v200, v191, v2
	v_dot4c_i32_i8_e32 v193, v178, v3
	v_mul_lo_u32 v112, v198, v207
	v_mul_lo_u32 v192, v199, v113
                                        ; kill: def $vgpr113 killed $sgpr0 killed $exec
	v_dot4c_i32_i8_e32 v200, v191, v3
	v_mad_u64_u32 v[192:193], s[16:17], v198, v193, v[192:193]
	v_mad_u64_u32 v[112:113], s[16:17], v199, v202, v[112:113]
	v_cvt_f32_f16_e32 v108, v110
	v_cvt_f32_f16_sdwa v110, v110 dst_sel:DWORD dst_unused:UNUSED_PAD src0_sel:WORD_1
	v_cvt_f32_i32_e32 v113, v112
	v_cvt_f32_i32_e32 v112, v192
	;; [unrolled: 1-line block ×4, first 2 shown]
	v_cvt_f32_f16_e32 v12, v14
	v_cvt_f32_f16_sdwa v14, v14 dst_sel:DWORD dst_unused:UNUSED_PAD src0_sel:WORD_1
	v_mov_b32_e32 v200, 0
	v_pk_mul_f32 v[192:193], v[110:111], v[192:193] op_sel_hi:[0,1]
	v_pk_fma_f32 v[112:113], v[108:109], v[112:113], v[192:193] op_sel_hi:[0,1,1] neg_lo:[0,0,1] neg_hi:[0,0,1]
	v_pk_fma_f32 v[64:65], v[114:115], v[112:113], v[64:65]
	v_mov_b32_e32 v113, 0
	v_dot4c_i32_i8_e32 v113, v190, v4
	v_mov_b32_e32 v112, 0
	v_dot4c_i32_i8_e32 v113, v190, v5
	v_dot4c_i32_i8_e32 v112, v189, v4
	;; [unrolled: 1-line block ×3, first 2 shown]
	v_mov_b32_e32 v4, 0
	v_dot4c_i32_i8_e32 v112, v186, v5
	v_dot4c_i32_i8_e32 v113, v190, v7
	;; [unrolled: 1-line block ×9, first 2 shown]
	v_and_b32_sdwa v193, v201, v158 dst_sel:DWORD dst_unused:UNUSED_PAD src0_sel:BYTE_0 src1_sel:DWORD
	v_and_b32_sdwa v192, v201, v158 dst_sel:DWORD dst_unused:UNUSED_PAD src0_sel:BYTE_1 src1_sel:DWORD
	v_dot4c_i32_i8_e32 v113, v183, v2
	v_dot4c_i32_i8_e32 v4, v160, v3
	v_mul_lo_u32 v0, v192, v208
	v_mul_lo_u32 v2, v193, v112
                                        ; kill: def $vgpr1 killed $sgpr0 killed $exec
	v_dot4c_i32_i8_e32 v113, v183, v3
	v_mad_u64_u32 v[2:3], s[16:17], v192, v4, v[2:3]
	v_mad_u64_u32 v[0:1], s[16:17], v193, v205, v[0:1]
	v_cvt_f32_i32_e32 v1, v0
	v_cvt_f32_i32_e32 v0, v2
	;; [unrolled: 1-line block ×4, first 2 shown]
	v_mov_b32_e32 v206, 0
	v_mov_b32_e32 v208, 0
	;; [unrolled: 1-line block ×3, first 2 shown]
	v_pk_mul_f32 v[2:3], v[14:15], v[2:3] op_sel_hi:[0,1]
	v_pk_fma_f32 v[0:1], v[12:13], v[0:1], v[2:3] op_sel_hi:[0,1,1] neg_lo:[0,0,1] neg_hi:[0,0,1]
	v_pk_fma_f32 v[62:63], v[114:115], v[0:1], v[62:63]
	ds_read2_b32 v[112:113], v11 offset0:64 offset1:96
	ds_read_b128 v[4:7], v9 offset:2048
	ds_read_b128 v[0:3], v9 offset:2064
	v_mov_b32_e32 v114, 0
	v_mov_b32_e32 v204, 0
	;; [unrolled: 1-line block ×3, first 2 shown]
	s_waitcnt lgkmcnt(1)
	v_dot4c_i32_i8_e32 v206, v173, v4
	v_dot4c_i32_i8_e32 v208, v172, v4
	;; [unrolled: 1-line block ×14, first 2 shown]
	v_mov_b32_e32 v209, 0
	v_mov_b32_e32 v201, 0
	v_dot4c_i32_i8_e32 v200, v184, v7
	v_mov_b32_e32 v210, 0
	v_mov_b32_e32 v115, 0
	v_dot4c_i32_i8_e32 v114, v190, v7
	v_mov_b32_e32 v211, 0
	v_dot4c_i32_i8_e32 v203, v163, v4
	s_waitcnt lgkmcnt(0)
	v_dot4c_i32_i8_e32 v204, v13, v0
	v_dot4c_i32_i8_e32 v206, v174, v0
	;; [unrolled: 1-line block ×47, first 2 shown]
	ds_read_b128 v[4:7], v9 offset:3072
	ds_read_b128 v[0:3], v9 offset:3088
	v_mov_b32_e32 v212, 0
	v_mov_b32_e32 v202, 0
	;; [unrolled: 1-line block ×3, first 2 shown]
	s_waitcnt lgkmcnt(1)
	v_dot4c_i32_i8_e32 v212, v173, v4
	v_dot4c_i32_i8_e32 v212, v173, v5
	;; [unrolled: 1-line block ×6, first 2 shown]
	s_waitcnt lgkmcnt(0)
	v_dot4c_i32_i8_e32 v213, v13, v0
	v_dot4c_i32_i8_e32 v202, v161, v6
	;; [unrolled: 1-line block ×7, first 2 shown]
	v_mul_lo_u32 v204, v204, v194
                                        ; kill: def $vgpr205 killed $sgpr0 killed $exec
	v_dot4c_i32_i8_e32 v212, v174, v2
	v_dot4c_i32_i8_e32 v213, v118, v3
	v_mul_lo_u32 v202, v202, v195
	v_mad_u64_u32 v[204:205], s[16:17], v203, v195, v[204:205]
                                        ; kill: def $vgpr203 killed $sgpr0 killed $exec
	v_dot4c_i32_i8_e32 v212, v174, v3
	v_mad_u64_u32 v[202:203], s[16:17], v213, v194, v[202:203]
	v_cvt_f32_i32_e32 v203, v202
	v_cvt_f32_i32_e32 v202, v204
	v_cvt_f32_i32_e32 v205, v212
	v_cvt_f32_i32_e32 v204, v206
	v_mov_b32_e32 v206, 0
	v_dot4c_i32_i8_e32 v206, v172, v4
	v_dot4c_i32_i8_e32 v206, v172, v5
	v_pk_mul_f32 v[204:205], v[10:11], v[204:205] op_sel_hi:[0,1]
	v_pk_fma_f32 v[202:203], v[8:9], v[202:203], v[204:205] op_sel_hi:[0,1,1] neg_lo:[0,0,1] neg_hi:[0,0,1]
	v_pk_fma_f32 v[44:45], v[112:113], v[202:203], v[44:45]
	v_mov_b32_e32 v202, 0
	v_dot4c_i32_i8_e32 v202, v171, v4
	v_dot4c_i32_i8_e32 v206, v172, v6
	v_mov_b32_e32 v203, 0
	v_dot4c_i32_i8_e32 v202, v168, v5
	v_dot4c_i32_i8_e32 v206, v172, v7
	;; [unrolled: 1-line block ×11, first 2 shown]
	v_mul_lo_u32 v202, v202, v197
	v_mul_lo_u32 v204, v209, v196
                                        ; kill: def $vgpr205 killed $sgpr0 killed $exec
	v_dot4c_i32_i8_e32 v206, v185, v3
	v_mad_u64_u32 v[204:205], s[16:17], v207, v197, v[204:205]
	v_mad_u64_u32 v[202:203], s[16:17], v203, v196, v[202:203]
	v_cvt_f32_i32_e32 v203, v202
	v_cvt_f32_i32_e32 v202, v204
	;; [unrolled: 1-line block ×4, first 2 shown]
	v_mov_b32_e32 v206, 0
	v_dot4c_i32_i8_e32 v206, v184, v4
	v_dot4c_i32_i8_e32 v206, v184, v5
	v_pk_mul_f32 v[204:205], v[106:107], v[204:205] op_sel_hi:[0,1]
	v_pk_fma_f32 v[202:203], v[104:105], v[202:203], v[204:205] op_sel_hi:[0,1,1] neg_lo:[0,0,1] neg_hi:[0,0,1]
	v_pk_fma_f32 v[36:37], v[112:113], v[202:203], v[36:37]
	v_mov_b32_e32 v202, 0
	v_dot4c_i32_i8_e32 v206, v184, v6
	v_dot4c_i32_i8_e32 v202, v182, v4
	;; [unrolled: 1-line block ×3, first 2 shown]
	v_mov_b32_e32 v203, 0
	v_dot4c_i32_i8_e32 v202, v179, v5
	v_dot4c_i32_i8_e32 v203, v175, v0
	;; [unrolled: 1-line block ×11, first 2 shown]
	v_mul_lo_u32 v202, v202, v199
	v_mul_lo_u32 v204, v210, v198
                                        ; kill: def $vgpr205 killed $sgpr0 killed $exec
	v_mad_u64_u32 v[202:203], s[16:17], v203, v198, v[202:203]
	v_mad_u64_u32 v[204:205], s[16:17], v201, v199, v[204:205]
	v_cvt_f32_i32_e32 v201, v206
	v_cvt_f32_i32_e32 v200, v200
	;; [unrolled: 1-line block ×4, first 2 shown]
	v_mov_b32_e32 v206, 0
	v_pk_mul_f32 v[200:201], v[110:111], v[200:201] op_sel_hi:[0,1]
	v_mov_b32_e32 v208, 0
	v_pk_fma_f32 v[200:201], v[108:109], v[202:203], v[200:201] op_sel_hi:[0,1,1] neg_lo:[0,0,1] neg_hi:[0,0,1]
	v_pk_fma_f32 v[34:35], v[112:113], v[200:201], v[34:35]
	v_mov_b32_e32 v201, 0
	v_dot4c_i32_i8_e32 v201, v190, v4
	v_mov_b32_e32 v200, 0
	v_dot4c_i32_i8_e32 v201, v190, v5
	v_dot4c_i32_i8_e32 v200, v189, v4
	;; [unrolled: 1-line block ×3, first 2 shown]
	v_mov_b32_e32 v4, 0
	v_dot4c_i32_i8_e32 v200, v186, v5
	v_dot4c_i32_i8_e32 v201, v190, v7
	;; [unrolled: 1-line block ×11, first 2 shown]
	v_mul_lo_u32 v0, v200, v193
	v_mul_lo_u32 v2, v211, v192
                                        ; kill: def $vgpr1 killed $sgpr0 killed $exec
	v_dot4c_i32_i8_e32 v201, v183, v3
	v_mad_u64_u32 v[2:3], s[16:17], v115, v193, v[2:3]
	v_mad_u64_u32 v[0:1], s[16:17], v4, v192, v[0:1]
	v_cvt_f32_i32_e32 v1, v0
	v_cvt_f32_i32_e32 v0, v2
	v_cvt_f32_i32_e32 v3, v201
	v_cvt_f32_i32_e32 v2, v114
	v_mov_b32_e32 v200, 0
	v_mov_b32_e32 v114, 0
	;; [unrolled: 1-line block ×3, first 2 shown]
	v_pk_mul_f32 v[2:3], v[14:15], v[2:3] op_sel_hi:[0,1]
	v_pk_fma_f32 v[0:1], v[12:13], v[0:1], v[2:3] op_sel_hi:[0,1,1] neg_lo:[0,0,1] neg_hi:[0,0,1]
	v_pk_fma_f32 v[32:33], v[112:113], v[0:1], v[32:33]
	ds_read2_b32 v[112:113], v11 offset0:128 offset1:160
	ds_read_b128 v[4:7], v9 offset:4096
	ds_read_b128 v[0:3], v9 offset:4112
	v_mov_b32_e32 v204, 0
	v_mov_b32_e32 v207, 0
	;; [unrolled: 1-line block ×3, first 2 shown]
	s_waitcnt lgkmcnt(1)
	v_dot4c_i32_i8_e32 v206, v173, v4
	v_dot4c_i32_i8_e32 v208, v172, v4
	;; [unrolled: 1-line block ×14, first 2 shown]
	v_mov_b32_e32 v201, 0
	v_dot4c_i32_i8_e32 v200, v184, v7
	v_mov_b32_e32 v210, 0
	v_mov_b32_e32 v115, 0
	v_dot4c_i32_i8_e32 v114, v190, v7
	v_mov_b32_e32 v211, 0
	v_dot4c_i32_i8_e32 v203, v163, v4
	s_waitcnt lgkmcnt(0)
	v_dot4c_i32_i8_e32 v204, v13, v0
	v_dot4c_i32_i8_e32 v206, v174, v0
	;; [unrolled: 1-line block ×47, first 2 shown]
	ds_read_b128 v[4:7], v9 offset:5120
	ds_read_b128 v[0:3], v9 offset:5136
	v_mov_b32_e32 v212, 0
	v_mov_b32_e32 v202, 0
	;; [unrolled: 1-line block ×3, first 2 shown]
	s_waitcnt lgkmcnt(1)
	v_dot4c_i32_i8_e32 v212, v173, v4
	v_dot4c_i32_i8_e32 v212, v173, v5
	;; [unrolled: 1-line block ×6, first 2 shown]
	s_waitcnt lgkmcnt(0)
	v_dot4c_i32_i8_e32 v213, v13, v0
	v_dot4c_i32_i8_e32 v202, v161, v6
	;; [unrolled: 1-line block ×7, first 2 shown]
	v_mul_lo_u32 v204, v204, v194
                                        ; kill: def $vgpr205 killed $sgpr0 killed $exec
	v_dot4c_i32_i8_e32 v212, v174, v2
	v_dot4c_i32_i8_e32 v213, v118, v3
	v_mul_lo_u32 v202, v202, v195
	v_mad_u64_u32 v[204:205], s[16:17], v203, v195, v[204:205]
                                        ; kill: def $vgpr203 killed $sgpr0 killed $exec
	v_dot4c_i32_i8_e32 v212, v174, v3
	v_mad_u64_u32 v[202:203], s[16:17], v213, v194, v[202:203]
	v_cvt_f32_i32_e32 v203, v202
	v_cvt_f32_i32_e32 v202, v204
	;; [unrolled: 1-line block ×4, first 2 shown]
	v_mov_b32_e32 v206, 0
	v_dot4c_i32_i8_e32 v206, v172, v4
	v_dot4c_i32_i8_e32 v206, v172, v5
	v_pk_mul_f32 v[204:205], v[10:11], v[204:205] op_sel_hi:[0,1]
	v_pk_fma_f32 v[202:203], v[8:9], v[202:203], v[204:205] op_sel_hi:[0,1,1] neg_lo:[0,0,1] neg_hi:[0,0,1]
	v_pk_fma_f32 v[30:31], v[112:113], v[202:203], v[30:31]
	v_mov_b32_e32 v202, 0
	v_dot4c_i32_i8_e32 v202, v171, v4
	v_dot4c_i32_i8_e32 v206, v172, v6
	v_mov_b32_e32 v203, 0
	v_dot4c_i32_i8_e32 v202, v168, v5
	v_dot4c_i32_i8_e32 v206, v172, v7
	;; [unrolled: 1-line block ×11, first 2 shown]
	v_mul_lo_u32 v202, v202, v197
	v_mul_lo_u32 v204, v209, v196
                                        ; kill: def $vgpr205 killed $sgpr0 killed $exec
	v_dot4c_i32_i8_e32 v206, v185, v3
	v_mad_u64_u32 v[204:205], s[16:17], v207, v197, v[204:205]
	v_mad_u64_u32 v[202:203], s[16:17], v203, v196, v[202:203]
	v_cvt_f32_i32_e32 v203, v202
	v_cvt_f32_i32_e32 v202, v204
	;; [unrolled: 1-line block ×4, first 2 shown]
	v_mov_b32_e32 v206, 0
	v_dot4c_i32_i8_e32 v206, v184, v4
	v_dot4c_i32_i8_e32 v206, v184, v5
	v_pk_mul_f32 v[204:205], v[106:107], v[204:205] op_sel_hi:[0,1]
	v_pk_fma_f32 v[202:203], v[104:105], v[202:203], v[204:205] op_sel_hi:[0,1,1] neg_lo:[0,0,1] neg_hi:[0,0,1]
	v_pk_fma_f32 v[28:29], v[112:113], v[202:203], v[28:29]
	v_mov_b32_e32 v202, 0
	v_dot4c_i32_i8_e32 v206, v184, v6
	v_dot4c_i32_i8_e32 v202, v182, v4
	v_dot4c_i32_i8_e32 v206, v184, v7
	v_mov_b32_e32 v203, 0
	v_dot4c_i32_i8_e32 v202, v179, v5
	v_dot4c_i32_i8_e32 v203, v175, v0
	;; [unrolled: 1-line block ×11, first 2 shown]
	v_mul_lo_u32 v202, v202, v199
	v_mul_lo_u32 v204, v210, v198
                                        ; kill: def $vgpr205 killed $sgpr0 killed $exec
	v_mad_u64_u32 v[202:203], s[16:17], v203, v198, v[202:203]
	v_mad_u64_u32 v[204:205], s[16:17], v201, v199, v[204:205]
	v_cvt_f32_i32_e32 v201, v206
	v_cvt_f32_i32_e32 v200, v200
	;; [unrolled: 1-line block ×4, first 2 shown]
	v_mov_b32_e32 v204, 0
	v_pk_mul_f32 v[200:201], v[110:111], v[200:201] op_sel_hi:[0,1]
	v_mov_b32_e32 v207, 0
	v_pk_fma_f32 v[200:201], v[108:109], v[202:203], v[200:201] op_sel_hi:[0,1,1] neg_lo:[0,0,1] neg_hi:[0,0,1]
	v_pk_fma_f32 v[26:27], v[112:113], v[200:201], v[26:27]
	v_mov_b32_e32 v201, 0
	v_dot4c_i32_i8_e32 v201, v190, v4
	v_mov_b32_e32 v200, 0
	v_dot4c_i32_i8_e32 v201, v190, v5
	v_dot4c_i32_i8_e32 v200, v189, v4
	;; [unrolled: 1-line block ×3, first 2 shown]
	v_mov_b32_e32 v4, 0
	v_dot4c_i32_i8_e32 v200, v186, v5
	v_dot4c_i32_i8_e32 v201, v190, v7
	;; [unrolled: 1-line block ×11, first 2 shown]
	v_mul_lo_u32 v0, v200, v193
	v_mul_lo_u32 v2, v211, v192
                                        ; kill: def $vgpr1 killed $sgpr0 killed $exec
	v_dot4c_i32_i8_e32 v201, v183, v3
	v_mad_u64_u32 v[2:3], s[16:17], v115, v193, v[2:3]
	v_mad_u64_u32 v[0:1], s[16:17], v4, v192, v[0:1]
	v_cvt_f32_i32_e32 v1, v0
	v_cvt_f32_i32_e32 v0, v2
	;; [unrolled: 1-line block ×4, first 2 shown]
	v_mov_b32_e32 v201, 0
	v_mov_b32_e32 v114, 0
	;; [unrolled: 1-line block ×3, first 2 shown]
	v_pk_mul_f32 v[2:3], v[14:15], v[2:3] op_sel_hi:[0,1]
	v_pk_fma_f32 v[0:1], v[12:13], v[0:1], v[2:3] op_sel_hi:[0,1,1] neg_lo:[0,0,1] neg_hi:[0,0,1]
	v_pk_fma_f32 v[24:25], v[112:113], v[0:1], v[24:25]
	ds_read2_b32 v[112:113], v11 offset0:192 offset1:224
	ds_read_b128 v[4:7], v9 offset:6144
	ds_read_b128 v[0:3], v9 offset:6160
	v_mov_b32_e32 v205, 0
	v_mov_b32_e32 v206, 0
	;; [unrolled: 1-line block ×3, first 2 shown]
	s_waitcnt lgkmcnt(1)
	v_dot4c_i32_i8_e32 v204, v173, v4
	v_dot4c_i32_i8_e32 v207, v172, v4
	;; [unrolled: 1-line block ×14, first 2 shown]
	v_mov_b32_e32 v202, 0
	v_dot4c_i32_i8_e32 v201, v184, v7
	v_mov_b32_e32 v209, 0
	v_mov_b32_e32 v115, 0
	v_dot4c_i32_i8_e32 v114, v190, v7
	v_mov_b32_e32 v200, 0
	v_dot4c_i32_i8_e32 v203, v163, v4
	s_waitcnt lgkmcnt(0)
	v_dot4c_i32_i8_e32 v205, v13, v0
	v_dot4c_i32_i8_e32 v204, v174, v0
	;; [unrolled: 1-line block ×47, first 2 shown]
	ds_read_b128 v[4:7], v9 offset:7168
	ds_read_b128 v[0:3], v9 offset:7184
	v_mov_b32_e32 v211, 0
	v_mov_b32_e32 v210, 0
	s_waitcnt lgkmcnt(1)
	v_dot4c_i32_i8_e32 v211, v173, v4
	v_dot4c_i32_i8_e32 v210, v163, v4
	;; [unrolled: 1-line block ×5, first 2 shown]
	v_mov_b32_e32 v122, 0
	v_dot4c_i32_i8_e32 v211, v173, v7
	s_waitcnt lgkmcnt(0)
	v_dot4c_i32_i8_e32 v122, v13, v0
	v_dot4c_i32_i8_e32 v210, v161, v6
	;; [unrolled: 1-line block ×9, first 2 shown]
	v_mul_lo_u32 v116, v210, v195
	v_mul_lo_u32 v118, v205, v194
	v_dot4c_i32_i8_e32 v211, v174, v3
	v_mad_u64_u32 v[162:163], s[16:17], v203, v195, v[118:119]
	v_mad_u64_u32 v[194:195], s[16:17], v122, v194, v[116:117]
	v_cvt_f32_i32_e32 v163, v194
	v_cvt_f32_i32_e32 v195, v211
	;; [unrolled: 1-line block ×4, first 2 shown]
	v_mov_b32_e32 v13, 0
	v_dot4c_i32_i8_e32 v13, v172, v4
	v_pk_mul_f32 v[194:195], v[10:11], v[194:195] op_sel_hi:[0,1]
	v_pk_fma_f32 v[162:163], v[8:9], v[162:163], v[194:195] op_sel_hi:[0,1,1] neg_lo:[0,0,1] neg_hi:[0,0,1]
	v_mov_b32_e32 v8, 0
	v_dot4c_i32_i8_e32 v13, v172, v5
	v_dot4c_i32_i8_e32 v8, v171, v4
	;; [unrolled: 1-line block ×3, first 2 shown]
	v_mov_b32_e32 v15, 0
	v_dot4c_i32_i8_e32 v8, v168, v5
	v_dot4c_i32_i8_e32 v13, v172, v7
	;; [unrolled: 1-line block ×11, first 2 shown]
	v_mul_lo_u32 v8, v8, v197
	v_mul_lo_u32 v10, v208, v196
	v_pk_fma_f32 v[22:23], v[112:113], v[162:163], v[22:23]
	v_dot4c_i32_i8_e32 v13, v185, v3
	v_mad_u64_u32 v[162:163], s[16:17], v206, v197, v[10:11]
	v_mad_u64_u32 v[164:165], s[16:17], v15, v196, v[8:9]
	v_cvt_f32_i32_e32 v163, v164
	v_cvt_f32_i32_e32 v165, v13
	;; [unrolled: 1-line block ×4, first 2 shown]
	v_mov_b32_e32 v8, 0
	v_dot4c_i32_i8_e32 v8, v182, v4
	v_mov_b32_e32 v15, 0
	v_pk_mul_f32 v[164:165], v[106:107], v[164:165] op_sel_hi:[0,1]
	v_dot4c_i32_i8_e32 v8, v179, v5
	v_dot4c_i32_i8_e32 v15, v175, v0
	v_pk_fma_f32 v[162:163], v[104:105], v[162:163], v[164:165] op_sel_hi:[0,1,1] neg_lo:[0,0,1] neg_hi:[0,0,1]
	v_dot4c_i32_i8_e32 v8, v180, v6
	v_dot4c_i32_i8_e32 v15, v176, v1
	v_mul_lo_u32 v10, v209, v198
	v_pk_fma_f32 v[20:21], v[112:113], v[162:163], v[20:21]
	v_mov_b32_e32 v13, 0
	v_dot4c_i32_i8_e32 v8, v181, v7
	v_dot4c_i32_i8_e32 v15, v177, v2
	v_mad_u64_u32 v[162:163], s[16:17], v202, v199, v[10:11]
	v_mov_b32_e32 v10, 0
	v_dot4c_i32_i8_e32 v13, v184, v4
	v_dot4c_i32_i8_e32 v15, v178, v3
	v_mul_lo_u32 v8, v8, v199
	v_dot4c_i32_i8_e32 v10, v190, v4
	v_dot4c_i32_i8_e32 v13, v184, v5
	v_mad_u64_u32 v[164:165], s[16:17], v15, v198, v[8:9]
	v_mov_b32_e32 v8, 0
	v_dot4c_i32_i8_e32 v10, v190, v5
	v_dot4c_i32_i8_e32 v13, v184, v6
	;; [unrolled: 1-line block ×4, first 2 shown]
	v_mov_b32_e32 v4, 0
	v_dot4c_i32_i8_e32 v13, v184, v7
	v_dot4c_i32_i8_e32 v8, v186, v5
	;; [unrolled: 1-line block ×15, first 2 shown]
	v_mul_lo_u32 v0, v8, v193
	v_mul_lo_u32 v2, v200, v192
                                        ; kill: def $vgpr1 killed $sgpr0 killed $exec
	v_dot4c_i32_i8_e32 v13, v191, v3
	v_dot4c_i32_i8_e32 v10, v183, v3
	v_mad_u64_u32 v[2:3], s[16:17], v115, v193, v[2:3]
	v_mad_u64_u32 v[0:1], s[16:17], v4, v192, v[0:1]
	v_cvt_f32_i32_e32 v163, v164
	v_cvt_f32_i32_e32 v165, v13
	v_cvt_f32_i32_e32 v164, v201
	v_cvt_f32_i32_e32 v1, v0
	v_cvt_f32_i32_e32 v0, v2
	v_cvt_f32_i32_e32 v3, v10
	v_cvt_f32_i32_e32 v2, v114
	v_cvt_f32_i32_e32 v162, v162
	v_pk_mul_f32 v[164:165], v[110:111], v[164:165] op_sel_hi:[0,1]
	s_add_i32 s16, s15, 2
	v_pk_mul_f32 v[2:3], v[14:15], v[2:3] op_sel_hi:[0,1]
	v_pk_fma_f32 v[162:163], v[108:109], v[162:163], v[164:165] op_sel_hi:[0,1,1] neg_lo:[0,0,1] neg_hi:[0,0,1]
	v_pk_fma_f32 v[0:1], v[12:13], v[0:1], v[2:3] op_sel_hi:[0,1,1] neg_lo:[0,0,1] neg_hi:[0,0,1]
	v_pk_fma_f32 v[18:19], v[112:113], v[162:163], v[18:19]
	v_pk_fma_f32 v[16:17], v[112:113], v[0:1], v[16:17]
	v_add_u32_e32 v11, 4, v11
	v_add_u32_e32 v9, 32, v9
	s_cmp_lt_u32 s15, 22
	s_mov_b32 s15, s16
	s_cbranch_scc1 .LBB127_12
; %bb.13:                               ;   in Loop: Header=BB127_6 Depth=1
	v_add_u32_e32 v14, s14, v125
	v_add_u32_e32 v0, v14, v99
	;; [unrolled: 1-line block ×6, first 2 shown]
	v_mad_i64_i32 v[0:1], s[14:15], v0, 36, v[70:71]
	v_mad_i64_i32 v[2:3], s[14:15], v2, 36, v[70:71]
	;; [unrolled: 1-line block ×4, first 2 shown]
	v_add_u32_e32 v8, v14, v107
	v_add_u32_e32 v10, v14, v109
	;; [unrolled: 1-line block ×4, first 2 shown]
	v_mad_u64_u32 v[112:113], s[14:15], v104, 36, s[2:3]
	s_barrier
	v_mad_i64_i32 v[8:9], s[14:15], v8, 36, v[70:71]
	v_mad_i64_i32 v[10:11], s[14:15], v10, 36, v[70:71]
	;; [unrolled: 1-line block ×4, first 2 shown]
	global_load_dword v104, v[112:113], off
	s_nop 0
	global_load_dword v0, v[0:1], off offset:4
	s_nop 0
	global_load_dword v1, v[2:3], off offset:4
	;; [unrolled: 2-line block ×3, first 2 shown]
	global_load_dword v3, v[6:7], off offset:4
	s_nop 0
	global_load_dword v4, v[8:9], off offset:4
	global_load_dword v5, v[10:11], off offset:4
	;; [unrolled: 1-line block ×4, first 2 shown]
	s_mov_b32 s14, 24
	v_mov_b32_e32 v113, v128
	v_mov_b32_e32 v115, v127
	s_waitcnt vmcnt(8)
	v_cvt_f32_f16_e32 v8, v104
	s_waitcnt vmcnt(7)
	ds_write_b32 v141, v0
	s_waitcnt vmcnt(6)
	ds_write_b32 v142, v1
	s_waitcnt vmcnt(5)
	ds_write_b32 v143, v2
	s_waitcnt vmcnt(4)
	ds_write_b32 v144, v3
	s_waitcnt vmcnt(3)
	ds_write_b32 v145, v4
	s_waitcnt vmcnt(2)
	ds_write_b32 v146, v5
	s_waitcnt vmcnt(1)
	ds_write_b32 v147, v6
	s_waitcnt vmcnt(0)
	ds_write_b32 v148, v7
	ds_write_b32 v67, v8
	s_waitcnt lgkmcnt(0)
	s_barrier
.LBB127_14:                             ;   Parent Loop BB127_6 Depth=1
                                        ; =>  This Inner Loop Header: Depth=2
	s_and_b32 s17, s14, 0x3ffffff8
	v_lshl_add_u32 v10, s17, 2, v126
	ds_read2_b32 v[120:121], v115 offset1:32
	ds_read_b128 v[4:7], v113
	ds_read_b128 v[0:3], v113 offset:16
	ds_read2_b32 v[8:9], v10 offset1:1
	s_sub_i32 s15, s14, 24
	s_lshr_b32 s17, s14, 2
	s_and_b32 s17, s17, 0x3ffffffc
	s_addk_i32 s17, 0x7280
	s_waitcnt lgkmcnt(0)
	v_ashrrev_i32_e32 v8, s15, v8
	v_and_b32_e32 v177, 0x3030303, v8
	v_ashrrev_i32_e32 v8, s15, v9
	v_and_b32_e32 v171, 0x3030303, v8
	ds_read2_b32 v[8:9], v10 offset0:2 offset1:3
	s_and_b32 s16, s14, -16
	s_add_i32 s16, s14, s16
	v_add_u32_e32 v123, s16, v129
	v_mov_b32_e32 v210, 0
	s_waitcnt lgkmcnt(0)
	v_ashrrev_i32_e32 v8, s15, v8
	v_and_b32_e32 v172, 0x3030303, v8
	v_ashrrev_i32_e32 v8, s15, v9
	v_and_b32_e32 v173, 0x3030303, v8
	ds_read2_b32 v[8:9], v10 offset0:4 offset1:5
	v_mov_b32_e32 v211, 0
	v_mov_b32_e32 v197, 0
	;; [unrolled: 1-line block ×4, first 2 shown]
	s_waitcnt lgkmcnt(0)
	v_ashrrev_i32_e32 v8, s15, v8
	v_and_b32_e32 v163, 0x3030303, v8
	v_ashrrev_i32_e32 v8, s15, v9
	v_and_b32_e32 v164, 0x3030303, v8
	ds_read2_b32 v[8:9], v10 offset0:6 offset1:7
	v_dot4c_i32_i8_e32 v197, v163, v0
	v_mov_b32_e32 v203, 0
	v_dot4c_i32_i8_e32 v122, v177, v4
	v_dot4c_i32_i8_e32 v197, v164, v1
	s_waitcnt lgkmcnt(0)
	v_ashrrev_i32_e32 v8, s15, v8
	v_and_b32_e32 v165, 0x3030303, v8
	v_ashrrev_i32_e32 v8, s15, v9
	v_and_b32_e32 v166, 0x3030303, v8
	v_add3_u32 v8, s17, v149, v150
	ds_read_b32 v8, v8
	v_dot4c_i32_i8_e32 v122, v171, v5
	v_dot4c_i32_i8_e32 v197, v165, v2
	;; [unrolled: 1-line block ×4, first 2 shown]
	s_waitcnt lgkmcnt(0)
	v_cvt_f32_f16_e32 v108, v8
	v_cvt_f32_f16_sdwa v110, v8 dst_sel:DWORD dst_unused:UNUSED_PAD src0_sel:WORD_1
	v_add_u32_e32 v8, 0x1080, v10
	ds_read2_b32 v[8:9], v8 offset1:1
	v_dot4c_i32_i8_e32 v122, v173, v7
	v_add_u32_e32 v195, s16, v131
	v_add_u32_e32 v200, s16, v133
	;; [unrolled: 1-line block ×3, first 2 shown]
	s_waitcnt lgkmcnt(0)
	v_ashrrev_i32_e32 v8, s15, v8
	v_and_b32_e32 v182, 0x3030303, v8
	v_ashrrev_i32_e32 v8, s15, v9
	v_and_b32_e32 v174, 0x3030303, v8
	v_add_u32_e32 v8, 0x1088, v10
	ds_read2_b32 v[8:9], v8 offset1:1
	v_mov_b32_e32 v202, 0
	v_mov_b32_e32 v201, 0
	v_dot4c_i32_i8_e32 v201, v182, v4
	v_dot4c_i32_i8_e32 v201, v174, v5
	s_waitcnt lgkmcnt(0)
	v_ashrrev_i32_e32 v8, s15, v8
	v_and_b32_e32 v178, 0x3030303, v8
	v_ashrrev_i32_e32 v8, s15, v9
	v_and_b32_e32 v179, 0x3030303, v8
	v_add_u32_e32 v8, 0x1090, v10
	ds_read2_b32 v[8:9], v8 offset1:1
	v_dot4c_i32_i8_e32 v201, v178, v6
	v_dot4c_i32_i8_e32 v201, v179, v7
	v_mov_b32_e32 v207, 0
	v_mov_b32_e32 v204, 0
	s_waitcnt lgkmcnt(0)
	v_ashrrev_i32_e32 v8, s15, v8
	v_and_b32_e32 v167, 0x3030303, v8
	v_ashrrev_i32_e32 v8, s15, v9
	v_and_b32_e32 v168, 0x3030303, v8
	v_add_u32_e32 v8, 0x1098, v10
	ds_read2_b32 v[8:9], v8 offset1:1
	v_dot4c_i32_i8_e32 v202, v167, v0
	v_dot4c_i32_i8_e32 v202, v168, v1
	v_mov_b32_e32 v205, 0
	v_mov_b32_e32 v206, 0
	s_waitcnt lgkmcnt(0)
	v_ashrrev_i32_e32 v8, s15, v8
	v_and_b32_e32 v169, 0x3030303, v8
	v_ashrrev_i32_e32 v8, s15, v9
	v_and_b32_e32 v170, 0x3030303, v8
	v_add3_u32 v8, s17, v151, v152
	ds_read_b32 v8, v8
	v_dot4c_i32_i8_e32 v202, v169, v2
	v_dot4c_i32_i8_e32 v202, v170, v3
	v_mov_b32_e32 v212, 0
	s_waitcnt lgkmcnt(0)
	v_cvt_f32_f16_e32 v112, v8
	v_cvt_f32_f16_sdwa v114, v8 dst_sel:DWORD dst_unused:UNUSED_PAD src0_sel:WORD_1
	v_add_u32_e32 v8, 0x2100, v10
	ds_read2_b32 v[8:9], v8 offset1:1
	s_waitcnt lgkmcnt(0)
	v_ashrrev_i32_e32 v8, s15, v8
	v_and_b32_e32 v186, 0x3030303, v8
	v_ashrrev_i32_e32 v8, s15, v9
	v_and_b32_e32 v183, 0x3030303, v8
	v_add_u32_e32 v8, 0x2108, v10
	ds_read2_b32 v[8:9], v8 offset1:1
	v_dot4c_i32_i8_e32 v204, v186, v4
	v_dot4c_i32_i8_e32 v204, v183, v5
	s_waitcnt lgkmcnt(0)
	v_ashrrev_i32_e32 v8, s15, v8
	v_and_b32_e32 v184, 0x3030303, v8
	v_ashrrev_i32_e32 v8, s15, v9
	v_and_b32_e32 v185, 0x3030303, v8
	v_add_u32_e32 v8, 0x2110, v10
	ds_read2_b32 v[8:9], v8 offset1:1
	v_dot4c_i32_i8_e32 v204, v184, v6
	v_dot4c_i32_i8_e32 v204, v185, v7
	;; [unrolled: 9-line block ×3, first 2 shown]
	s_waitcnt lgkmcnt(0)
	v_ashrrev_i32_e32 v8, s15, v8
	v_and_b32_e32 v180, 0x3030303, v8
	v_ashrrev_i32_e32 v8, s15, v9
	v_and_b32_e32 v181, 0x3030303, v8
	v_add3_u32 v8, s17, v153, v154
	ds_read_b32 v8, v8
	v_dot4c_i32_i8_e32 v207, v180, v2
	v_dot4c_i32_i8_e32 v207, v181, v3
	s_waitcnt lgkmcnt(0)
	v_cvt_f32_f16_e32 v116, v8
	v_cvt_f32_f16_sdwa v118, v8 dst_sel:DWORD dst_unused:UNUSED_PAD src0_sel:WORD_1
	v_add_u32_e32 v8, 0x3180, v10
	ds_read2_b32 v[8:9], v8 offset1:1
	s_waitcnt lgkmcnt(0)
	v_ashrrev_i32_e32 v8, s15, v8
	v_and_b32_e32 v190, 0x3030303, v8
	v_ashrrev_i32_e32 v8, s15, v9
	v_and_b32_e32 v187, 0x3030303, v8
	v_add_u32_e32 v8, 0x3188, v10
	ds_read2_b32 v[8:9], v8 offset1:1
	v_dot4c_i32_i8_e32 v205, v190, v4
	v_dot4c_i32_i8_e32 v205, v187, v5
	s_waitcnt lgkmcnt(0)
	v_ashrrev_i32_e32 v8, s15, v8
	v_and_b32_e32 v188, 0x3030303, v8
	v_ashrrev_i32_e32 v8, s15, v9
	v_and_b32_e32 v189, 0x3030303, v8
	v_add_u32_e32 v8, 0x3190, v10
	ds_read2_b32 v[8:9], v8 offset1:1
	v_dot4c_i32_i8_e32 v205, v188, v6
	v_dot4c_i32_i8_e32 v205, v189, v7
	;; [unrolled: 9-line block ×3, first 2 shown]
	s_waitcnt lgkmcnt(0)
	v_ashrrev_i32_e32 v8, s15, v8
	v_and_b32_e32 v161, 0x3030303, v8
	v_ashrrev_i32_e32 v8, s15, v9
	v_and_b32_e32 v162, 0x3030303, v8
	v_add3_u32 v8, s17, v155, v156
	ds_read_b32 v8, v8
	v_dot4c_i32_i8_e32 v206, v161, v2
	v_dot4c_i32_i8_e32 v206, v162, v3
	s_add_i32 s15, s14, 2
	s_cmp_lt_u32 s14, 30
	s_waitcnt lgkmcnt(0)
	v_cvt_f32_f16_e32 v104, v8
	v_cvt_f32_f16_sdwa v106, v8 dst_sel:DWORD dst_unused:UNUSED_PAD src0_sel:WORD_1
	ds_read_b128 v[12:15], v113 offset:1024
	ds_read_b128 v[8:11], v113 offset:1040
	ds_read_u16 v123, v123 offset:25072
	s_mov_b32 s14, s15
	s_waitcnt lgkmcnt(2)
	v_dot4c_i32_i8_e32 v199, v177, v12
	v_dot4c_i32_i8_e32 v199, v171, v13
	s_waitcnt lgkmcnt(0)
	v_bfe_u32 v191, v123, 4, 4
	v_mul_lo_u32 v194, v191, s9
	v_dot4c_i32_i8_e32 v210, v194, v4
	v_dot4c_i32_i8_e32 v211, v194, v12
	;; [unrolled: 1-line block ×5, first 2 shown]
	v_lshrrev_b32_sdwa v191, v157, v123 dst_sel:DWORD dst_unused:UNUSED_PAD src0_sel:DWORD src1_sel:BYTE_1
	v_dot4c_i32_i8_e32 v211, v194, v14
	v_dot4c_i32_i8_e32 v210, v194, v7
	v_mul_lo_u32 v193, v191, s9
	v_dot4c_i32_i8_e32 v211, v194, v15
	v_dot4c_i32_i8_e32 v203, v163, v8
	v_dot4c_i32_i8_e32 v210, v193, v0
	v_dot4c_i32_i8_e32 v211, v193, v8
	v_dot4c_i32_i8_e32 v199, v172, v14
	v_dot4c_i32_i8_e32 v203, v164, v9
	v_dot4c_i32_i8_e32 v210, v193, v1
	v_and_b32_sdwa v191, v123, v158 dst_sel:DWORD dst_unused:UNUSED_PAD src0_sel:BYTE_1 src1_sel:DWORD
	v_and_b32_e32 v123, 15, v123
	v_dot4c_i32_i8_e32 v211, v193, v9
	v_dot4c_i32_i8_e32 v199, v173, v15
	;; [unrolled: 1-line block ×4, first 2 shown]
	v_and_b32_e32 v192, 0xffff, v123
	v_and_b32_e32 v191, 0xffff, v191
	v_dot4c_i32_i8_e32 v211, v193, v10
	v_dot4c_i32_i8_e32 v203, v166, v11
	;; [unrolled: 1-line block ×3, first 2 shown]
	v_mul_lo_u32 v198, v197, v191
	v_mul_lo_u32 v208, v199, v192
	v_dot4c_i32_i8_e32 v211, v193, v11
	v_mad_u64_u32 v[208:209], s[16:17], v203, v191, v[208:209]
	v_mad_u64_u32 v[122:123], s[16:17], v122, v192, v[198:199]
	v_cvt_f32_i32_e32 v199, v210
	v_cvt_f32_i32_e32 v198, v211
	;; [unrolled: 1-line block ×4, first 2 shown]
	v_mov_b32_e32 v208, 0
	v_pk_mul_f32 v[198:199], v[110:111], v[198:199] op_sel_hi:[0,1]
	v_mov_b32_e32 v209, 0
	v_pk_fma_f32 v[198:199], v[108:109], v[122:123], v[198:199] op_sel_hi:[0,1,1] neg_lo:[0,0,1] neg_hi:[0,0,1]
	v_mov_b32_e32 v123, v120
	ds_read_u16 v120, v195 offset:26096
	v_mov_b32_e32 v122, v121
	v_pk_fma_f32 v[54:55], v[122:123], v[198:199], v[54:55]
	v_mov_b32_e32 v121, 0
	v_dot4c_i32_i8_e32 v121, v182, v12
	s_waitcnt lgkmcnt(0)
	v_bfe_u32 v195, v120, 4, 4
	v_mul_lo_u32 v199, v195, s9
	v_dot4c_i32_i8_e32 v208, v199, v4
	v_dot4c_i32_i8_e32 v209, v199, v12
	;; [unrolled: 1-line block ×4, first 2 shown]
	v_mov_b32_e32 v203, 0
	v_dot4c_i32_i8_e32 v208, v199, v6
	v_lshrrev_b32_sdwa v195, v157, v120 dst_sel:DWORD dst_unused:UNUSED_PAD src0_sel:DWORD src1_sel:BYTE_1
	v_dot4c_i32_i8_e32 v209, v199, v14
	v_dot4c_i32_i8_e32 v121, v174, v13
	;; [unrolled: 1-line block ×4, first 2 shown]
	v_mul_lo_u32 v198, v195, s9
	v_dot4c_i32_i8_e32 v209, v199, v15
	v_dot4c_i32_i8_e32 v121, v178, v14
	;; [unrolled: 1-line block ×4, first 2 shown]
	v_and_b32_sdwa v195, v120, v158 dst_sel:DWORD dst_unused:UNUSED_PAD src0_sel:BYTE_1 src1_sel:DWORD
	v_and_b32_e32 v120, 15, v120
	v_dot4c_i32_i8_e32 v209, v198, v8
	v_dot4c_i32_i8_e32 v121, v179, v15
	;; [unrolled: 1-line block ×4, first 2 shown]
	v_and_b32_e32 v197, 0xffff, v120
	v_and_b32_e32 v195, 0xffff, v195
	v_dot4c_i32_i8_e32 v209, v198, v9
	v_dot4c_i32_i8_e32 v203, v170, v11
	;; [unrolled: 1-line block ×3, first 2 shown]
	v_mul_lo_u32 v120, v202, v195
	v_mul_lo_u32 v202, v121, v197
	v_dot4c_i32_i8_e32 v209, v198, v10
                                        ; kill: def $vgpr121 killed $sgpr0 killed $exec
	v_dot4c_i32_i8_e32 v208, v198, v3
	v_dot4c_i32_i8_e32 v209, v198, v11
	v_mad_u64_u32 v[202:203], s[16:17], v203, v195, v[202:203]
	v_mad_u64_u32 v[120:121], s[16:17], v201, v197, v[120:121]
	v_cvt_f32_i32_e32 v121, v120
	v_cvt_f32_i32_e32 v120, v202
	v_cvt_f32_i32_e32 v203, v208
	v_cvt_f32_i32_e32 v202, v209
	v_mov_b32_e32 v210, 0
	v_mov_b32_e32 v211, 0
	;; [unrolled: 1-line block ×3, first 2 shown]
	v_pk_mul_f32 v[202:203], v[114:115], v[202:203] op_sel_hi:[0,1]
	v_pk_fma_f32 v[120:121], v[112:113], v[120:121], v[202:203] op_sel_hi:[0,1,1] neg_lo:[0,0,1] neg_hi:[0,0,1]
	v_pk_fma_f32 v[68:69], v[122:123], v[120:121], v[68:69]
	ds_read_u16 v120, v200 offset:27120
	v_mov_b32_e32 v121, 0
	v_dot4c_i32_i8_e32 v121, v186, v12
	v_dot4c_i32_i8_e32 v121, v183, v13
	;; [unrolled: 1-line block ×3, first 2 shown]
	s_waitcnt lgkmcnt(0)
	v_bfe_u32 v200, v120, 4, 4
	v_mul_lo_u32 v203, v200, s9
	v_dot4c_i32_i8_e32 v210, v203, v4
	v_dot4c_i32_i8_e32 v211, v203, v12
	;; [unrolled: 1-line block ×5, first 2 shown]
	v_lshrrev_b32_sdwa v200, v157, v120 dst_sel:DWORD dst_unused:UNUSED_PAD src0_sel:DWORD src1_sel:BYTE_1
	v_dot4c_i32_i8_e32 v211, v203, v14
	v_dot4c_i32_i8_e32 v210, v203, v7
	v_mul_lo_u32 v202, v200, s9
	v_dot4c_i32_i8_e32 v211, v203, v15
	v_dot4c_i32_i8_e32 v121, v184, v14
	;; [unrolled: 1-line block ×4, first 2 shown]
	v_and_b32_sdwa v200, v120, v158 dst_sel:DWORD dst_unused:UNUSED_PAD src0_sel:BYTE_1 src1_sel:DWORD
	v_and_b32_e32 v120, 15, v120
	v_dot4c_i32_i8_e32 v211, v202, v8
	v_dot4c_i32_i8_e32 v121, v185, v15
	;; [unrolled: 1-line block ×4, first 2 shown]
	v_and_b32_e32 v201, 0xffff, v120
	v_and_b32_e32 v200, 0xffff, v200
	v_dot4c_i32_i8_e32 v211, v202, v9
	v_dot4c_i32_i8_e32 v209, v181, v11
	;; [unrolled: 1-line block ×3, first 2 shown]
	v_mul_lo_u32 v120, v207, v200
	v_mul_lo_u32 v208, v121, v201
	v_dot4c_i32_i8_e32 v211, v202, v10
                                        ; kill: def $vgpr121 killed $sgpr0 killed $exec
	v_dot4c_i32_i8_e32 v210, v202, v3
	v_dot4c_i32_i8_e32 v211, v202, v11
	v_mad_u64_u32 v[208:209], s[16:17], v209, v200, v[208:209]
	v_mad_u64_u32 v[120:121], s[16:17], v204, v201, v[120:121]
	v_cvt_f32_i32_e32 v121, v120
	v_cvt_f32_i32_e32 v120, v208
	;; [unrolled: 1-line block ×4, first 2 shown]
	v_mov_b32_e32 v207, 0
	v_dot4c_i32_i8_e32 v207, v190, v12
	v_dot4c_i32_i8_e32 v207, v187, v13
	v_pk_mul_f32 v[208:209], v[118:119], v[208:209] op_sel_hi:[0,1]
	v_pk_fma_f32 v[120:121], v[116:117], v[120:121], v[208:209] op_sel_hi:[0,1,1] neg_lo:[0,0,1] neg_hi:[0,0,1]
	v_pk_fma_f32 v[64:65], v[122:123], v[120:121], v[64:65]
	ds_read_u16 v120, v196 offset:28144
	v_mov_b32_e32 v209, 0
	v_mov_b32_e32 v208, 0
	v_dot4c_i32_i8_e32 v208, v159, v8
	v_dot4c_i32_i8_e32 v207, v188, v14
	s_waitcnt lgkmcnt(0)
	v_bfe_u32 v121, v120, 4, 4
	v_mul_lo_u32 v204, v121, s9
	v_dot4c_i32_i8_e32 v209, v204, v4
	v_lshrrev_b32_sdwa v4, v157, v120 dst_sel:DWORD dst_unused:UNUSED_PAD src0_sel:DWORD src1_sel:BYTE_1
	v_mul_lo_u32 v196, v4, s9
	v_mov_b32_e32 v4, 0
	v_dot4c_i32_i8_e32 v209, v204, v5
	v_dot4c_i32_i8_e32 v4, v204, v12
	;; [unrolled: 1-line block ×10, first 2 shown]
	v_and_b32_sdwa v0, v120, v158 dst_sel:DWORD dst_unused:UNUSED_PAD src0_sel:BYTE_1 src1_sel:DWORD
	v_and_b32_e32 v1, 15, v120
	v_dot4c_i32_i8_e32 v4, v196, v8
	v_dot4c_i32_i8_e32 v207, v189, v15
	;; [unrolled: 1-line block ×3, first 2 shown]
	v_and_b32_e32 v121, 0xffff, v1
	v_and_b32_e32 v120, 0xffff, v0
	v_dot4c_i32_i8_e32 v4, v196, v9
	v_dot4c_i32_i8_e32 v208, v162, v11
	;; [unrolled: 1-line block ×3, first 2 shown]
	v_mul_lo_u32 v0, v206, v120
	v_mul_lo_u32 v2, v207, v121
	v_dot4c_i32_i8_e32 v4, v196, v10
                                        ; kill: def $vgpr1 killed $sgpr0 killed $exec
	v_dot4c_i32_i8_e32 v209, v196, v3
	v_dot4c_i32_i8_e32 v4, v196, v11
	v_mad_u64_u32 v[2:3], s[16:17], v208, v120, v[2:3]
	v_mad_u64_u32 v[0:1], s[16:17], v205, v121, v[0:1]
	v_cvt_f32_i32_e32 v1, v0
	v_cvt_f32_i32_e32 v0, v2
	v_cvt_f32_i32_e32 v3, v209
	v_cvt_f32_i32_e32 v2, v4
	v_mov_b32_e32 v205, 0
	v_mov_b32_e32 v207, 0
	;; [unrolled: 1-line block ×3, first 2 shown]
	v_pk_mul_f32 v[2:3], v[106:107], v[2:3] op_sel_hi:[0,1]
	v_pk_fma_f32 v[0:1], v[104:105], v[0:1], v[2:3] op_sel_hi:[0,1,1] neg_lo:[0,0,1] neg_hi:[0,0,1]
	v_pk_fma_f32 v[62:63], v[122:123], v[0:1], v[62:63]
	ds_read2_b32 v[8:9], v115 offset0:64 offset1:96
	ds_read_b128 v[4:7], v113 offset:2048
	ds_read_b128 v[0:3], v113 offset:2064
	v_mov_b32_e32 v10, 0
	v_mov_b32_e32 v15, 0
	;; [unrolled: 1-line block ×3, first 2 shown]
	s_waitcnt lgkmcnt(1)
	v_dot4c_i32_i8_e32 v205, v194, v4
	v_dot4c_i32_i8_e32 v207, v199, v4
	;; [unrolled: 1-line block ×13, first 2 shown]
	v_mov_b32_e32 v206, 0
	v_dot4c_i32_i8_e32 v207, v199, v7
	v_mov_b32_e32 v208, 0
	v_mov_b32_e32 v13, 0
	v_dot4c_i32_i8_e32 v12, v203, v7
	v_mov_b32_e32 v209, 0
	;; [unrolled: 3-line block ×3, first 2 shown]
	v_dot4c_i32_i8_e32 v15, v177, v4
	s_waitcnt lgkmcnt(0)
	v_dot4c_i32_i8_e32 v122, v163, v0
	v_dot4c_i32_i8_e32 v205, v193, v0
	;; [unrolled: 1-line block ×47, first 2 shown]
	ds_read_b128 v[4:7], v113 offset:3072
	ds_read_b128 v[0:3], v113 offset:3088
	v_mov_b32_e32 v211, 0
	v_mov_b32_e32 v14, 0
	v_mul_lo_u32 v122, v122, v191
	s_waitcnt lgkmcnt(1)
	v_dot4c_i32_i8_e32 v211, v194, v4
	v_dot4c_i32_i8_e32 v211, v194, v5
	;; [unrolled: 1-line block ×6, first 2 shown]
	s_waitcnt lgkmcnt(0)
	v_dot4c_i32_i8_e32 v212, v163, v0
	v_dot4c_i32_i8_e32 v14, v172, v6
	;; [unrolled: 1-line block ×7, first 2 shown]
                                        ; kill: def $vgpr123 killed $sgpr0 killed $exec
	v_dot4c_i32_i8_e32 v211, v193, v2
	v_dot4c_i32_i8_e32 v212, v166, v3
	v_mul_lo_u32 v14, v14, v192
	v_mad_u64_u32 v[122:123], s[16:17], v15, v192, v[122:123]
                                        ; kill: def $vgpr15 killed $sgpr0 killed $exec
	v_dot4c_i32_i8_e32 v211, v193, v3
	v_mad_u64_u32 v[14:15], s[16:17], v212, v191, v[14:15]
	v_cvt_f32_i32_e32 v15, v14
	v_cvt_f32_i32_e32 v14, v122
	;; [unrolled: 1-line block ×4, first 2 shown]
	v_mov_b32_e32 v205, 0
	v_dot4c_i32_i8_e32 v205, v199, v4
	v_dot4c_i32_i8_e32 v205, v199, v5
	v_pk_mul_f32 v[122:123], v[110:111], v[122:123] op_sel_hi:[0,1]
	v_pk_fma_f32 v[14:15], v[108:109], v[14:15], v[122:123] op_sel_hi:[0,1,1] neg_lo:[0,0,1] neg_hi:[0,0,1]
	v_pk_fma_f32 v[44:45], v[8:9], v[14:15], v[44:45]
	v_mov_b32_e32 v14, 0
	v_dot4c_i32_i8_e32 v14, v182, v4
	v_dot4c_i32_i8_e32 v205, v199, v6
	v_mov_b32_e32 v15, 0
	v_dot4c_i32_i8_e32 v14, v174, v5
	v_dot4c_i32_i8_e32 v205, v199, v7
	;; [unrolled: 1-line block ×11, first 2 shown]
	v_mul_lo_u32 v14, v14, v197
	v_mul_lo_u32 v122, v208, v195
                                        ; kill: def $vgpr123 killed $sgpr0 killed $exec
	v_dot4c_i32_i8_e32 v205, v198, v3
	v_mad_u64_u32 v[122:123], s[16:17], v206, v197, v[122:123]
	v_mad_u64_u32 v[14:15], s[16:17], v15, v195, v[14:15]
	v_cvt_f32_i32_e32 v15, v14
	v_cvt_f32_i32_e32 v14, v122
	v_cvt_f32_i32_e32 v123, v205
	v_cvt_f32_i32_e32 v122, v207
	v_mov_b32_e32 v205, 0
	v_dot4c_i32_i8_e32 v205, v203, v4
	v_dot4c_i32_i8_e32 v205, v203, v5
	v_pk_mul_f32 v[122:123], v[114:115], v[122:123] op_sel_hi:[0,1]
	v_pk_fma_f32 v[14:15], v[112:113], v[14:15], v[122:123] op_sel_hi:[0,1,1] neg_lo:[0,0,1] neg_hi:[0,0,1]
	v_pk_fma_f32 v[36:37], v[8:9], v[14:15], v[36:37]
	v_mov_b32_e32 v14, 0
	v_dot4c_i32_i8_e32 v205, v203, v6
	v_dot4c_i32_i8_e32 v14, v186, v4
	;; [unrolled: 1-line block ×3, first 2 shown]
	v_mov_b32_e32 v15, 0
	v_dot4c_i32_i8_e32 v14, v183, v5
	v_dot4c_i32_i8_e32 v15, v175, v0
	;; [unrolled: 1-line block ×11, first 2 shown]
	v_mul_lo_u32 v14, v14, v201
	v_mul_lo_u32 v122, v209, v200
                                        ; kill: def $vgpr123 killed $sgpr0 killed $exec
	v_mad_u64_u32 v[14:15], s[16:17], v15, v200, v[14:15]
	v_mad_u64_u32 v[122:123], s[16:17], v13, v201, v[122:123]
	v_cvt_f32_i32_e32 v13, v205
	v_cvt_f32_i32_e32 v12, v12
	;; [unrolled: 1-line block ×4, first 2 shown]
	v_mov_b32_e32 v205, 0
	v_pk_mul_f32 v[12:13], v[118:119], v[12:13] op_sel_hi:[0,1]
	v_mov_b32_e32 v207, 0
	v_pk_fma_f32 v[12:13], v[116:117], v[14:15], v[12:13] op_sel_hi:[0,1,1] neg_lo:[0,0,1] neg_hi:[0,0,1]
	v_pk_fma_f32 v[34:35], v[8:9], v[12:13], v[34:35]
	v_mov_b32_e32 v13, 0
	v_dot4c_i32_i8_e32 v13, v204, v4
	v_mov_b32_e32 v12, 0
	v_dot4c_i32_i8_e32 v13, v204, v5
	v_dot4c_i32_i8_e32 v12, v190, v4
	;; [unrolled: 1-line block ×3, first 2 shown]
	v_mov_b32_e32 v4, 0
	v_dot4c_i32_i8_e32 v12, v187, v5
	v_dot4c_i32_i8_e32 v13, v204, v7
	;; [unrolled: 1-line block ×11, first 2 shown]
	v_mul_lo_u32 v0, v12, v121
	v_mul_lo_u32 v2, v210, v120
                                        ; kill: def $vgpr1 killed $sgpr0 killed $exec
	v_dot4c_i32_i8_e32 v13, v196, v3
	v_mad_u64_u32 v[2:3], s[16:17], v11, v121, v[2:3]
	v_mad_u64_u32 v[0:1], s[16:17], v4, v120, v[0:1]
	v_cvt_f32_i32_e32 v1, v0
	v_cvt_f32_i32_e32 v0, v2
	;; [unrolled: 1-line block ×4, first 2 shown]
	v_mov_b32_e32 v12, 0
	v_mov_b32_e32 v10, 0
	;; [unrolled: 1-line block ×3, first 2 shown]
	v_pk_mul_f32 v[2:3], v[106:107], v[2:3] op_sel_hi:[0,1]
	v_pk_fma_f32 v[0:1], v[104:105], v[0:1], v[2:3] op_sel_hi:[0,1,1] neg_lo:[0,0,1] neg_hi:[0,0,1]
	v_pk_fma_f32 v[32:33], v[8:9], v[0:1], v[32:33]
	ds_read2_b32 v[8:9], v115 offset0:128 offset1:160
	ds_read_b128 v[4:7], v113 offset:4096
	ds_read_b128 v[0:3], v113 offset:4112
	v_mov_b32_e32 v122, 0
	v_mov_b32_e32 v206, 0
	;; [unrolled: 1-line block ×3, first 2 shown]
	s_waitcnt lgkmcnt(1)
	v_dot4c_i32_i8_e32 v205, v194, v4
	v_dot4c_i32_i8_e32 v207, v199, v4
	;; [unrolled: 1-line block ×14, first 2 shown]
	v_mov_b32_e32 v13, 0
	v_dot4c_i32_i8_e32 v12, v203, v7
	v_mov_b32_e32 v209, 0
	v_mov_b32_e32 v11, 0
	v_dot4c_i32_i8_e32 v10, v204, v7
	v_mov_b32_e32 v210, 0
	v_dot4c_i32_i8_e32 v15, v177, v4
	s_waitcnt lgkmcnt(0)
	v_dot4c_i32_i8_e32 v122, v163, v0
	v_dot4c_i32_i8_e32 v205, v193, v0
	;; [unrolled: 1-line block ×47, first 2 shown]
	ds_read_b128 v[4:7], v113 offset:5120
	ds_read_b128 v[0:3], v113 offset:5136
	v_mov_b32_e32 v211, 0
	v_mov_b32_e32 v14, 0
	;; [unrolled: 1-line block ×3, first 2 shown]
	s_waitcnt lgkmcnt(1)
	v_dot4c_i32_i8_e32 v211, v194, v4
	v_dot4c_i32_i8_e32 v211, v194, v5
	v_dot4c_i32_i8_e32 v14, v177, v4
	v_dot4c_i32_i8_e32 v211, v194, v6
	v_dot4c_i32_i8_e32 v14, v171, v5
	v_dot4c_i32_i8_e32 v211, v194, v7
	s_waitcnt lgkmcnt(0)
	v_dot4c_i32_i8_e32 v212, v163, v0
	v_dot4c_i32_i8_e32 v14, v172, v6
	;; [unrolled: 1-line block ×7, first 2 shown]
	v_mul_lo_u32 v122, v122, v191
                                        ; kill: def $vgpr123 killed $sgpr0 killed $exec
	v_dot4c_i32_i8_e32 v211, v193, v2
	v_dot4c_i32_i8_e32 v212, v166, v3
	v_mul_lo_u32 v14, v14, v192
	v_mad_u64_u32 v[122:123], s[16:17], v15, v192, v[122:123]
                                        ; kill: def $vgpr15 killed $sgpr0 killed $exec
	v_dot4c_i32_i8_e32 v211, v193, v3
	v_mad_u64_u32 v[14:15], s[16:17], v212, v191, v[14:15]
	v_cvt_f32_i32_e32 v15, v14
	v_cvt_f32_i32_e32 v14, v122
	;; [unrolled: 1-line block ×4, first 2 shown]
	v_mov_b32_e32 v205, 0
	v_dot4c_i32_i8_e32 v205, v199, v4
	v_dot4c_i32_i8_e32 v205, v199, v5
	v_pk_mul_f32 v[122:123], v[110:111], v[122:123] op_sel_hi:[0,1]
	v_pk_fma_f32 v[14:15], v[108:109], v[14:15], v[122:123] op_sel_hi:[0,1,1] neg_lo:[0,0,1] neg_hi:[0,0,1]
	v_pk_fma_f32 v[30:31], v[8:9], v[14:15], v[30:31]
	v_mov_b32_e32 v14, 0
	v_dot4c_i32_i8_e32 v14, v182, v4
	v_dot4c_i32_i8_e32 v205, v199, v6
	v_mov_b32_e32 v15, 0
	v_dot4c_i32_i8_e32 v14, v174, v5
	v_dot4c_i32_i8_e32 v205, v199, v7
	;; [unrolled: 1-line block ×11, first 2 shown]
	v_mul_lo_u32 v14, v14, v197
	v_mul_lo_u32 v122, v208, v195
                                        ; kill: def $vgpr123 killed $sgpr0 killed $exec
	v_dot4c_i32_i8_e32 v205, v198, v3
	v_mad_u64_u32 v[122:123], s[16:17], v206, v197, v[122:123]
	v_mad_u64_u32 v[14:15], s[16:17], v15, v195, v[14:15]
	v_cvt_f32_i32_e32 v15, v14
	v_cvt_f32_i32_e32 v14, v122
	;; [unrolled: 1-line block ×4, first 2 shown]
	v_mov_b32_e32 v205, 0
	v_dot4c_i32_i8_e32 v205, v203, v4
	v_dot4c_i32_i8_e32 v205, v203, v5
	v_pk_mul_f32 v[122:123], v[114:115], v[122:123] op_sel_hi:[0,1]
	v_pk_fma_f32 v[14:15], v[112:113], v[14:15], v[122:123] op_sel_hi:[0,1,1] neg_lo:[0,0,1] neg_hi:[0,0,1]
	v_pk_fma_f32 v[28:29], v[8:9], v[14:15], v[28:29]
	v_mov_b32_e32 v14, 0
	v_dot4c_i32_i8_e32 v205, v203, v6
	v_dot4c_i32_i8_e32 v14, v186, v4
	;; [unrolled: 1-line block ×3, first 2 shown]
	v_mov_b32_e32 v15, 0
	v_dot4c_i32_i8_e32 v14, v183, v5
	v_dot4c_i32_i8_e32 v15, v175, v0
	;; [unrolled: 1-line block ×11, first 2 shown]
	v_mul_lo_u32 v14, v14, v201
	v_mul_lo_u32 v122, v209, v200
                                        ; kill: def $vgpr123 killed $sgpr0 killed $exec
	v_mad_u64_u32 v[14:15], s[16:17], v15, v200, v[14:15]
	v_mad_u64_u32 v[122:123], s[16:17], v13, v201, v[122:123]
	v_cvt_f32_i32_e32 v13, v205
	v_cvt_f32_i32_e32 v12, v12
	;; [unrolled: 1-line block ×4, first 2 shown]
	v_mov_b32_e32 v205, 0
	v_pk_mul_f32 v[12:13], v[118:119], v[12:13] op_sel_hi:[0,1]
	v_mov_b32_e32 v207, 0
	v_pk_fma_f32 v[12:13], v[116:117], v[14:15], v[12:13] op_sel_hi:[0,1,1] neg_lo:[0,0,1] neg_hi:[0,0,1]
	v_pk_fma_f32 v[26:27], v[8:9], v[12:13], v[26:27]
	v_mov_b32_e32 v13, 0
	v_dot4c_i32_i8_e32 v13, v204, v4
	v_mov_b32_e32 v12, 0
	v_dot4c_i32_i8_e32 v13, v204, v5
	v_dot4c_i32_i8_e32 v12, v190, v4
	;; [unrolled: 1-line block ×3, first 2 shown]
	v_mov_b32_e32 v4, 0
	v_dot4c_i32_i8_e32 v12, v187, v5
	v_dot4c_i32_i8_e32 v13, v204, v7
	;; [unrolled: 1-line block ×11, first 2 shown]
	v_mul_lo_u32 v0, v12, v121
	v_mul_lo_u32 v2, v210, v120
                                        ; kill: def $vgpr1 killed $sgpr0 killed $exec
	v_dot4c_i32_i8_e32 v13, v196, v3
	v_mad_u64_u32 v[2:3], s[16:17], v11, v121, v[2:3]
	v_mad_u64_u32 v[0:1], s[16:17], v4, v120, v[0:1]
	v_cvt_f32_i32_e32 v1, v0
	v_cvt_f32_i32_e32 v0, v2
	v_cvt_f32_i32_e32 v3, v13
	v_cvt_f32_i32_e32 v2, v10
	v_mov_b32_e32 v13, 0
	v_mov_b32_e32 v10, 0
	;; [unrolled: 1-line block ×3, first 2 shown]
	v_pk_mul_f32 v[2:3], v[106:107], v[2:3] op_sel_hi:[0,1]
	v_pk_fma_f32 v[0:1], v[104:105], v[0:1], v[2:3] op_sel_hi:[0,1,1] neg_lo:[0,0,1] neg_hi:[0,0,1]
	v_pk_fma_f32 v[24:25], v[8:9], v[0:1], v[24:25]
	ds_read2_b32 v[8:9], v115 offset0:192 offset1:224
	ds_read_b128 v[4:7], v113 offset:6144
	ds_read_b128 v[0:3], v113 offset:6160
	v_mov_b32_e32 v123, 0
	v_mov_b32_e32 v206, 0
	;; [unrolled: 1-line block ×3, first 2 shown]
	s_waitcnt lgkmcnt(1)
	v_dot4c_i32_i8_e32 v205, v194, v4
	v_dot4c_i32_i8_e32 v207, v199, v4
	v_dot4c_i32_i8_e32 v13, v203, v4
	v_dot4c_i32_i8_e32 v10, v204, v4
	v_dot4c_i32_i8_e32 v205, v194, v5
	v_dot4c_i32_i8_e32 v207, v199, v5
	v_dot4c_i32_i8_e32 v13, v203, v5
	v_dot4c_i32_i8_e32 v10, v204, v5
	v_dot4c_i32_i8_e32 v205, v194, v6
	v_dot4c_i32_i8_e32 v207, v199, v6
	v_dot4c_i32_i8_e32 v13, v203, v6
	v_dot4c_i32_i8_e32 v10, v204, v6
	v_dot4c_i32_i8_e32 v205, v194, v7
	v_dot4c_i32_i8_e32 v207, v199, v7
	v_mov_b32_e32 v14, 0
	v_dot4c_i32_i8_e32 v13, v203, v7
	v_mov_b32_e32 v209, 0
	v_mov_b32_e32 v11, 0
	v_dot4c_i32_i8_e32 v10, v204, v7
	v_mov_b32_e32 v12, 0
	v_dot4c_i32_i8_e32 v15, v177, v4
	s_waitcnt lgkmcnt(0)
	v_dot4c_i32_i8_e32 v123, v163, v0
	v_dot4c_i32_i8_e32 v205, v193, v0
	;; [unrolled: 1-line block ×47, first 2 shown]
	ds_read_b128 v[4:7], v113 offset:7168
	ds_read_b128 v[0:3], v113 offset:7184
	v_mov_b32_e32 v122, 0
	s_waitcnt lgkmcnt(1)
	v_dot4c_i32_i8_e32 v122, v177, v4
	v_mov_b32_e32 v177, 0
	v_dot4c_i32_i8_e32 v177, v194, v4
	v_dot4c_i32_i8_e32 v177, v194, v5
	;; [unrolled: 1-line block ×4, first 2 shown]
	v_mov_b32_e32 v171, 0
	v_dot4c_i32_i8_e32 v177, v194, v7
	s_waitcnt lgkmcnt(0)
	v_dot4c_i32_i8_e32 v171, v163, v0
	v_dot4c_i32_i8_e32 v122, v172, v6
	;; [unrolled: 1-line block ×9, first 2 shown]
	v_mul_lo_u32 v122, v122, v192
	v_mul_lo_u32 v164, v123, v191
                                        ; kill: def $vgpr123 killed $sgpr0 killed $exec
	v_dot4c_i32_i8_e32 v177, v193, v3
	v_mad_u64_u32 v[164:165], s[16:17], v15, v192, v[164:165]
	v_mad_u64_u32 v[122:123], s[16:17], v171, v191, v[122:123]
	v_cvt_f32_i32_e32 v123, v122
	v_cvt_f32_i32_e32 v122, v164
	;; [unrolled: 1-line block ×4, first 2 shown]
	v_mov_b32_e32 v163, 0
	v_dot4c_i32_i8_e32 v163, v199, v4
	v_mov_b32_e32 v15, 0
	v_pk_mul_f32 v[164:165], v[110:111], v[164:165] op_sel_hi:[0,1]
	v_dot4c_i32_i8_e32 v163, v199, v5
	v_pk_fma_f32 v[122:123], v[108:109], v[122:123], v[164:165] op_sel_hi:[0,1,1] neg_lo:[0,0,1] neg_hi:[0,0,1]
	v_dot4c_i32_i8_e32 v15, v182, v4
	v_dot4c_i32_i8_e32 v163, v199, v6
	v_mov_b32_e32 v164, 0
	v_dot4c_i32_i8_e32 v15, v174, v5
	v_dot4c_i32_i8_e32 v163, v199, v7
	;; [unrolled: 1-line block ×11, first 2 shown]
	v_mul_lo_u32 v108, v15, v197
	v_mul_lo_u32 v110, v208, v195
	v_pk_fma_f32 v[22:23], v[8:9], v[122:123], v[22:23]
	v_dot4c_i32_i8_e32 v163, v198, v3
	v_mad_u64_u32 v[122:123], s[16:17], v206, v197, v[110:111]
	v_mad_u64_u32 v[164:165], s[16:17], v164, v195, v[108:109]
	v_cvt_f32_i32_e32 v123, v164
	v_cvt_f32_i32_e32 v165, v163
	;; [unrolled: 1-line block ×4, first 2 shown]
	v_mov_b32_e32 v15, 0
	v_dot4c_i32_i8_e32 v15, v186, v4
	v_pk_mul_f32 v[164:165], v[114:115], v[164:165] op_sel_hi:[0,1]
	v_pk_fma_f32 v[122:123], v[112:113], v[122:123], v[164:165] op_sel_hi:[0,1,1] neg_lo:[0,0,1] neg_hi:[0,0,1]
	v_mov_b32_e32 v112, 0
	v_dot4c_i32_i8_e32 v112, v203, v4
	v_dot4c_i32_i8_e32 v112, v203, v5
	;; [unrolled: 1-line block ×3, first 2 shown]
	v_mov_b32_e32 v114, 0
	v_dot4c_i32_i8_e32 v15, v183, v5
	v_dot4c_i32_i8_e32 v112, v203, v7
	;; [unrolled: 1-line block ×11, first 2 shown]
	v_mul_lo_u32 v108, v15, v201
	v_mul_lo_u32 v110, v209, v200
	v_pk_fma_f32 v[20:21], v[8:9], v[122:123], v[20:21]
	v_dot4c_i32_i8_e32 v112, v202, v3
	v_mad_u64_u32 v[14:15], s[16:17], v14, v201, v[110:111]
	v_mad_u64_u32 v[122:123], s[16:17], v114, v200, v[108:109]
	v_cvt_f32_i32_e32 v15, v122
	v_cvt_f32_i32_e32 v123, v112
	;; [unrolled: 1-line block ×4, first 2 shown]
	v_mov_b32_e32 v13, 0
	v_dot4c_i32_i8_e32 v13, v190, v4
	v_pk_mul_f32 v[122:123], v[118:119], v[122:123] op_sel_hi:[0,1]
	v_pk_fma_f32 v[14:15], v[116:117], v[14:15], v[122:123] op_sel_hi:[0,1,1] neg_lo:[0,0,1] neg_hi:[0,0,1]
	v_pk_fma_f32 v[18:19], v[8:9], v[14:15], v[18:19]
	v_mov_b32_e32 v14, 0
	v_dot4c_i32_i8_e32 v14, v204, v4
	v_dot4c_i32_i8_e32 v14, v204, v5
	;; [unrolled: 1-line block ×3, first 2 shown]
	v_mov_b32_e32 v4, 0
	v_dot4c_i32_i8_e32 v13, v187, v5
	v_dot4c_i32_i8_e32 v14, v204, v7
	;; [unrolled: 1-line block ×11, first 2 shown]
	v_mul_lo_u32 v0, v13, v121
	v_mul_lo_u32 v2, v12, v120
                                        ; kill: def $vgpr1 killed $sgpr0 killed $exec
	v_dot4c_i32_i8_e32 v14, v196, v3
	v_mad_u64_u32 v[2:3], s[16:17], v11, v121, v[2:3]
	v_mad_u64_u32 v[0:1], s[16:17], v4, v120, v[0:1]
	v_cvt_f32_i32_e32 v1, v0
	v_cvt_f32_i32_e32 v0, v2
	;; [unrolled: 1-line block ×4, first 2 shown]
	v_add_u32_e32 v115, 4, v115
	v_add_u32_e32 v113, 32, v113
	v_pk_mul_f32 v[2:3], v[106:107], v[2:3] op_sel_hi:[0,1]
	v_pk_fma_f32 v[0:1], v[104:105], v[0:1], v[2:3] op_sel_hi:[0,1,1] neg_lo:[0,0,1] neg_hi:[0,0,1]
	v_pk_fma_f32 v[16:17], v[8:9], v[0:1], v[16:17]
	s_cbranch_scc1 .LBB127_14
; %bb.15:                               ;   in Loop: Header=BB127_6 Depth=1
	s_barrier
	s_branch .LBB127_5
.LBB127_16:
	v_mov_b32_e32 v16, 0
	v_mov_b32_e32 v17, v16
	v_mov_b64_e32 v[24:25], v[16:17]
	v_mov_b64_e32 v[32:33], v[16:17]
	;; [unrolled: 1-line block ×15, first 2 shown]
	v_cmp_gt_u32_e32 vcc, s8, v49
	s_and_saveexec_b64 s[0:1], vcc
	s_cbranch_execnz .LBB127_19
.LBB127_17:
	s_endpgm
.LBB127_18:
	v_mov_b32_e32 v1, v43
	v_cmp_gt_u32_e32 vcc, s8, v49
	s_and_saveexec_b64 s[0:1], vcc
	s_cbranch_execz .LBB127_17
.LBB127_19:
	v_add_u32_e32 v0, s6, v39
	v_mul_lo_u32 v5, v49, s10
	v_cmp_gt_u32_e32 vcc, s10, v0
	s_and_saveexec_b64 s[0:1], vcc
	s_cbranch_execz .LBB127_21
; %bb.20:
	v_add_u32_e32 v2, v0, v5
	v_mov_b32_e32 v3, 0
	s_waitcnt lgkmcnt(0)
	v_lshl_add_u64 v[2:3], v[2:3], 2, s[12:13]
	global_store_dword v[2:3], v55, off
.LBB127_21:
	s_or_b64 exec, exec, s[0:1]
	v_add_u32_e32 v2, 32, v0
	v_cmp_gt_u32_e64 s[0:1], s10, v2
	s_and_saveexec_b64 s[2:3], s[0:1]
	s_cbranch_execz .LBB127_23
; %bb.22:
	v_add_u32_e32 v6, v2, v5
	v_mov_b32_e32 v7, 0
	s_waitcnt lgkmcnt(0)
	v_lshl_add_u64 v[6:7], v[6:7], 2, s[12:13]
	global_store_dword v[6:7], v69, off
.LBB127_23:
	s_or_b64 exec, exec, s[2:3]
	v_add_u32_e32 v3, 64, v0
	v_cmp_gt_u32_e64 s[2:3], s10, v3
	s_and_saveexec_b64 s[4:5], s[2:3]
	;; [unrolled: 12-line block ×3, first 2 shown]
	s_cbranch_execz .LBB127_27
; %bb.26:
	v_add_u32_e32 v6, v4, v5
	v_mov_b32_e32 v7, 0
	s_waitcnt lgkmcnt(0)
	v_lshl_add_u64 v[6:7], v[6:7], 2, s[12:13]
	global_store_dword v[6:7], v63, off
.LBB127_27:
	s_or_b64 exec, exec, s[6:7]
	v_add3_u32 v5, v1, s11, 8
	v_cmp_gt_u32_e64 s[6:7], s8, v5
	s_and_b64 exec, exec, s[6:7]
	s_cbranch_execz .LBB127_17
; %bb.28:
	v_mul_lo_u32 v5, v5, s10
	s_and_saveexec_b64 s[6:7], vcc
	s_cbranch_execnz .LBB127_68
; %bb.29:
	s_or_b64 exec, exec, s[6:7]
	s_and_saveexec_b64 s[6:7], s[0:1]
	s_cbranch_execnz .LBB127_69
.LBB127_30:
	s_or_b64 exec, exec, s[6:7]
	s_and_saveexec_b64 s[6:7], s[2:3]
	s_cbranch_execnz .LBB127_70
.LBB127_31:
	s_or_b64 exec, exec, s[6:7]
	s_and_saveexec_b64 s[6:7], s[4:5]
	s_cbranch_execz .LBB127_33
.LBB127_32:
	v_add_u32_e32 v6, v5, v4
	v_mov_b32_e32 v7, 0
	s_waitcnt lgkmcnt(0)
	v_lshl_add_u64 v[6:7], v[6:7], 2, s[12:13]
	global_store_dword v[6:7], v62, off
.LBB127_33:
	s_or_b64 exec, exec, s[6:7]
	v_add3_u32 v5, v1, s11, 16
	v_cmp_gt_u32_e64 s[6:7], s8, v5
	s_and_b64 exec, exec, s[6:7]
	s_cbranch_execz .LBB127_17
; %bb.34:
	v_mul_lo_u32 v5, v5, s10
	s_and_saveexec_b64 s[6:7], vcc
	s_cbranch_execnz .LBB127_71
; %bb.35:
	s_or_b64 exec, exec, s[6:7]
	s_and_saveexec_b64 s[6:7], s[0:1]
	s_cbranch_execnz .LBB127_72
.LBB127_36:
	s_or_b64 exec, exec, s[6:7]
	s_and_saveexec_b64 s[6:7], s[2:3]
	s_cbranch_execnz .LBB127_73
.LBB127_37:
	s_or_b64 exec, exec, s[6:7]
	s_and_saveexec_b64 s[6:7], s[4:5]
	s_cbranch_execz .LBB127_39
.LBB127_38:
	v_add_u32_e32 v6, v5, v4
	v_mov_b32_e32 v7, 0
	s_waitcnt lgkmcnt(0)
	v_lshl_add_u64 v[6:7], v[6:7], 2, s[12:13]
	global_store_dword v[6:7], v32, off
.LBB127_39:
	s_or_b64 exec, exec, s[6:7]
	v_add3_u32 v5, v1, s11, 24
	v_cmp_gt_u32_e64 s[6:7], s8, v5
	s_and_b64 exec, exec, s[6:7]
	s_cbranch_execz .LBB127_17
; %bb.40:
	v_mul_lo_u32 v5, v5, s10
	s_and_saveexec_b64 s[6:7], vcc
	s_cbranch_execnz .LBB127_74
; %bb.41:
	s_or_b64 exec, exec, s[6:7]
	s_and_saveexec_b64 s[6:7], s[0:1]
	s_cbranch_execnz .LBB127_75
.LBB127_42:
	s_or_b64 exec, exec, s[6:7]
	s_and_saveexec_b64 s[6:7], s[2:3]
	s_cbranch_execnz .LBB127_76
.LBB127_43:
	s_or_b64 exec, exec, s[6:7]
	s_and_saveexec_b64 s[6:7], s[4:5]
	s_cbranch_execz .LBB127_45
.LBB127_44:
	v_add_u32_e32 v6, v5, v4
	v_mov_b32_e32 v7, 0
	s_waitcnt lgkmcnt(0)
	v_lshl_add_u64 v[6:7], v[6:7], 2, s[12:13]
	global_store_dword v[6:7], v33, off
.LBB127_45:
	s_or_b64 exec, exec, s[6:7]
	v_add3_u32 v5, v1, s11, 32
	v_cmp_gt_u32_e64 s[6:7], s8, v5
	s_and_b64 exec, exec, s[6:7]
	s_cbranch_execz .LBB127_17
; %bb.46:
	v_mul_lo_u32 v5, v5, s10
	s_and_saveexec_b64 s[6:7], vcc
	s_cbranch_execnz .LBB127_77
; %bb.47:
	s_or_b64 exec, exec, s[6:7]
	s_and_saveexec_b64 s[6:7], s[0:1]
	s_cbranch_execnz .LBB127_78
.LBB127_48:
	s_or_b64 exec, exec, s[6:7]
	s_and_saveexec_b64 s[6:7], s[2:3]
	s_cbranch_execnz .LBB127_79
.LBB127_49:
	s_or_b64 exec, exec, s[6:7]
	s_and_saveexec_b64 s[6:7], s[4:5]
	s_cbranch_execz .LBB127_51
.LBB127_50:
	v_add_u32_e32 v6, v5, v4
	v_mov_b32_e32 v7, 0
	s_waitcnt lgkmcnt(0)
	v_lshl_add_u64 v[6:7], v[6:7], 2, s[12:13]
	global_store_dword v[6:7], v24, off
.LBB127_51:
	s_or_b64 exec, exec, s[6:7]
	v_add3_u32 v5, v1, s11, 40
	v_cmp_gt_u32_e64 s[6:7], s8, v5
	s_and_b64 exec, exec, s[6:7]
	s_cbranch_execz .LBB127_17
; %bb.52:
	v_mul_lo_u32 v5, v5, s10
	s_and_saveexec_b64 s[6:7], vcc
	s_cbranch_execnz .LBB127_80
; %bb.53:
	s_or_b64 exec, exec, s[6:7]
	s_and_saveexec_b64 s[6:7], s[0:1]
	s_cbranch_execnz .LBB127_81
.LBB127_54:
	s_or_b64 exec, exec, s[6:7]
	s_and_saveexec_b64 s[6:7], s[2:3]
	s_cbranch_execnz .LBB127_82
.LBB127_55:
	s_or_b64 exec, exec, s[6:7]
	s_and_saveexec_b64 s[6:7], s[4:5]
	s_cbranch_execz .LBB127_57
.LBB127_56:
	v_add_u32_e32 v6, v5, v4
	v_mov_b32_e32 v7, 0
	s_waitcnt lgkmcnt(0)
	v_lshl_add_u64 v[6:7], v[6:7], 2, s[12:13]
	global_store_dword v[6:7], v25, off
.LBB127_57:
	s_or_b64 exec, exec, s[6:7]
	v_add3_u32 v5, v1, s11, 48
	v_cmp_gt_u32_e64 s[6:7], s8, v5
	s_and_b64 exec, exec, s[6:7]
	s_cbranch_execz .LBB127_17
; %bb.58:
	v_mul_lo_u32 v5, v5, s10
	s_and_saveexec_b64 s[6:7], vcc
	s_cbranch_execnz .LBB127_83
; %bb.59:
	s_or_b64 exec, exec, s[6:7]
	s_and_saveexec_b64 s[6:7], s[0:1]
	s_cbranch_execnz .LBB127_84
.LBB127_60:
	s_or_b64 exec, exec, s[6:7]
	s_and_saveexec_b64 s[6:7], s[2:3]
	s_cbranch_execnz .LBB127_85
.LBB127_61:
	s_or_b64 exec, exec, s[6:7]
	s_and_saveexec_b64 s[6:7], s[4:5]
	s_cbranch_execz .LBB127_63
.LBB127_62:
	v_add_u32_e32 v6, v5, v4
	v_mov_b32_e32 v7, 0
	s_waitcnt lgkmcnt(0)
	v_lshl_add_u64 v[6:7], v[6:7], 2, s[12:13]
	global_store_dword v[6:7], v16, off
.LBB127_63:
	s_or_b64 exec, exec, s[6:7]
	v_add3_u32 v1, v1, s11, 56
	v_cmp_gt_u32_e64 s[6:7], s8, v1
	s_and_b64 exec, exec, s[6:7]
	s_cbranch_execz .LBB127_17
; %bb.64:
	v_mul_lo_u32 v1, v1, s10
	s_and_saveexec_b64 s[6:7], vcc
	s_cbranch_execnz .LBB127_86
; %bb.65:
	s_or_b64 exec, exec, s[6:7]
	s_and_saveexec_b64 s[6:7], s[0:1]
	s_cbranch_execnz .LBB127_87
.LBB127_66:
	s_or_b64 exec, exec, s[6:7]
	s_and_saveexec_b64 s[0:1], s[2:3]
	s_cbranch_execnz .LBB127_88
.LBB127_67:
	s_or_b64 exec, exec, s[0:1]
	s_and_b64 exec, exec, s[4:5]
	s_cbranch_execz .LBB127_17
	s_branch .LBB127_89
.LBB127_68:
	v_add_u32_e32 v6, v5, v0
	v_mov_b32_e32 v7, 0
	s_waitcnt lgkmcnt(0)
	v_lshl_add_u64 v[6:7], v[6:7], 2, s[12:13]
	global_store_dword v[6:7], v54, off
	s_or_b64 exec, exec, s[6:7]
	s_and_saveexec_b64 s[6:7], s[0:1]
	s_cbranch_execz .LBB127_30
.LBB127_69:
	v_add_u32_e32 v6, v5, v2
	v_mov_b32_e32 v7, 0
	s_waitcnt lgkmcnt(0)
	v_lshl_add_u64 v[6:7], v[6:7], 2, s[12:13]
	global_store_dword v[6:7], v68, off
	s_or_b64 exec, exec, s[6:7]
	s_and_saveexec_b64 s[6:7], s[2:3]
	s_cbranch_execz .LBB127_31
.LBB127_70:
	v_add_u32_e32 v6, v5, v3
	v_mov_b32_e32 v7, 0
	s_waitcnt lgkmcnt(0)
	v_lshl_add_u64 v[6:7], v[6:7], 2, s[12:13]
	global_store_dword v[6:7], v64, off
	s_or_b64 exec, exec, s[6:7]
	s_and_saveexec_b64 s[6:7], s[4:5]
	s_cbranch_execnz .LBB127_32
	s_branch .LBB127_33
.LBB127_71:
	v_add_u32_e32 v6, v5, v0
	v_mov_b32_e32 v7, 0
	s_waitcnt lgkmcnt(0)
	v_lshl_add_u64 v[6:7], v[6:7], 2, s[12:13]
	global_store_dword v[6:7], v44, off
	s_or_b64 exec, exec, s[6:7]
	s_and_saveexec_b64 s[6:7], s[0:1]
	s_cbranch_execz .LBB127_36
.LBB127_72:
	v_add_u32_e32 v6, v5, v2
	v_mov_b32_e32 v7, 0
	s_waitcnt lgkmcnt(0)
	v_lshl_add_u64 v[6:7], v[6:7], 2, s[12:13]
	global_store_dword v[6:7], v36, off
	s_or_b64 exec, exec, s[6:7]
	s_and_saveexec_b64 s[6:7], s[2:3]
	s_cbranch_execz .LBB127_37
.LBB127_73:
	v_add_u32_e32 v6, v5, v3
	v_mov_b32_e32 v7, 0
	s_waitcnt lgkmcnt(0)
	v_lshl_add_u64 v[6:7], v[6:7], 2, s[12:13]
	global_store_dword v[6:7], v34, off
	s_or_b64 exec, exec, s[6:7]
	s_and_saveexec_b64 s[6:7], s[4:5]
	s_cbranch_execnz .LBB127_38
	s_branch .LBB127_39
.LBB127_74:
	v_add_u32_e32 v6, v5, v0
	v_mov_b32_e32 v7, 0
	s_waitcnt lgkmcnt(0)
	v_lshl_add_u64 v[6:7], v[6:7], 2, s[12:13]
	global_store_dword v[6:7], v45, off
	s_or_b64 exec, exec, s[6:7]
	s_and_saveexec_b64 s[6:7], s[0:1]
	s_cbranch_execz .LBB127_42
.LBB127_75:
	v_add_u32_e32 v6, v5, v2
	v_mov_b32_e32 v7, 0
	s_waitcnt lgkmcnt(0)
	v_lshl_add_u64 v[6:7], v[6:7], 2, s[12:13]
	global_store_dword v[6:7], v37, off
	s_or_b64 exec, exec, s[6:7]
	s_and_saveexec_b64 s[6:7], s[2:3]
	s_cbranch_execz .LBB127_43
.LBB127_76:
	v_add_u32_e32 v6, v5, v3
	v_mov_b32_e32 v7, 0
	s_waitcnt lgkmcnt(0)
	v_lshl_add_u64 v[6:7], v[6:7], 2, s[12:13]
	global_store_dword v[6:7], v35, off
	s_or_b64 exec, exec, s[6:7]
	s_and_saveexec_b64 s[6:7], s[4:5]
	s_cbranch_execnz .LBB127_44
	s_branch .LBB127_45
.LBB127_77:
	v_add_u32_e32 v6, v5, v0
	v_mov_b32_e32 v7, 0
	s_waitcnt lgkmcnt(0)
	v_lshl_add_u64 v[6:7], v[6:7], 2, s[12:13]
	global_store_dword v[6:7], v30, off
	s_or_b64 exec, exec, s[6:7]
	s_and_saveexec_b64 s[6:7], s[0:1]
	s_cbranch_execz .LBB127_48
.LBB127_78:
	v_add_u32_e32 v6, v5, v2
	v_mov_b32_e32 v7, 0
	s_waitcnt lgkmcnt(0)
	v_lshl_add_u64 v[6:7], v[6:7], 2, s[12:13]
	global_store_dword v[6:7], v28, off
	s_or_b64 exec, exec, s[6:7]
	s_and_saveexec_b64 s[6:7], s[2:3]
	s_cbranch_execz .LBB127_49
.LBB127_79:
	v_add_u32_e32 v6, v5, v3
	v_mov_b32_e32 v7, 0
	s_waitcnt lgkmcnt(0)
	v_lshl_add_u64 v[6:7], v[6:7], 2, s[12:13]
	global_store_dword v[6:7], v26, off
	s_or_b64 exec, exec, s[6:7]
	s_and_saveexec_b64 s[6:7], s[4:5]
	s_cbranch_execnz .LBB127_50
	s_branch .LBB127_51
.LBB127_80:
	v_add_u32_e32 v6, v5, v0
	v_mov_b32_e32 v7, 0
	s_waitcnt lgkmcnt(0)
	v_lshl_add_u64 v[6:7], v[6:7], 2, s[12:13]
	global_store_dword v[6:7], v31, off
	s_or_b64 exec, exec, s[6:7]
	s_and_saveexec_b64 s[6:7], s[0:1]
	s_cbranch_execz .LBB127_54
.LBB127_81:
	v_add_u32_e32 v6, v5, v2
	v_mov_b32_e32 v7, 0
	s_waitcnt lgkmcnt(0)
	v_lshl_add_u64 v[6:7], v[6:7], 2, s[12:13]
	global_store_dword v[6:7], v29, off
	s_or_b64 exec, exec, s[6:7]
	s_and_saveexec_b64 s[6:7], s[2:3]
	s_cbranch_execz .LBB127_55
.LBB127_82:
	v_add_u32_e32 v6, v5, v3
	v_mov_b32_e32 v7, 0
	s_waitcnt lgkmcnt(0)
	v_lshl_add_u64 v[6:7], v[6:7], 2, s[12:13]
	global_store_dword v[6:7], v27, off
	s_or_b64 exec, exec, s[6:7]
	s_and_saveexec_b64 s[6:7], s[4:5]
	s_cbranch_execnz .LBB127_56
	s_branch .LBB127_57
.LBB127_83:
	v_add_u32_e32 v6, v5, v0
	v_mov_b32_e32 v7, 0
	s_waitcnt lgkmcnt(0)
	v_lshl_add_u64 v[6:7], v[6:7], 2, s[12:13]
	global_store_dword v[6:7], v22, off
	s_or_b64 exec, exec, s[6:7]
	s_and_saveexec_b64 s[6:7], s[0:1]
	s_cbranch_execz .LBB127_60
.LBB127_84:
	v_add_u32_e32 v6, v5, v2
	v_mov_b32_e32 v7, 0
	s_waitcnt lgkmcnt(0)
	v_lshl_add_u64 v[6:7], v[6:7], 2, s[12:13]
	global_store_dword v[6:7], v20, off
	s_or_b64 exec, exec, s[6:7]
	s_and_saveexec_b64 s[6:7], s[2:3]
	s_cbranch_execz .LBB127_61
.LBB127_85:
	v_add_u32_e32 v6, v5, v3
	v_mov_b32_e32 v7, 0
	s_waitcnt lgkmcnt(0)
	v_lshl_add_u64 v[6:7], v[6:7], 2, s[12:13]
	global_store_dword v[6:7], v18, off
	s_or_b64 exec, exec, s[6:7]
	s_and_saveexec_b64 s[6:7], s[4:5]
	s_cbranch_execnz .LBB127_62
	s_branch .LBB127_63
.LBB127_86:
	v_add_u32_e32 v6, v1, v0
	v_mov_b32_e32 v7, 0
	s_waitcnt lgkmcnt(0)
	v_lshl_add_u64 v[6:7], v[6:7], 2, s[12:13]
	global_store_dword v[6:7], v23, off
	s_or_b64 exec, exec, s[6:7]
	s_and_saveexec_b64 s[6:7], s[0:1]
	s_cbranch_execz .LBB127_66
.LBB127_87:
	v_add_u32_e32 v6, v1, v2
	v_mov_b32_e32 v7, 0
	s_waitcnt lgkmcnt(0)
	v_lshl_add_u64 v[6:7], v[6:7], 2, s[12:13]
	global_store_dword v[6:7], v21, off
	s_or_b64 exec, exec, s[6:7]
	s_and_saveexec_b64 s[0:1], s[2:3]
	s_cbranch_execz .LBB127_67
.LBB127_88:
	v_add_u32_e32 v2, v1, v3
	v_mov_b32_e32 v3, 0
	s_waitcnt lgkmcnt(0)
	v_lshl_add_u64 v[2:3], v[2:3], 2, s[12:13]
	global_store_dword v[2:3], v19, off
	s_or_b64 exec, exec, s[0:1]
	s_and_b64 exec, exec, s[4:5]
	s_cbranch_execz .LBB127_17
.LBB127_89:
	v_add_u32_e32 v0, v1, v4
	v_mov_b32_e32 v1, 0
	s_waitcnt lgkmcnt(0)
	v_lshl_add_u64 v[0:1], v[0:1], 2, s[12:13]
	global_store_dword v[0:1], v17, off
	s_endpgm
	.section	.rodata,"a",@progbits
	.p2align	6, 0x0
	.amdhsa_kernel _ZL12mul_mat_q2_KIfLb0EEvPKvS1_PT_iiiii
		.amdhsa_group_segment_fixed_size 31392
		.amdhsa_private_segment_fixed_size 0
		.amdhsa_kernarg_size 44
		.amdhsa_user_sgpr_count 2
		.amdhsa_user_sgpr_dispatch_ptr 0
		.amdhsa_user_sgpr_queue_ptr 0
		.amdhsa_user_sgpr_kernarg_segment_ptr 1
		.amdhsa_user_sgpr_dispatch_id 0
		.amdhsa_user_sgpr_kernarg_preload_length 0
		.amdhsa_user_sgpr_kernarg_preload_offset 0
		.amdhsa_user_sgpr_private_segment_size 0
		.amdhsa_uses_dynamic_stack 0
		.amdhsa_enable_private_segment 0
		.amdhsa_system_sgpr_workgroup_id_x 1
		.amdhsa_system_sgpr_workgroup_id_y 1
		.amdhsa_system_sgpr_workgroup_id_z 0
		.amdhsa_system_sgpr_workgroup_info 0
		.amdhsa_system_vgpr_workitem_id 1
		.amdhsa_next_free_vgpr 215
		.amdhsa_next_free_sgpr 96
		.amdhsa_accum_offset 216
		.amdhsa_reserve_vcc 1
		.amdhsa_float_round_mode_32 0
		.amdhsa_float_round_mode_16_64 0
		.amdhsa_float_denorm_mode_32 3
		.amdhsa_float_denorm_mode_16_64 3
		.amdhsa_dx10_clamp 1
		.amdhsa_ieee_mode 1
		.amdhsa_fp16_overflow 0
		.amdhsa_tg_split 0
		.amdhsa_exception_fp_ieee_invalid_op 0
		.amdhsa_exception_fp_denorm_src 0
		.amdhsa_exception_fp_ieee_div_zero 0
		.amdhsa_exception_fp_ieee_overflow 0
		.amdhsa_exception_fp_ieee_underflow 0
		.amdhsa_exception_fp_ieee_inexact 0
		.amdhsa_exception_int_div_zero 0
	.end_amdhsa_kernel
	.section	.text._ZL12mul_mat_q2_KIfLb0EEvPKvS1_PT_iiiii,"axG",@progbits,_ZL12mul_mat_q2_KIfLb0EEvPKvS1_PT_iiiii,comdat
.Lfunc_end127:
	.size	_ZL12mul_mat_q2_KIfLb0EEvPKvS1_PT_iiiii, .Lfunc_end127-_ZL12mul_mat_q2_KIfLb0EEvPKvS1_PT_iiiii
                                        ; -- End function
	.set _ZL12mul_mat_q2_KIfLb0EEvPKvS1_PT_iiiii.num_vgpr, 215
	.set _ZL12mul_mat_q2_KIfLb0EEvPKvS1_PT_iiiii.num_agpr, 0
	.set _ZL12mul_mat_q2_KIfLb0EEvPKvS1_PT_iiiii.numbered_sgpr, 19
	.set _ZL12mul_mat_q2_KIfLb0EEvPKvS1_PT_iiiii.num_named_barrier, 0
	.set _ZL12mul_mat_q2_KIfLb0EEvPKvS1_PT_iiiii.private_seg_size, 0
	.set _ZL12mul_mat_q2_KIfLb0EEvPKvS1_PT_iiiii.uses_vcc, 1
	.set _ZL12mul_mat_q2_KIfLb0EEvPKvS1_PT_iiiii.uses_flat_scratch, 0
	.set _ZL12mul_mat_q2_KIfLb0EEvPKvS1_PT_iiiii.has_dyn_sized_stack, 0
	.set _ZL12mul_mat_q2_KIfLb0EEvPKvS1_PT_iiiii.has_recursion, 0
	.set _ZL12mul_mat_q2_KIfLb0EEvPKvS1_PT_iiiii.has_indirect_call, 0
	.section	.AMDGPU.csdata,"",@progbits
; Kernel info:
; codeLenInByte = 25332
; TotalNumSgprs: 25
; NumVgprs: 215
; NumAgprs: 0
; TotalNumVgprs: 215
; ScratchSize: 0
; MemoryBound: 0
; FloatMode: 240
; IeeeMode: 1
; LDSByteSize: 31392 bytes/workgroup (compile time only)
; SGPRBlocks: 12
; VGPRBlocks: 26
; NumSGPRsForWavesPerEU: 102
; NumVGPRsForWavesPerEU: 215
; AccumOffset: 216
; Occupancy: 2
; WaveLimiterHint : 0
; COMPUTE_PGM_RSRC2:SCRATCH_EN: 0
; COMPUTE_PGM_RSRC2:USER_SGPR: 2
; COMPUTE_PGM_RSRC2:TRAP_HANDLER: 0
; COMPUTE_PGM_RSRC2:TGID_X_EN: 1
; COMPUTE_PGM_RSRC2:TGID_Y_EN: 1
; COMPUTE_PGM_RSRC2:TGID_Z_EN: 0
; COMPUTE_PGM_RSRC2:TIDIG_COMP_CNT: 1
; COMPUTE_PGM_RSRC3_GFX90A:ACCUM_OFFSET: 53
; COMPUTE_PGM_RSRC3_GFX90A:TG_SPLIT: 0
	.section	.text._ZL12mul_mat_q2_KIfLb1EEvPKvS1_PT_iiiii,"axG",@progbits,_ZL12mul_mat_q2_KIfLb1EEvPKvS1_PT_iiiii,comdat
	.globl	_ZL12mul_mat_q2_KIfLb1EEvPKvS1_PT_iiiii ; -- Begin function _ZL12mul_mat_q2_KIfLb1EEvPKvS1_PT_iiiii
	.p2align	8
	.type	_ZL12mul_mat_q2_KIfLb1EEvPKvS1_PT_iiiii,@function
_ZL12mul_mat_q2_KIfLb1EEvPKvS1_PT_iiiii: ; @_ZL12mul_mat_q2_KIfLb1EEvPKvS1_PT_iiiii
; %bb.0:
	s_load_dwordx4 s[8:11], s[0:1], 0x18
	s_load_dword s14, s[0:1], 0x28
	s_lshl_b32 s15, s3, 6
	v_bfe_u32 v91, v0, 10, 10
	s_waitcnt lgkmcnt(0)
	s_cmpk_gt_i32 s8, 0xff
	s_cbranch_scc1 .LBB128_2
; %bb.1:
	v_bfe_u32 v1, v0, 10, 10
	v_and_b32_e32 v63, 0x3ff, v0
	v_add_u32_e32 v35, s15, v1
	s_mov_b64 s[4:5], 0
	s_branch .LBB128_3
.LBB128_2:
	s_mov_b64 s[4:5], -1
                                        ; implicit-def: $vgpr1
                                        ; implicit-def: $vgpr63
                                        ; implicit-def: $vgpr35
.LBB128_3:
	s_load_dwordx2 s[12:13], s[0:1], 0x10
	s_lshl_b32 s6, s2, 7
	s_andn2_b64 vcc, exec, s[4:5]
	s_mov_b32 s4, 0
	s_cbranch_vccnz .LBB128_16
; %bb.4:
	s_ashr_i32 s5, s8, 31
	s_load_dwordx4 s[0:3], s[0:1], 0x0
	s_lshr_b32 s5, s5, 24
	s_add_i32 s5, s8, s5
	s_ashr_i32 s7, s11, 31
	s_ashr_i32 s5, s5, 8
	s_lshr_b32 s7, s7, 27
	s_add_i32 s7, s11, s7
	s_mul_i32 s11, s5, s6
	s_ashr_i32 s8, s7, 5
	s_mul_hi_i32 s16, s11, 0x54
	s_mulk_i32 s11, 0x54
	s_waitcnt lgkmcnt(0)
	s_add_u32 s0, s0, s11
	s_addc_u32 s1, s1, s16
	s_not_b32 s11, s6
	s_add_i32 s11, s9, s11
	v_and_b32_e32 v63, 0x3ff, v0
	v_add_u32_e32 v8, 8, v91
	v_add_u32_e32 v10, 16, v91
	;; [unrolled: 1-line block ×7, first 2 shown]
	v_lshlrev_b32_e32 v2, 2, v63
	v_min_i32_e32 v1, s11, v91
                                        ; kill: def $vgpr3 killed $sgpr0 killed $exec
	s_movk_i32 s9, 0x84
	v_min_i32_e32 v9, s11, v8
	v_min_i32_e32 v11, s11, v10
	;; [unrolled: 1-line block ×7, first 2 shown]
	v_mad_u64_u32 v[34:35], s[16:17], v1, s9, v[2:3]
	v_mad_u64_u32 v[36:37], s[16:17], v9, s9, v[2:3]
	;; [unrolled: 1-line block ×8, first 2 shown]
	v_add_u32_e32 v3, 64, v91
	v_min_i32_e32 v22, s11, v3
	v_mad_u64_u32 v[50:51], s[16:17], v22, s9, v[2:3]
	v_add_u32_e32 v3, 0x48, v91
	v_min_i32_e32 v23, s11, v3
	v_mad_u64_u32 v[52:53], s[16:17], v23, s9, v[2:3]
	;; [unrolled: 3-line block ×5, first 2 shown]
	v_add_u32_e32 v3, 0x68, v91
	v_min_i32_e32 v27, s11, v3
	v_add_u32_e32 v3, 0x70, v91
	v_min_i32_e32 v28, s11, v3
	;; [unrolled: 2-line block ×3, first 2 shown]
	v_lshlrev_b32_e32 v30, 4, v91
	v_bfe_u32 v3, v0, 1, 9
	v_add_u32_e32 v3, v3, v30
	v_and_b32_e32 v3, 0x7f, v3
	v_min_i32_e32 v31, s11, v3
	v_ashrrev_i32_e32 v3, 31, v31
	v_lshrrev_b32_e32 v3, 28, v3
	v_add_u32_e32 v3, v31, v3
	v_and_b32_e32 v62, 1, v0
	v_ashrrev_i32_e32 v3, 4, v3
	v_lshlrev_b32_e32 v3, 2, v3
	v_lshlrev_b32_e32 v4, 2, v62
	s_movk_i32 s16, 0x7280
	v_bfe_u32 v37, v0, 3, 7
	v_add3_u32 v3, v3, v4, s16
	v_lshl_add_u32 v4, v91, 2, v37
	v_min_i32_e32 v61, s11, v4
	v_ashrrev_i32_e32 v5, 31, v61
	v_lshrrev_b32_e32 v5, 30, v5
	v_and_b32_e32 v60, 7, v0
	v_add_u32_e32 v5, v61, v5
	v_and_b32_e32 v5, -4, v5
	v_lshlrev_b32_e32 v6, 2, v60
	s_movk_i32 s16, 0x6200
	v_add3_u32 v49, v5, v6, s16
	v_add_u32_e32 v5, 32, v4
	v_min_i32_e32 v64, s11, v5
	v_ashrrev_i32_e32 v5, 31, v64
	v_lshrrev_b32_e32 v5, 30, v5
	v_add_u32_e32 v5, v64, v5
	v_and_b32_e32 v5, -4, v5
	v_add3_u32 v51, v5, v6, s16
	v_add_u32_e32 v5, 64, v4
	v_add_u32_e32 v4, 0x60, v4
	v_min_i32_e32 v65, s11, v5
	v_min_i32_e32 v66, s11, v4
	v_ashrrev_i32_e32 v5, 31, v65
	v_ashrrev_i32_e32 v4, 31, v66
	v_lshrrev_b32_e32 v5, 30, v5
	v_lshrrev_b32_e32 v4, 30, v4
	v_add_u32_e32 v5, v65, v5
	v_add_u32_e32 v4, v66, v4
	v_and_b32_e32 v5, -4, v5
	v_and_b32_e32 v4, -4, v4
	v_add3_u32 v53, v5, v6, s16
	v_add3_u32 v55, v4, v6, s16
	v_and_b32_e32 v6, 31, v0
	v_mov_b32_e32 v7, 0x4200
	v_lshl_or_b32 v67, v6, 2, v7
	v_bfe_u32 v6, v0, 2, 8
	v_lshl_add_u32 v6, v91, 3, v6
	v_and_b32_e32 v7, 63, v6
	s_add_i32 s11, s10, -1
	v_or_b32_e32 v39, s15, v7
	v_and_b32_e32 v6, 3, v0
	v_min_i32_e32 v39, s11, v39
	v_add_u32_e32 v35, s15, v91
	v_mad_u64_u32 v[70:71], s[16:17], v39, s8, v[6:7]
	v_lshlrev_b32_e32 v6, 2, v6
	v_cvt_f64_i32_e32 v[4:5], s11
	v_lshl_or_b32 v57, v7, 4, v6
	v_cvt_f64_u32_e32 v[6:7], v35
	v_min_f64 v[6:7], v[6:7], v[4:5]
	v_cvt_i32_f64_e32 v59, v[6:7]
	v_add_u32_e32 v6, 8, v35
	v_cvt_f64_u32_e32 v[6:7], v6
	v_min_f64 v[6:7], v[6:7], v[4:5]
	v_cvt_i32_f64_e32 v68, v[6:7]
	v_add_u32_e32 v6, 16, v35
	;; [unrolled: 4-line block ×7, first 2 shown]
	v_lshlrev_b32_e32 v47, 3, v31
	v_cvt_f64_u32_e32 v[6:7], v6
	v_min_f64 v[4:5], v[6:7], v[4:5]
	v_add_u32_e32 v47, v3, v47
	v_lshlrev_b32_e32 v3, 5, v64
	v_mov_b32_e32 v33, 0
	v_cvt_i32_f64_e32 v4, v[4:5]
	v_add_u32_e32 v5, 32, v63
	v_add_u32_e32 v6, 64, v63
	v_add_u32_e32 v7, 0x60, v63
	v_add_u32_e32 v51, v51, v3
	v_lshlrev_b32_e32 v3, 5, v66
	v_and_b32_e32 v32, 60, v2
	v_lshlrev_b32_e32 v45, 5, v63
	v_and_b32_e32 v39, 0xfc, v0
	v_and_b32_e32 v41, 0x1fc, v5
	;; [unrolled: 1-line block ×4, first 2 shown]
	v_add_u32_e32 v55, v55, v3
	v_and_b32_e32 v80, 12, v2
	v_mad_u64_u32 v[82:83], s[16:17], v27, s9, v[2:3]
	v_mad_u64_u32 v[84:85], s[16:17], v28, s9, v[2:3]
	;; [unrolled: 1-line block ×3, first 2 shown]
	v_and_b32_e32 v2, 28, v2
	v_mov_b32_e32 v3, v33
	v_add_u32_e32 v39, v45, v39
	v_add_u32_e32 v41, v45, v41
	;; [unrolled: 1-line block ×4, first 2 shown]
	v_lshlrev_b32_e32 v71, 5, v61
	v_lshl_add_u64 v[88:89], s[2:3], 0, v[2:3]
	v_mul_u32_u24_e32 v2, 33, v63
	v_add_u32_e32 v49, v49, v71
	v_lshlrev_b32_e32 v71, 5, v65
	v_lshlrev_b32_e32 v105, 2, v2
	;; [unrolled: 1-line block ×3, first 2 shown]
	v_add_u32_e32 v53, v53, v71
	v_mul_lo_u32 v71, s8, v68
	v_lshlrev_b32_e32 v8, 7, v8
	v_mul_lo_u32 v83, s8, v69
	v_lshlrev_b32_e32 v10, 7, v10
	;; [unrolled: 2-line block ×5, first 2 shown]
	v_lshlrev_b32_e32 v18, 7, v18
	v_mul_lo_u32 v97, s8, v4
	v_lshlrev_b32_e32 v4, 7, v20
	v_lshlrev_b32_e32 v20, 1, v5
	v_lshrrev_b32_e32 v68, 4, v5
	v_lshrrev_b32_e32 v99, 3, v5
	v_lshlrev_b32_e32 v5, 1, v6
	v_lshrrev_b32_e32 v69, 4, v6
	v_lshrrev_b32_e32 v101, 3, v6
	v_lshlrev_b32_e32 v6, 1, v7
	v_lshrrev_b32_e32 v74, 4, v7
	v_add_u32_e32 v123, v67, v2
	v_add_u32_e32 v125, 0x4200, v2
	v_mov_b32_e32 v72, v33
	v_mov_b32_e32 v73, v33
	v_lshlrev_b32_e32 v2, 1, v63
	v_bfe_u32 v90, v0, 4, 6
	v_cmp_lt_u32_e32 vcc, 3, v60
	s_movk_i32 s7, 0x54
	v_mov_b32_e32 v81, v33
	v_add_u32_e32 v57, 0x76a0, v57
	v_mul_lo_u32 v59, s8, v59
	v_mul_lo_u32 v95, s8, v75
	v_lshrrev_b32_e32 v103, 3, v7
	v_add_u32_e32 v107, 0x76a0, v30
	v_add_u32_e32 v109, v67, v8
	;; [unrolled: 1-line block ×8, first 2 shown]
	v_lshlrev_b32_e32 v127, 2, v2
	v_lshlrev_b32_e32 v129, 2, v68
	;; [unrolled: 1-line block ×7, first 2 shown]
	s_mov_b32 s8, 0x1010101
	v_mul_lo_u32 v92, v1, s5
	v_mul_lo_u32 v94, v9, s5
	;; [unrolled: 1-line block ×21, first 2 shown]
	v_add_u32_e32 v141, 0x6200, v39
	v_add_u32_e32 v143, 0x6600, v41
	;; [unrolled: 1-line block ×4, first 2 shown]
	v_lshlrev_b32_e32 v156, 2, v90
	v_mov_b32_e32 v157, 4
	v_mov_b32_e32 v158, 15
	v_cndmask_b32_e64 v134, 0, 1, vcc
	v_mov_b64_e32 v[68:69], v[72:73]
	v_mov_b64_e32 v[30:31], v[72:73]
	v_mov_b64_e32 v[22:23], v[72:73]
	v_mov_b64_e32 v[78:79], v[72:73]
	v_mov_b64_e32 v[66:67], v[72:73]
	v_mov_b64_e32 v[28:29], v[72:73]
	v_mov_b64_e32 v[20:21], v[72:73]
	v_mov_b64_e32 v[76:77], v[72:73]
	v_mov_b64_e32 v[64:65], v[72:73]
	v_mov_b64_e32 v[26:27], v[72:73]
	v_mov_b64_e32 v[18:19], v[72:73]
	v_mov_b64_e32 v[74:75], v[72:73]
	v_mov_b64_e32 v[60:61], v[72:73]
	v_mov_b64_e32 v[24:25], v[72:73]
	v_mov_b64_e32 v[16:17], v[72:73]
	s_branch .LBB128_6
.LBB128_5:                              ;   in Loop: Header=BB128_6 Depth=1
	s_add_i32 s4, s4, 2
	s_cmp_ge_i32 s4, s5
	s_cbranch_scc1 .LBB128_18
.LBB128_6:                              ; =>This Loop Header: Depth=1
                                        ;     Child Loop BB128_7 Depth 2
                                        ;     Child Loop BB128_9 Depth 2
	;; [unrolled: 1-line block ×4, first 2 shown]
	s_mul_i32 s11, s4, 0x54
	s_mul_hi_u32 s9, s4, 0x54
	s_add_u32 s16, s0, s11
	s_addc_u32 s17, s1, s9
	v_mov_b64_e32 v[0:1], s[16:17]
	v_mad_u64_u32 v[2:3], s[16:17], v90, s7, v[0:1]
	v_mad_i64_i32 v[4:5], s[16:17], v92, s7, v[2:3]
	v_mad_i64_i32 v[6:7], s[16:17], v94, s7, v[2:3]
	;; [unrolled: 1-line block ×8, first 2 shown]
	v_lshl_add_u64 v[4:5], v[4:5], 0, v[32:33]
	v_lshl_add_u64 v[6:7], v[6:7], 0, v[32:33]
	;; [unrolled: 1-line block ×8, first 2 shown]
	global_load_dword v136, v[4:5], off offset:16
	global_load_dword v138, v[6:7], off offset:16
	;; [unrolled: 1-line block ×7, first 2 shown]
	s_nop 0
	global_load_dword v146, v[146:147], off offset:16
	v_mad_i64_i32 v[4:5], s[16:17], v108, s7, v[2:3]
	v_mad_i64_i32 v[6:7], s[16:17], v110, s7, v[2:3]
	;; [unrolled: 1-line block ×8, first 2 shown]
	v_lshl_add_u64 v[4:5], v[4:5], 0, v[32:33]
	v_lshl_add_u64 v[10:11], v[10:11], 0, v[32:33]
	;; [unrolled: 1-line block ×8, first 2 shown]
	global_load_dword v147, v[4:5], off offset:16
	global_load_dword v153, v[6:7], off offset:16
	;; [unrolled: 1-line block ×3, first 2 shown]
	s_nop 0
	global_load_dword v10, v[10:11], off offset:16
	s_nop 0
	global_load_dword v11, v[12:13], off offset:16
	s_nop 0
	global_load_dword v12, v[14:15], off offset:16
	global_load_dword v13, v[144:145], off offset:16
	s_nop 0
	global_load_dword v14, v[2:3], off offset:16
	v_mad_i64_i32 v[2:3], s[16:17], v124, s7, v[0:1]
	v_mad_u64_u32 v[0:1], s[16:17], v134, s7, v[0:1]
	v_lshl_add_u64 v[0:1], v[0:1], 0, v[80:81]
	s_lshl_b32 s9, s4, 3
	v_mad_u64_u32 v[2:3], s[16:17], v62, s7, v[2:3]
	v_mad_i64_i32 v[4:5], s[16:17], v126, s7, v[0:1]
	v_mad_i64_i32 v[6:7], s[16:17], v128, s7, v[0:1]
	v_mad_i64_i32 v[8:9], s[16:17], v130, s7, v[0:1]
	v_mad_i64_i32 v[0:1], s[16:17], v132, s7, v[0:1]
	v_add_u32_e32 v161, s9, v37
	global_load_dword v15, v[2:3], off offset:80
	global_load_dword v144, v[4:5], off
	global_load_dword v145, v[6:7], off
	;; [unrolled: 1-line block ×4, first 2 shown]
	v_add_u32_e32 v0, v161, v59
	v_add_u32_e32 v2, v161, v71
	;; [unrolled: 1-line block ×3, first 2 shown]
	v_mad_i64_i32 v[0:1], s[16:17], v0, 36, v[88:89]
	v_mad_i64_i32 v[2:3], s[16:17], v2, 36, v[88:89]
	v_add_u32_e32 v4, v161, v83
	v_add_u32_e32 v6, v161, v85
	v_mad_i64_i32 v[8:9], s[16:17], v8, 36, v[88:89]
	v_add_u32_e32 v159, s9, v70
	v_mad_i64_i32 v[4:5], s[16:17], v4, 36, v[88:89]
	v_mad_i64_i32 v[6:7], s[16:17], v6, 36, v[88:89]
	global_load_dword v162, v[0:1], off offset:4
	global_load_dword v163, v[2:3], off offset:4
	;; [unrolled: 1-line block ×4, first 2 shown]
	s_nop 0
	global_load_dword v8, v[8:9], off offset:4
	v_add_u32_e32 v0, v161, v93
	v_add_u32_e32 v2, v161, v95
	v_mad_i64_i32 v[0:1], s[16:17], v0, 36, v[88:89]
	v_mad_i64_i32 v[2:3], s[16:17], v2, 36, v[88:89]
	v_add_u32_e32 v4, v161, v97
	v_mad_u64_u32 v[6:7], s[16:17], v159, 36, s[2:3]
	v_mad_i64_i32 v[4:5], s[16:17], v4, 36, v[88:89]
	global_load_dword v6, v[6:7], off
	s_nop 0
	global_load_dword v0, v[0:1], off offset:4
	s_nop 0
	global_load_dword v1, v[2:3], off offset:4
	;; [unrolled: 2-line block ×3, first 2 shown]
	s_waitcnt vmcnt(29)
	ds_write_b32 v34, v136
	s_waitcnt vmcnt(28)
	ds_write_b32 v36, v138
	;; [unrolled: 2-line block ×26, first 2 shown]
	v_mov_b32_e32 v145, v125
	v_mov_b32_e32 v147, v107
	s_mov_b32 s11, 0
	s_waitcnt vmcnt(3)
	v_cvt_f32_f16_e32 v3, v6
	s_waitcnt vmcnt(2)
	ds_write_b32 v117, v0
	s_waitcnt vmcnt(1)
	ds_write_b32 v119, v1
	;; [unrolled: 2-line block ×3, first 2 shown]
	ds_write_b32 v57, v3
	s_waitcnt lgkmcnt(0)
	s_barrier
.LBB128_7:                              ;   Parent Loop BB128_6 Depth=1
                                        ; =>  This Inner Loop Header: Depth=2
	s_and_b32 s17, s11, 0x3ffffff8
	v_lshl_add_u32 v10, s17, 2, v105
	ds_read2_b32 v[152:153], v147 offset1:32
	ds_read_b128 v[4:7], v145
	ds_read_b128 v[0:3], v145 offset:16
	ds_read2_b32 v[8:9], v10 offset1:1
	s_lshr_b32 s17, s11, 2
	s_and_b32 s17, s17, 0x3ffffffc
	s_addk_i32 s17, 0x7280
	s_and_b32 s16, s11, -16
	s_waitcnt lgkmcnt(0)
	v_ashrrev_i32_e32 v8, s11, v8
	v_and_b32_e32 v171, 0x3030303, v8
	v_ashrrev_i32_e32 v8, s11, v9
	v_and_b32_e32 v168, 0x3030303, v8
	ds_read2_b32 v[8:9], v10 offset0:2 offset1:3
	s_add_i32 s16, s11, s16
	v_add_u32_e32 v193, s16, v141
	v_mov_b32_e32 v200, 0
	v_mov_b32_e32 v204, 0
	s_waitcnt lgkmcnt(0)
	v_ashrrev_i32_e32 v8, s11, v8
	v_and_b32_e32 v169, 0x3030303, v8
	v_ashrrev_i32_e32 v8, s11, v9
	v_and_b32_e32 v170, 0x3030303, v8
	ds_read2_b32 v[8:9], v10 offset0:4 offset1:5
	v_mov_b32_e32 v154, 0
	v_mov_b32_e32 v198, 0
	v_dot4c_i32_i8_e32 v154, v171, v4
	v_mov_b32_e32 v155, 0
	s_waitcnt lgkmcnt(0)
	v_ashrrev_i32_e32 v8, s11, v8
	v_and_b32_e32 v164, 0x3030303, v8
	v_ashrrev_i32_e32 v8, s11, v9
	v_and_b32_e32 v165, 0x3030303, v8
	ds_read2_b32 v[8:9], v10 offset0:6 offset1:7
	v_mov_b32_e32 v199, 0
	v_dot4c_i32_i8_e32 v154, v168, v5
	v_dot4c_i32_i8_e32 v155, v164, v0
	;; [unrolled: 1-line block ×3, first 2 shown]
	s_waitcnt lgkmcnt(0)
	v_ashrrev_i32_e32 v8, s11, v8
	v_and_b32_e32 v166, 0x3030303, v8
	v_ashrrev_i32_e32 v8, s11, v9
	v_and_b32_e32 v167, 0x3030303, v8
	v_add3_u32 v8, s17, v156, v127
	ds_read_b32 v8, v8
	v_dot4c_i32_i8_e32 v155, v165, v1
	v_dot4c_i32_i8_e32 v154, v170, v7
	v_dot4c_i32_i8_e32 v155, v166, v2
	v_dot4c_i32_i8_e32 v155, v167, v3
	s_waitcnt lgkmcnt(0)
	v_cvt_f32_f16_e32 v140, v8
	v_cvt_f32_f16_sdwa v142, v8 dst_sel:DWORD dst_unused:UNUSED_PAD src0_sel:WORD_1
	v_add_u32_e32 v8, 0x1080, v10
	ds_read2_b32 v[8:9], v8 offset1:1
	v_add_u32_e32 v197, s16, v143
	v_add_u32_e32 v201, s16, v149
	;; [unrolled: 1-line block ×3, first 2 shown]
	v_mov_b32_e32 v209, 0
	s_waitcnt lgkmcnt(0)
	v_ashrrev_i32_e32 v8, s11, v8
	v_and_b32_e32 v191, 0x3030303, v8
	v_ashrrev_i32_e32 v8, s11, v9
	v_and_b32_e32 v185, 0x3030303, v8
	v_add_u32_e32 v8, 0x1088, v10
	ds_read2_b32 v[8:9], v8 offset1:1
	v_mov_b32_e32 v212, 0
	v_mov_b32_e32 v202, 0
	v_dot4c_i32_i8_e32 v202, v191, v4
	v_mov_b32_e32 v203, 0
	s_waitcnt lgkmcnt(0)
	v_ashrrev_i32_e32 v8, s11, v8
	v_and_b32_e32 v189, 0x3030303, v8
	v_ashrrev_i32_e32 v8, s11, v9
	v_and_b32_e32 v190, 0x3030303, v8
	v_add_u32_e32 v8, 0x1090, v10
	ds_read2_b32 v[8:9], v8 offset1:1
	v_dot4c_i32_i8_e32 v202, v185, v5
	v_dot4c_i32_i8_e32 v202, v189, v6
	;; [unrolled: 1-line block ×3, first 2 shown]
	v_mov_b32_e32 v213, 0
	s_waitcnt lgkmcnt(0)
	v_ashrrev_i32_e32 v8, s11, v8
	v_and_b32_e32 v180, 0x3030303, v8
	v_ashrrev_i32_e32 v8, s11, v9
	v_and_b32_e32 v181, 0x3030303, v8
	v_add_u32_e32 v8, 0x1098, v10
	ds_read2_b32 v[8:9], v8 offset1:1
	v_dot4c_i32_i8_e32 v203, v180, v0
	v_dot4c_i32_i8_e32 v203, v181, v1
	v_mov_b32_e32 v205, 0
	v_mov_b32_e32 v208, 0
	s_waitcnt lgkmcnt(0)
	v_ashrrev_i32_e32 v8, s11, v8
	v_and_b32_e32 v182, 0x3030303, v8
	v_ashrrev_i32_e32 v8, s11, v9
	v_and_b32_e32 v183, 0x3030303, v8
	v_add3_u32 v8, s17, v129, v131
	ds_read_b32 v8, v8
	v_dot4c_i32_i8_e32 v203, v182, v2
	v_dot4c_i32_i8_e32 v203, v183, v3
	v_mov_b32_e32 v206, 0
	v_mov_b32_e32 v207, 0
	s_waitcnt lgkmcnt(0)
	v_cvt_f32_f16_e32 v148, v8
	v_cvt_f32_f16_sdwa v150, v8 dst_sel:DWORD dst_unused:UNUSED_PAD src0_sel:WORD_1
	v_add_u32_e32 v8, 0x2100, v10
	ds_read2_b32 v[8:9], v8 offset1:1
	v_mov_b32_e32 v214, 0
	s_waitcnt lgkmcnt(0)
	v_ashrrev_i32_e32 v8, s11, v8
	v_and_b32_e32 v179, 0x3030303, v8
	v_ashrrev_i32_e32 v8, s11, v9
	v_and_b32_e32 v176, 0x3030303, v8
	v_add_u32_e32 v8, 0x2108, v10
	ds_read2_b32 v[8:9], v8 offset1:1
	v_dot4c_i32_i8_e32 v205, v179, v4
	v_dot4c_i32_i8_e32 v205, v176, v5
	s_waitcnt lgkmcnt(0)
	v_ashrrev_i32_e32 v8, s11, v8
	v_and_b32_e32 v177, 0x3030303, v8
	v_ashrrev_i32_e32 v8, s11, v9
	v_and_b32_e32 v178, 0x3030303, v8
	v_add_u32_e32 v8, 0x2110, v10
	ds_read2_b32 v[8:9], v8 offset1:1
	v_dot4c_i32_i8_e32 v205, v177, v6
	v_dot4c_i32_i8_e32 v205, v178, v7
	;; [unrolled: 9-line block ×3, first 2 shown]
	s_waitcnt lgkmcnt(0)
	v_ashrrev_i32_e32 v8, s11, v8
	v_and_b32_e32 v174, 0x3030303, v8
	v_ashrrev_i32_e32 v8, s11, v9
	v_and_b32_e32 v175, 0x3030303, v8
	v_add3_u32 v8, s17, v133, v135
	ds_read_b32 v8, v8
	v_dot4c_i32_i8_e32 v208, v174, v2
	v_dot4c_i32_i8_e32 v208, v175, v3
	s_waitcnt lgkmcnt(0)
	v_cvt_f32_f16_e32 v144, v8
	v_cvt_f32_f16_sdwa v146, v8 dst_sel:DWORD dst_unused:UNUSED_PAD src0_sel:WORD_1
	v_add_u32_e32 v8, 0x3180, v10
	ds_read2_b32 v[8:9], v8 offset1:1
	s_waitcnt lgkmcnt(0)
	v_ashrrev_i32_e32 v8, s11, v8
	v_and_b32_e32 v186, 0x3030303, v8
	v_ashrrev_i32_e32 v8, s11, v9
	v_and_b32_e32 v184, 0x3030303, v8
	v_add_u32_e32 v8, 0x3188, v10
	ds_read2_b32 v[8:9], v8 offset1:1
	v_dot4c_i32_i8_e32 v206, v186, v4
	v_dot4c_i32_i8_e32 v206, v184, v5
	s_waitcnt lgkmcnt(0)
	v_ashrrev_i32_e32 v8, s11, v8
	v_and_b32_e32 v187, 0x3030303, v8
	v_ashrrev_i32_e32 v8, s11, v9
	v_and_b32_e32 v188, 0x3030303, v8
	v_add_u32_e32 v8, 0x3190, v10
	ds_read2_b32 v[8:9], v8 offset1:1
	v_dot4c_i32_i8_e32 v206, v187, v6
	v_dot4c_i32_i8_e32 v206, v188, v7
	;; [unrolled: 9-line block ×3, first 2 shown]
	s_waitcnt lgkmcnt(0)
	v_ashrrev_i32_e32 v8, s11, v8
	v_and_b32_e32 v162, 0x3030303, v8
	v_ashrrev_i32_e32 v8, s11, v9
	v_and_b32_e32 v163, 0x3030303, v8
	v_add3_u32 v8, s17, v137, v139
	ds_read_b32 v8, v8
	v_dot4c_i32_i8_e32 v207, v162, v2
	v_dot4c_i32_i8_e32 v207, v163, v3
	s_waitcnt lgkmcnt(0)
	v_cvt_f32_f16_e32 v136, v8
	v_cvt_f32_f16_sdwa v138, v8 dst_sel:DWORD dst_unused:UNUSED_PAD src0_sel:WORD_1
	ds_read_b128 v[12:15], v145 offset:1024
	ds_read_b128 v[8:11], v145 offset:1040
	ds_read_u16 v195, v193
	s_waitcnt lgkmcnt(2)
	v_dot4c_i32_i8_e32 v199, v171, v12
	s_waitcnt lgkmcnt(1)
	v_dot4c_i32_i8_e32 v198, v164, v8
	s_waitcnt lgkmcnt(0)
	v_bfe_u32 v193, v195, 4, 4
	v_mul_lo_u32 v193, v193, s8
	v_dot4c_i32_i8_e32 v200, v193, v4
	v_dot4c_i32_i8_e32 v204, v193, v12
	;; [unrolled: 1-line block ×5, first 2 shown]
	v_lshrrev_b32_sdwa v194, v157, v195 dst_sel:DWORD dst_unused:UNUSED_PAD src0_sel:DWORD src1_sel:BYTE_1
	v_dot4c_i32_i8_e32 v204, v193, v14
	v_dot4c_i32_i8_e32 v198, v165, v9
	v_dot4c_i32_i8_e32 v200, v193, v7
	v_mul_lo_u32 v194, v194, s8
	v_dot4c_i32_i8_e32 v204, v193, v15
	v_dot4c_i32_i8_e32 v199, v168, v13
	;; [unrolled: 1-line block ×4, first 2 shown]
	v_and_b32_e32 v196, 15, v195
	v_and_b32_sdwa v195, v195, v158 dst_sel:DWORD dst_unused:UNUSED_PAD src0_sel:BYTE_1 src1_sel:DWORD
	v_dot4c_i32_i8_e32 v204, v194, v8
	v_dot4c_i32_i8_e32 v199, v169, v14
	;; [unrolled: 1-line block ×4, first 2 shown]
	v_and_b32_e32 v195, 0xffff, v195
	v_and_b32_e32 v196, 0xffff, v196
	v_dot4c_i32_i8_e32 v204, v194, v9
	v_dot4c_i32_i8_e32 v199, v170, v15
	;; [unrolled: 1-line block ×4, first 2 shown]
	v_mul_lo_u32 v154, v154, v196
	v_mul_lo_u32 v198, v198, v195
	v_dot4c_i32_i8_e32 v200, v194, v3
	v_dot4c_i32_i8_e32 v204, v194, v11
	v_mad_u64_u32 v[198:199], s[16:17], v199, v196, v[198:199]
	v_mad_u64_u32 v[154:155], s[16:17], v155, v195, v[154:155]
	v_cvt_f32_i32_e32 v155, v154
	v_cvt_f32_i32_e32 v154, v198
	;; [unrolled: 1-line block ×4, first 2 shown]
	v_mov_b32_e32 v204, 0
	v_dot4c_i32_i8_e32 v204, v180, v8
	v_dot4c_i32_i8_e32 v204, v181, v9
	v_pk_mul_f32 v[198:199], v[142:143], v[198:199] op_sel_hi:[0,1]
	v_pk_fma_f32 v[198:199], v[140:141], v[154:155], v[198:199] op_sel_hi:[0,1,1] neg_lo:[0,0,1] neg_hi:[0,0,1]
	v_mov_b32_e32 v155, v152
	ds_read_u16 v152, v197
	v_mov_b32_e32 v154, v153
	v_pk_fma_f32 v[72:73], v[154:155], v[198:199], v[72:73]
	v_mov_b32_e32 v153, 0
	v_dot4c_i32_i8_e32 v153, v191, v12
	s_waitcnt lgkmcnt(0)
	v_bfe_u32 v197, v152, 4, 4
	v_mul_lo_u32 v197, v197, s8
	v_dot4c_i32_i8_e32 v209, v197, v4
	v_dot4c_i32_i8_e32 v212, v197, v12
	;; [unrolled: 1-line block ×5, first 2 shown]
	v_lshrrev_b32_sdwa v198, v157, v152 dst_sel:DWORD dst_unused:UNUSED_PAD src0_sel:DWORD src1_sel:BYTE_1
	v_dot4c_i32_i8_e32 v212, v197, v14
	v_dot4c_i32_i8_e32 v209, v197, v7
	v_mul_lo_u32 v198, v198, s8
	v_dot4c_i32_i8_e32 v212, v197, v15
	v_dot4c_i32_i8_e32 v209, v198, v0
	;; [unrolled: 1-line block ×6, first 2 shown]
	v_and_b32_e32 v200, 15, v152
	v_and_b32_sdwa v152, v152, v158 dst_sel:DWORD dst_unused:UNUSED_PAD src0_sel:BYTE_1 src1_sel:DWORD
	v_dot4c_i32_i8_e32 v212, v198, v9
	v_dot4c_i32_i8_e32 v153, v189, v14
	;; [unrolled: 1-line block ×4, first 2 shown]
	v_and_b32_e32 v199, 0xffff, v152
	v_and_b32_e32 v200, 0xffff, v200
	v_dot4c_i32_i8_e32 v212, v198, v10
	v_dot4c_i32_i8_e32 v153, v190, v15
	;; [unrolled: 1-line block ×4, first 2 shown]
	v_mul_lo_u32 v152, v202, v200
	v_mul_lo_u32 v202, v204, v199
	v_mad_u64_u32 v[210:211], s[16:17], v153, v200, v[202:203]
	v_mad_u64_u32 v[152:153], s[16:17], v203, v199, v[152:153]
	v_cvt_f32_i32_e32 v203, v209
	v_cvt_f32_i32_e32 v202, v212
	;; [unrolled: 1-line block ×4, first 2 shown]
	v_mov_b32_e32 v212, 0
	v_pk_mul_f32 v[202:203], v[150:151], v[202:203] op_sel_hi:[0,1]
	v_mov_b32_e32 v209, 0
	v_pk_fma_f32 v[152:153], v[148:149], v[152:153], v[202:203] op_sel_hi:[0,1,1] neg_lo:[0,0,1] neg_hi:[0,0,1]
	v_pk_fma_f32 v[78:79], v[154:155], v[152:153], v[78:79]
	ds_read_u16 v152, v201
	v_mov_b32_e32 v153, 0
	v_dot4c_i32_i8_e32 v209, v172, v8
	v_dot4c_i32_i8_e32 v153, v179, v12
	;; [unrolled: 1-line block ×3, first 2 shown]
	s_waitcnt lgkmcnt(0)
	v_bfe_u32 v201, v152, 4, 4
	v_mul_lo_u32 v201, v201, s8
	v_dot4c_i32_i8_e32 v212, v201, v4
	v_dot4c_i32_i8_e32 v213, v201, v12
	;; [unrolled: 1-line block ×5, first 2 shown]
	v_lshrrev_b32_sdwa v202, v157, v152 dst_sel:DWORD dst_unused:UNUSED_PAD src0_sel:DWORD src1_sel:BYTE_1
	v_dot4c_i32_i8_e32 v213, v201, v14
	v_dot4c_i32_i8_e32 v212, v201, v7
	v_mul_lo_u32 v202, v202, s8
	v_dot4c_i32_i8_e32 v213, v201, v15
	v_dot4c_i32_i8_e32 v212, v202, v0
	;; [unrolled: 1-line block ×6, first 2 shown]
	v_and_b32_e32 v204, 15, v152
	v_and_b32_sdwa v152, v152, v158 dst_sel:DWORD dst_unused:UNUSED_PAD src0_sel:BYTE_1 src1_sel:DWORD
	v_dot4c_i32_i8_e32 v213, v202, v9
	v_dot4c_i32_i8_e32 v153, v177, v14
	;; [unrolled: 1-line block ×4, first 2 shown]
	v_and_b32_e32 v203, 0xffff, v152
	v_and_b32_e32 v204, 0xffff, v204
	v_dot4c_i32_i8_e32 v213, v202, v10
	v_dot4c_i32_i8_e32 v153, v178, v15
	;; [unrolled: 1-line block ×4, first 2 shown]
	v_mul_lo_u32 v152, v205, v204
	v_mul_lo_u32 v210, v209, v203
	v_mad_u64_u32 v[210:211], s[16:17], v153, v204, v[210:211]
	v_mad_u64_u32 v[152:153], s[16:17], v208, v203, v[152:153]
	v_cvt_f32_i32_e32 v209, v212
	v_cvt_f32_i32_e32 v208, v213
	;; [unrolled: 1-line block ×4, first 2 shown]
	v_mov_b32_e32 v210, 0
	v_pk_mul_f32 v[208:209], v[146:147], v[208:209] op_sel_hi:[0,1]
	v_mov_b32_e32 v211, 0
	v_pk_fma_f32 v[152:153], v[144:145], v[152:153], v[208:209] op_sel_hi:[0,1,1] neg_lo:[0,0,1] neg_hi:[0,0,1]
	v_pk_fma_f32 v[76:77], v[154:155], v[152:153], v[76:77]
	ds_read_u16 v153, v192
	v_mov_b32_e32 v209, 0
	v_mov_b32_e32 v208, 0
	v_dot4c_i32_i8_e32 v209, v160, v8
	v_dot4c_i32_i8_e32 v208, v186, v12
	s_waitcnt lgkmcnt(0)
	v_bfe_u32 v152, v153, 4, 4
	v_mul_lo_u32 v205, v152, s8
	v_dot4c_i32_i8_e32 v210, v205, v4
	v_lshrrev_b32_sdwa v4, v157, v153 dst_sel:DWORD dst_unused:UNUSED_PAD src0_sel:DWORD src1_sel:BYTE_1
	v_mul_lo_u32 v152, v4, s8
	v_mov_b32_e32 v4, 0
	v_dot4c_i32_i8_e32 v210, v205, v5
	v_dot4c_i32_i8_e32 v4, v205, v12
	;; [unrolled: 1-line block ×12, first 2 shown]
	v_and_b32_e32 v0, 15, v153
	v_and_b32_sdwa v1, v153, v158 dst_sel:DWORD dst_unused:UNUSED_PAD src0_sel:BYTE_1 src1_sel:DWORD
	v_dot4c_i32_i8_e32 v4, v152, v8
	v_dot4c_i32_i8_e32 v208, v187, v14
	;; [unrolled: 1-line block ×3, first 2 shown]
	v_and_b32_e32 v153, 0xffff, v1
	v_and_b32_e32 v192, 0xffff, v0
	v_dot4c_i32_i8_e32 v4, v152, v9
	v_dot4c_i32_i8_e32 v208, v188, v15
	v_dot4c_i32_i8_e32 v210, v152, v2
	v_dot4c_i32_i8_e32 v4, v152, v10
	v_mul_lo_u32 v0, v206, v192
	v_mul_lo_u32 v2, v209, v153
	v_dot4c_i32_i8_e32 v210, v152, v3
	v_dot4c_i32_i8_e32 v4, v152, v11
	v_mad_u64_u32 v[2:3], s[16:17], v208, v192, v[2:3]
	v_mad_u64_u32 v[0:1], s[16:17], v207, v153, v[0:1]
	v_cvt_f32_i32_e32 v1, v0
	v_cvt_f32_i32_e32 v0, v2
	;; [unrolled: 1-line block ×4, first 2 shown]
	v_mov_b32_e32 v206, 0
	v_mov_b32_e32 v209, 0
	v_mov_b32_e32 v11, 0
	v_pk_mul_f32 v[2:3], v[138:139], v[2:3] op_sel_hi:[0,1]
	v_pk_fma_f32 v[0:1], v[136:137], v[0:1], v[2:3] op_sel_hi:[0,1,1] neg_lo:[0,0,1] neg_hi:[0,0,1]
	v_pk_fma_f32 v[74:75], v[154:155], v[0:1], v[74:75]
	ds_read2_b32 v[8:9], v147 offset0:64 offset1:96
	ds_read_b128 v[4:7], v145 offset:2048
	ds_read_b128 v[0:3], v145 offset:2064
	v_mov_b32_e32 v154, 0
	v_mov_b32_e32 v13, 0
	;; [unrolled: 1-line block ×3, first 2 shown]
	s_waitcnt lgkmcnt(1)
	v_dot4c_i32_i8_e32 v154, v193, v4
	v_dot4c_i32_i8_e32 v206, v197, v4
	;; [unrolled: 1-line block ×13, first 2 shown]
	v_mov_b32_e32 v155, 0
	v_dot4c_i32_i8_e32 v206, v197, v7
	v_mov_b32_e32 v207, 0
	v_mov_b32_e32 v208, 0
	v_dot4c_i32_i8_e32 v209, v201, v7
	v_mov_b32_e32 v210, 0
	v_mov_b32_e32 v10, 0
	v_dot4c_i32_i8_e32 v11, v205, v7
	v_dot4c_i32_i8_e32 v13, v171, v4
	s_waitcnt lgkmcnt(0)
	v_dot4c_i32_i8_e32 v14, v164, v0
	v_dot4c_i32_i8_e32 v154, v194, v0
	;; [unrolled: 1-line block ×47, first 2 shown]
	ds_read_b128 v[4:7], v145 offset:3072
	ds_read_b128 v[0:3], v145 offset:3088
	v_mov_b32_e32 v212, 0
	v_mov_b32_e32 v12, 0
	;; [unrolled: 1-line block ×3, first 2 shown]
	s_waitcnt lgkmcnt(1)
	v_dot4c_i32_i8_e32 v212, v193, v4
	v_dot4c_i32_i8_e32 v212, v193, v5
	;; [unrolled: 1-line block ×6, first 2 shown]
	s_waitcnt lgkmcnt(0)
	v_dot4c_i32_i8_e32 v213, v164, v0
	v_dot4c_i32_i8_e32 v12, v169, v6
	;; [unrolled: 1-line block ×9, first 2 shown]
	v_mul_lo_u32 v12, v12, v196
	v_mul_lo_u32 v14, v14, v195
	v_dot4c_i32_i8_e32 v212, v194, v3
	v_mad_u64_u32 v[14:15], s[16:17], v13, v196, v[14:15]
	v_mad_u64_u32 v[12:13], s[16:17], v213, v195, v[12:13]
	v_cvt_f32_i32_e32 v13, v12
	v_cvt_f32_i32_e32 v12, v14
	;; [unrolled: 1-line block ×4, first 2 shown]
	v_mov_b32_e32 v154, 0
	v_dot4c_i32_i8_e32 v154, v197, v4
	v_dot4c_i32_i8_e32 v154, v197, v5
	v_pk_mul_f32 v[14:15], v[142:143], v[14:15] op_sel_hi:[0,1]
	v_pk_fma_f32 v[12:13], v[140:141], v[12:13], v[14:15] op_sel_hi:[0,1,1] neg_lo:[0,0,1] neg_hi:[0,0,1]
	v_pk_fma_f32 v[68:69], v[8:9], v[12:13], v[68:69]
	v_mov_b32_e32 v12, 0
	v_dot4c_i32_i8_e32 v12, v191, v4
	v_dot4c_i32_i8_e32 v154, v197, v6
	v_mov_b32_e32 v13, 0
	v_dot4c_i32_i8_e32 v12, v185, v5
	v_dot4c_i32_i8_e32 v154, v197, v7
	;; [unrolled: 1-line block ×11, first 2 shown]
	v_mul_lo_u32 v12, v12, v200
	v_mul_lo_u32 v14, v207, v199
	v_dot4c_i32_i8_e32 v154, v198, v3
	v_mad_u64_u32 v[14:15], s[16:17], v155, v200, v[14:15]
	v_mad_u64_u32 v[12:13], s[16:17], v13, v199, v[12:13]
	v_cvt_f32_i32_e32 v13, v12
	v_cvt_f32_i32_e32 v12, v14
	v_cvt_f32_i32_e32 v15, v154
	v_cvt_f32_i32_e32 v14, v206
	v_mov_b32_e32 v154, 0
	v_dot4c_i32_i8_e32 v154, v201, v4
	v_dot4c_i32_i8_e32 v154, v201, v5
	v_pk_mul_f32 v[14:15], v[150:151], v[14:15] op_sel_hi:[0,1]
	v_pk_fma_f32 v[12:13], v[148:149], v[12:13], v[14:15] op_sel_hi:[0,1,1] neg_lo:[0,0,1] neg_hi:[0,0,1]
	v_pk_fma_f32 v[66:67], v[8:9], v[12:13], v[66:67]
	v_mov_b32_e32 v12, 0
	v_dot4c_i32_i8_e32 v12, v179, v4
	v_dot4c_i32_i8_e32 v154, v201, v6
	v_mov_b32_e32 v13, 0
	v_dot4c_i32_i8_e32 v12, v176, v5
	v_dot4c_i32_i8_e32 v154, v201, v7
	;; [unrolled: 1-line block ×11, first 2 shown]
	v_mul_lo_u32 v12, v12, v204
	v_mul_lo_u32 v14, v210, v203
	v_dot4c_i32_i8_e32 v154, v202, v3
	v_mad_u64_u32 v[14:15], s[16:17], v208, v204, v[14:15]
	v_mad_u64_u32 v[12:13], s[16:17], v13, v203, v[12:13]
	v_cvt_f32_i32_e32 v13, v12
	v_cvt_f32_i32_e32 v12, v14
	;; [unrolled: 1-line block ×4, first 2 shown]
	v_mov_b32_e32 v212, 0
	v_mov_b32_e32 v155, 0
	;; [unrolled: 1-line block ×3, first 2 shown]
	v_pk_mul_f32 v[14:15], v[146:147], v[14:15] op_sel_hi:[0,1]
	v_pk_fma_f32 v[12:13], v[144:145], v[12:13], v[14:15] op_sel_hi:[0,1,1] neg_lo:[0,0,1] neg_hi:[0,0,1]
	v_pk_fma_f32 v[64:65], v[8:9], v[12:13], v[64:65]
	v_mov_b32_e32 v13, 0
	v_dot4c_i32_i8_e32 v13, v205, v4
	v_mov_b32_e32 v12, 0
	v_dot4c_i32_i8_e32 v13, v205, v5
	v_dot4c_i32_i8_e32 v12, v186, v4
	;; [unrolled: 1-line block ×3, first 2 shown]
	v_mov_b32_e32 v4, 0
	v_dot4c_i32_i8_e32 v12, v184, v5
	v_dot4c_i32_i8_e32 v13, v205, v7
	;; [unrolled: 1-line block ×11, first 2 shown]
	v_mul_lo_u32 v0, v12, v192
	v_mul_lo_u32 v2, v211, v153
	v_dot4c_i32_i8_e32 v13, v152, v3
	v_mad_u64_u32 v[2:3], s[16:17], v10, v192, v[2:3]
	v_mad_u64_u32 v[0:1], s[16:17], v4, v153, v[0:1]
	v_cvt_f32_i32_e32 v1, v0
	v_cvt_f32_i32_e32 v0, v2
	;; [unrolled: 1-line block ×4, first 2 shown]
	v_mov_b32_e32 v14, 0
	v_mov_b32_e32 v11, 0
	v_mov_b32_e32 v209, 0
	v_pk_mul_f32 v[2:3], v[138:139], v[2:3] op_sel_hi:[0,1]
	v_pk_fma_f32 v[0:1], v[136:137], v[0:1], v[2:3] op_sel_hi:[0,1,1] neg_lo:[0,0,1] neg_hi:[0,0,1]
	v_pk_fma_f32 v[60:61], v[8:9], v[0:1], v[60:61]
	ds_read2_b32 v[8:9], v147 offset0:128 offset1:160
	ds_read_b128 v[4:7], v145 offset:4096
	ds_read_b128 v[0:3], v145 offset:4112
	v_mov_b32_e32 v154, 0
	v_mov_b32_e32 v206, 0
	;; [unrolled: 1-line block ×3, first 2 shown]
	s_waitcnt lgkmcnt(1)
	v_dot4c_i32_i8_e32 v212, v193, v4
	v_dot4c_i32_i8_e32 v155, v197, v4
	;; [unrolled: 1-line block ×15, first 2 shown]
	v_mov_b32_e32 v15, 0
	v_mov_b32_e32 v10, 0
	v_dot4c_i32_i8_e32 v11, v205, v7
	v_mov_b32_e32 v12, 0
	v_dot4c_i32_i8_e32 v207, v171, v4
	s_waitcnt lgkmcnt(0)
	v_dot4c_i32_i8_e32 v209, v164, v0
	v_dot4c_i32_i8_e32 v212, v194, v0
	;; [unrolled: 1-line block ×47, first 2 shown]
	ds_read_b128 v[4:7], v145 offset:5120
	ds_read_b128 v[0:3], v145 offset:5136
	v_mov_b32_e32 v213, 0
	v_mov_b32_e32 v208, 0
	v_mul_lo_u32 v210, v209, v195
	s_waitcnt lgkmcnt(1)
	v_dot4c_i32_i8_e32 v213, v193, v4
	v_dot4c_i32_i8_e32 v213, v193, v5
	v_dot4c_i32_i8_e32 v208, v171, v4
	v_dot4c_i32_i8_e32 v213, v193, v6
	v_dot4c_i32_i8_e32 v208, v168, v5
	v_dot4c_i32_i8_e32 v213, v193, v7
	s_waitcnt lgkmcnt(0)
	v_dot4c_i32_i8_e32 v214, v164, v0
	v_dot4c_i32_i8_e32 v208, v169, v6
	v_dot4c_i32_i8_e32 v213, v194, v0
	v_dot4c_i32_i8_e32 v214, v165, v1
	v_dot4c_i32_i8_e32 v208, v170, v7
	v_dot4c_i32_i8_e32 v213, v194, v1
	v_dot4c_i32_i8_e32 v214, v166, v2
	v_dot4c_i32_i8_e32 v213, v194, v2
	v_dot4c_i32_i8_e32 v214, v167, v3
	v_mul_lo_u32 v208, v208, v196
	v_dot4c_i32_i8_e32 v213, v194, v3
	v_mad_u64_u32 v[210:211], s[16:17], v207, v196, v[210:211]
	v_mad_u64_u32 v[208:209], s[16:17], v214, v195, v[208:209]
	v_cvt_f32_i32_e32 v209, v208
	v_cvt_f32_i32_e32 v208, v210
	;; [unrolled: 1-line block ×4, first 2 shown]
	v_mov_b32_e32 v207, 0
	v_dot4c_i32_i8_e32 v207, v191, v4
	v_dot4c_i32_i8_e32 v207, v185, v5
	v_pk_mul_f32 v[210:211], v[142:143], v[210:211] op_sel_hi:[0,1]
	v_pk_fma_f32 v[208:209], v[140:141], v[208:209], v[210:211] op_sel_hi:[0,1,1] neg_lo:[0,0,1] neg_hi:[0,0,1]
	v_mov_b32_e32 v210, 0
	v_dot4c_i32_i8_e32 v210, v197, v4
	v_dot4c_i32_i8_e32 v210, v197, v5
	v_pk_fma_f32 v[30:31], v[8:9], v[208:209], v[30:31]
	v_dot4c_i32_i8_e32 v210, v197, v6
	v_mov_b32_e32 v209, 0
	v_dot4c_i32_i8_e32 v210, v197, v7
	v_dot4c_i32_i8_e32 v209, v180, v0
	;; [unrolled: 1-line block ×10, first 2 shown]
	v_mul_lo_u32 v208, v207, v200
	v_mul_lo_u32 v206, v206, v199
	v_dot4c_i32_i8_e32 v210, v198, v3
	v_mad_u64_u32 v[206:207], s[16:17], v154, v200, v[206:207]
	v_mad_u64_u32 v[208:209], s[16:17], v209, v199, v[208:209]
	v_cvt_f32_i32_e32 v207, v208
	v_cvt_f32_i32_e32 v209, v210
	;; [unrolled: 1-line block ×5, first 2 shown]
	v_mov_b32_e32 v210, 0
	v_pk_mul_f32 v[154:155], v[150:151], v[208:209] op_sel_hi:[0,1]
	v_mov_b32_e32 v208, 0
	v_dot4c_i32_i8_e32 v208, v201, v4
	v_pk_fma_f32 v[154:155], v[148:149], v[206:207], v[154:155] op_sel_hi:[0,1,1] neg_lo:[0,0,1] neg_hi:[0,0,1]
	v_dot4c_i32_i8_e32 v208, v201, v5
	v_pk_fma_f32 v[28:29], v[8:9], v[154:155], v[28:29]
	v_mov_b32_e32 v154, 0
	v_dot4c_i32_i8_e32 v208, v201, v6
	v_dot4c_i32_i8_e32 v154, v179, v4
	;; [unrolled: 1-line block ×3, first 2 shown]
	v_mov_b32_e32 v155, 0
	v_dot4c_i32_i8_e32 v154, v176, v5
	v_dot4c_i32_i8_e32 v155, v172, v0
	;; [unrolled: 1-line block ×11, first 2 shown]
	v_mul_lo_u32 v154, v154, v204
	v_mul_lo_u32 v206, v15, v203
	v_mad_u64_u32 v[206:207], s[16:17], v13, v204, v[206:207]
	v_mad_u64_u32 v[154:155], s[16:17], v155, v203, v[154:155]
	v_cvt_f32_i32_e32 v15, v208
	v_cvt_f32_i32_e32 v155, v154
	;; [unrolled: 1-line block ×3, first 2 shown]
	v_mov_b32_e32 v13, 0
	v_pk_mul_f32 v[14:15], v[146:147], v[14:15] op_sel_hi:[0,1]
	v_dot4c_i32_i8_e32 v13, v186, v4
	v_pk_fma_f32 v[14:15], v[144:145], v[154:155], v[14:15] op_sel_hi:[0,1,1] neg_lo:[0,0,1] neg_hi:[0,0,1]
	v_pk_fma_f32 v[26:27], v[8:9], v[14:15], v[26:27]
	v_mov_b32_e32 v14, 0
	v_dot4c_i32_i8_e32 v14, v205, v4
	v_dot4c_i32_i8_e32 v14, v205, v5
	;; [unrolled: 1-line block ×3, first 2 shown]
	v_mov_b32_e32 v4, 0
	v_dot4c_i32_i8_e32 v13, v184, v5
	v_dot4c_i32_i8_e32 v14, v205, v7
	;; [unrolled: 1-line block ×11, first 2 shown]
	v_mul_lo_u32 v0, v13, v192
	v_mul_lo_u32 v2, v12, v153
	v_dot4c_i32_i8_e32 v14, v152, v3
	v_mad_u64_u32 v[2:3], s[16:17], v10, v192, v[2:3]
	v_mad_u64_u32 v[0:1], s[16:17], v4, v153, v[0:1]
	v_cvt_f32_i32_e32 v1, v0
	v_cvt_f32_i32_e32 v0, v2
	v_cvt_f32_i32_e32 v3, v14
	v_cvt_f32_i32_e32 v2, v11
	v_mov_b32_e32 v207, 0
	v_mov_b32_e32 v155, 0
	;; [unrolled: 1-line block ×3, first 2 shown]
	v_pk_mul_f32 v[2:3], v[138:139], v[2:3] op_sel_hi:[0,1]
	v_pk_fma_f32 v[0:1], v[136:137], v[0:1], v[2:3] op_sel_hi:[0,1,1] neg_lo:[0,0,1] neg_hi:[0,0,1]
	v_pk_fma_f32 v[24:25], v[8:9], v[0:1], v[24:25]
	ds_read2_b32 v[8:9], v147 offset0:192 offset1:224
	ds_read_b128 v[4:7], v145 offset:6144
	ds_read_b128 v[0:3], v145 offset:6160
	v_mov_b32_e32 v11, 0
	v_mov_b32_e32 v206, 0
	;; [unrolled: 1-line block ×3, first 2 shown]
	s_waitcnt lgkmcnt(1)
	v_dot4c_i32_i8_e32 v207, v193, v4
	v_dot4c_i32_i8_e32 v155, v197, v4
	v_dot4c_i32_i8_e32 v14, v201, v4
	v_dot4c_i32_i8_e32 v11, v205, v4
	v_dot4c_i32_i8_e32 v207, v193, v5
	v_dot4c_i32_i8_e32 v155, v197, v5
	v_dot4c_i32_i8_e32 v14, v201, v5
	v_dot4c_i32_i8_e32 v11, v205, v5
	v_dot4c_i32_i8_e32 v207, v193, v6
	v_dot4c_i32_i8_e32 v155, v197, v6
	v_dot4c_i32_i8_e32 v14, v201, v6
	v_dot4c_i32_i8_e32 v11, v205, v6
	v_dot4c_i32_i8_e32 v207, v193, v7
	v_mov_b32_e32 v154, 0
	v_dot4c_i32_i8_e32 v155, v197, v7
	v_mov_b32_e32 v209, 0
	v_mov_b32_e32 v13, 0
	v_dot4c_i32_i8_e32 v14, v201, v7
	v_mov_b32_e32 v15, 0
	;; [unrolled: 3-line block ×3, first 2 shown]
	v_dot4c_i32_i8_e32 v206, v171, v4
	s_waitcnt lgkmcnt(0)
	v_dot4c_i32_i8_e32 v208, v164, v0
	v_dot4c_i32_i8_e32 v207, v194, v0
	;; [unrolled: 1-line block ×47, first 2 shown]
	ds_read_b128 v[4:7], v145 offset:7168
	ds_read_b128 v[0:3], v145 offset:7184
	v_cvt_f32_i32_e32 v14, v14
	s_waitcnt lgkmcnt(1)
	v_dot4c_i32_i8_e32 v210, v171, v4
	v_mov_b32_e32 v171, 0
	v_dot4c_i32_i8_e32 v171, v193, v4
	v_dot4c_i32_i8_e32 v171, v193, v5
	;; [unrolled: 1-line block ×4, first 2 shown]
	v_mov_b32_e32 v168, 0
	v_dot4c_i32_i8_e32 v171, v193, v7
	s_waitcnt lgkmcnt(0)
	v_dot4c_i32_i8_e32 v168, v164, v0
	v_dot4c_i32_i8_e32 v210, v169, v6
	;; [unrolled: 1-line block ×9, first 2 shown]
	v_mul_lo_u32 v164, v210, v196
	v_mul_lo_u32 v166, v208, v195
	v_dot4c_i32_i8_e32 v171, v194, v3
	v_mad_u64_u32 v[166:167], s[16:17], v206, v196, v[166:167]
	v_mad_u64_u32 v[164:165], s[16:17], v168, v195, v[164:165]
	v_cvt_f32_i32_e32 v165, v164
	v_cvt_f32_i32_e32 v164, v166
	;; [unrolled: 1-line block ×4, first 2 shown]
	v_mov_b32_e32 v168, 0
	v_dot4c_i32_i8_e32 v168, v197, v4
	v_dot4c_i32_i8_e32 v168, v197, v5
	v_pk_mul_f32 v[166:167], v[142:143], v[166:167] op_sel_hi:[0,1]
	v_pk_fma_f32 v[164:165], v[140:141], v[164:165], v[166:167] op_sel_hi:[0,1,1] neg_lo:[0,0,1] neg_hi:[0,0,1]
	v_mov_b32_e32 v140, 0
	v_dot4c_i32_i8_e32 v140, v191, v4
	v_dot4c_i32_i8_e32 v168, v197, v6
	v_mov_b32_e32 v166, 0
	v_dot4c_i32_i8_e32 v140, v185, v5
	v_dot4c_i32_i8_e32 v168, v197, v7
	;; [unrolled: 1-line block ×11, first 2 shown]
	v_mul_lo_u32 v140, v140, v200
	v_mul_lo_u32 v142, v209, v199
	v_pk_fma_f32 v[22:23], v[8:9], v[164:165], v[22:23]
	v_dot4c_i32_i8_e32 v168, v198, v3
	v_mad_u64_u32 v[164:165], s[16:17], v154, v200, v[142:143]
	v_mad_u64_u32 v[166:167], s[16:17], v166, v199, v[140:141]
	v_cvt_f32_i32_e32 v165, v166
	v_cvt_f32_i32_e32 v167, v168
	;; [unrolled: 1-line block ×4, first 2 shown]
	v_mov_b32_e32 v140, 0
	v_dot4c_i32_i8_e32 v140, v179, v4
	v_pk_mul_f32 v[154:155], v[150:151], v[166:167] op_sel_hi:[0,1]
	v_pk_fma_f32 v[154:155], v[148:149], v[164:165], v[154:155] op_sel_hi:[0,1,1] neg_lo:[0,0,1] neg_hi:[0,0,1]
	v_mov_b32_e32 v148, 0
	v_dot4c_i32_i8_e32 v148, v201, v4
	v_dot4c_i32_i8_e32 v148, v201, v5
	;; [unrolled: 1-line block ×4, first 2 shown]
	v_mov_b32_e32 v150, 0
	v_dot4c_i32_i8_e32 v140, v176, v5
	v_dot4c_i32_i8_e32 v150, v172, v0
	;; [unrolled: 1-line block ×11, first 2 shown]
	v_mul_lo_u32 v140, v140, v204
	v_mul_lo_u32 v142, v15, v203
	v_pk_fma_f32 v[20:21], v[8:9], v[154:155], v[20:21]
	v_mad_u64_u32 v[154:155], s[16:17], v13, v204, v[142:143]
	v_mad_u64_u32 v[164:165], s[16:17], v150, v203, v[140:141]
	v_cvt_f32_i32_e32 v15, v148
	v_cvt_f32_i32_e32 v155, v164
	;; [unrolled: 1-line block ×3, first 2 shown]
	v_mov_b32_e32 v13, 0
	v_pk_mul_f32 v[14:15], v[146:147], v[14:15] op_sel_hi:[0,1]
	v_dot4c_i32_i8_e32 v13, v205, v4
	v_pk_fma_f32 v[14:15], v[144:145], v[154:155], v[14:15] op_sel_hi:[0,1,1] neg_lo:[0,0,1] neg_hi:[0,0,1]
	v_pk_fma_f32 v[18:19], v[8:9], v[14:15], v[18:19]
	v_mov_b32_e32 v14, 0
	v_dot4c_i32_i8_e32 v13, v205, v5
	v_dot4c_i32_i8_e32 v14, v186, v4
	;; [unrolled: 1-line block ×3, first 2 shown]
	v_mov_b32_e32 v4, 0
	v_dot4c_i32_i8_e32 v14, v184, v5
	v_dot4c_i32_i8_e32 v13, v205, v7
	;; [unrolled: 1-line block ×11, first 2 shown]
	v_mul_lo_u32 v0, v14, v192
	v_mul_lo_u32 v2, v12, v153
	v_dot4c_i32_i8_e32 v13, v152, v3
	v_mad_u64_u32 v[2:3], s[16:17], v10, v192, v[2:3]
	v_mad_u64_u32 v[0:1], s[16:17], v4, v153, v[0:1]
	v_cvt_f32_i32_e32 v1, v0
	v_cvt_f32_i32_e32 v0, v2
	;; [unrolled: 1-line block ×4, first 2 shown]
	s_add_i32 s16, s11, 2
	v_add_u32_e32 v147, 4, v147
	v_add_u32_e32 v145, 32, v145
	v_pk_mul_f32 v[2:3], v[138:139], v[2:3] op_sel_hi:[0,1]
	v_pk_fma_f32 v[0:1], v[136:137], v[0:1], v[2:3] op_sel_hi:[0,1,1] neg_lo:[0,0,1] neg_hi:[0,0,1]
	v_pk_fma_f32 v[16:17], v[8:9], v[0:1], v[16:17]
	s_cmp_lt_u32 s11, 6
	s_mov_b32 s11, s16
	s_cbranch_scc1 .LBB128_7
; %bb.8:                                ;   in Loop: Header=BB128_6 Depth=1
	v_add_u32_e32 v14, s9, v99
	v_add_u32_e32 v0, v14, v59
	;; [unrolled: 1-line block ×6, first 2 shown]
	v_mad_i64_i32 v[0:1], s[16:17], v0, 36, v[88:89]
	v_mad_i64_i32 v[2:3], s[16:17], v2, 36, v[88:89]
	;; [unrolled: 1-line block ×4, first 2 shown]
	v_add_u32_e32 v8, v14, v87
	v_add_u32_e32 v10, v14, v93
	v_add_u32_e32 v12, v14, v95
	v_add_u32_e32 v14, v14, v97
	v_mad_u64_u32 v[144:145], s[16:17], v136, 36, s[2:3]
	s_barrier
	v_mad_i64_i32 v[8:9], s[16:17], v8, 36, v[88:89]
	v_mad_i64_i32 v[10:11], s[16:17], v10, 36, v[88:89]
	;; [unrolled: 1-line block ×4, first 2 shown]
	global_load_dword v136, v[144:145], off
	s_nop 0
	global_load_dword v0, v[0:1], off offset:4
	s_nop 0
	global_load_dword v1, v[2:3], off offset:4
	;; [unrolled: 2-line block ×3, first 2 shown]
	global_load_dword v3, v[6:7], off offset:4
	s_nop 0
	global_load_dword v4, v[8:9], off offset:4
	global_load_dword v5, v[10:11], off offset:4
	;; [unrolled: 1-line block ×4, first 2 shown]
	s_mov_b32 s11, 8
	v_mov_b32_e32 v145, v125
	v_mov_b32_e32 v147, v107
	s_waitcnt vmcnt(8)
	v_cvt_f32_f16_e32 v8, v136
	s_waitcnt vmcnt(7)
	ds_write_b32 v123, v0
	s_waitcnt vmcnt(6)
	ds_write_b32 v109, v1
	;; [unrolled: 2-line block ×8, first 2 shown]
	ds_write_b32 v57, v8
	s_waitcnt lgkmcnt(0)
	s_barrier
.LBB128_9:                              ;   Parent Loop BB128_6 Depth=1
                                        ; =>  This Inner Loop Header: Depth=2
	s_and_b32 s18, s11, 0x3ffffff8
	v_lshl_add_u32 v10, s18, 2, v105
	ds_read2_b32 v[152:153], v147 offset1:32
	ds_read_b128 v[4:7], v145
	ds_read_b128 v[0:3], v145 offset:16
	ds_read2_b32 v[8:9], v10 offset1:1
	s_add_i32 s16, s11, -8
	s_lshr_b32 s18, s11, 2
	s_and_b32 s18, s18, 0x3ffffffc
	s_addk_i32 s18, 0x7280
	s_waitcnt lgkmcnt(0)
	v_ashrrev_i32_e32 v8, s16, v8
	v_and_b32_e32 v175, 0x3030303, v8
	v_ashrrev_i32_e32 v8, s16, v9
	v_and_b32_e32 v172, 0x3030303, v8
	ds_read2_b32 v[8:9], v10 offset0:2 offset1:3
	s_and_b32 s17, s11, -16
	s_add_i32 s17, s11, s17
	v_add_u32_e32 v155, s17, v39
	v_mov_b32_e32 v205, 0
	s_waitcnt lgkmcnt(0)
	v_ashrrev_i32_e32 v8, s16, v8
	v_and_b32_e32 v173, 0x3030303, v8
	v_ashrrev_i32_e32 v8, s16, v9
	v_and_b32_e32 v174, 0x3030303, v8
	ds_read2_b32 v[8:9], v10 offset0:4 offset1:5
	v_mov_b32_e32 v209, 0
	v_mov_b32_e32 v198, 0
	v_mov_b32_e32 v200, 0
	v_mov_b32_e32 v154, 0
	s_waitcnt lgkmcnt(0)
	v_ashrrev_i32_e32 v8, s16, v8
	v_and_b32_e32 v164, 0x3030303, v8
	v_ashrrev_i32_e32 v8, s16, v9
	v_and_b32_e32 v165, 0x3030303, v8
	ds_read2_b32 v[8:9], v10 offset0:6 offset1:7
	v_dot4c_i32_i8_e32 v198, v164, v0
	v_dot4c_i32_i8_e32 v154, v175, v4
	;; [unrolled: 1-line block ×4, first 2 shown]
	s_waitcnt lgkmcnt(0)
	v_ashrrev_i32_e32 v8, s16, v8
	v_and_b32_e32 v166, 0x3030303, v8
	v_ashrrev_i32_e32 v8, s16, v9
	v_and_b32_e32 v167, 0x3030303, v8
	v_add3_u32 v8, s18, v156, v127
	ds_read_b32 v8, v8
	v_dot4c_i32_i8_e32 v198, v166, v2
	v_dot4c_i32_i8_e32 v154, v173, v6
	;; [unrolled: 1-line block ×4, first 2 shown]
	s_waitcnt lgkmcnt(0)
	v_cvt_f32_f16_e32 v140, v8
	v_cvt_f32_f16_sdwa v142, v8 dst_sel:DWORD dst_unused:UNUSED_PAD src0_sel:WORD_1
	v_add_u32_e32 v8, 0x1080, v10
	ds_read2_b32 v[8:9], v8 offset1:1
	v_add_u32_e32 v199, s17, v45
                                        ; kill: def $vgpr201 killed $sgpr0 killed $exec
	v_add_u32_e32 v197, s17, v41
	v_add_u32_e32 v203, s17, v43
	v_mov_b32_e32 v204, 0
	s_waitcnt lgkmcnt(0)
	v_ashrrev_i32_e32 v8, s16, v8
	v_and_b32_e32 v183, 0x3030303, v8
	v_ashrrev_i32_e32 v8, s16, v9
	v_and_b32_e32 v176, 0x3030303, v8
	v_add_u32_e32 v8, 0x1088, v10
	ds_read2_b32 v[8:9], v8 offset1:1
	v_mov_b32_e32 v210, 0
	v_mov_b32_e32 v202, 0
	v_dot4c_i32_i8_e32 v202, v183, v4
	v_dot4c_i32_i8_e32 v202, v176, v5
	s_waitcnt lgkmcnt(0)
	v_ashrrev_i32_e32 v8, s16, v8
	v_and_b32_e32 v179, 0x3030303, v8
	v_ashrrev_i32_e32 v8, s16, v9
	v_and_b32_e32 v180, 0x3030303, v8
	v_add_u32_e32 v8, 0x1090, v10
	ds_read2_b32 v[8:9], v8 offset1:1
	v_dot4c_i32_i8_e32 v202, v179, v6
	v_dot4c_i32_i8_e32 v202, v180, v7
	v_mov_b32_e32 v206, 0
	v_mov_b32_e32 v212, 0
	s_waitcnt lgkmcnt(0)
	v_ashrrev_i32_e32 v8, s16, v8
	v_and_b32_e32 v168, 0x3030303, v8
	v_ashrrev_i32_e32 v8, s16, v9
	v_and_b32_e32 v169, 0x3030303, v8
	v_add_u32_e32 v8, 0x1098, v10
	ds_read2_b32 v[8:9], v8 offset1:1
	v_dot4c_i32_i8_e32 v204, v168, v0
	v_dot4c_i32_i8_e32 v204, v169, v1
	v_mov_b32_e32 v207, 0
	v_mov_b32_e32 v196, 0
	s_waitcnt lgkmcnt(0)
	v_ashrrev_i32_e32 v8, s16, v8
	v_and_b32_e32 v170, 0x3030303, v8
	v_ashrrev_i32_e32 v8, s16, v9
	v_and_b32_e32 v171, 0x3030303, v8
	v_add3_u32 v8, s18, v129, v131
	ds_read_b32 v8, v8
	v_dot4c_i32_i8_e32 v204, v170, v2
	v_dot4c_i32_i8_e32 v204, v171, v3
	v_mov_b32_e32 v208, 0
	v_mov_b32_e32 v213, 0
	s_waitcnt lgkmcnt(0)
	v_cvt_f32_f16_e32 v144, v8
	v_cvt_f32_f16_sdwa v146, v8 dst_sel:DWORD dst_unused:UNUSED_PAD src0_sel:WORD_1
	v_add_u32_e32 v8, 0x2100, v10
	ds_read2_b32 v[8:9], v8 offset1:1
	v_mov_b32_e32 v214, 0
	s_waitcnt lgkmcnt(0)
	v_ashrrev_i32_e32 v8, s16, v8
	v_and_b32_e32 v187, 0x3030303, v8
	v_ashrrev_i32_e32 v8, s16, v9
	v_and_b32_e32 v184, 0x3030303, v8
	v_add_u32_e32 v8, 0x2108, v10
	ds_read2_b32 v[8:9], v8 offset1:1
	v_dot4c_i32_i8_e32 v196, v187, v4
	v_dot4c_i32_i8_e32 v196, v184, v5
	s_waitcnt lgkmcnt(0)
	v_ashrrev_i32_e32 v8, s16, v8
	v_and_b32_e32 v185, 0x3030303, v8
	v_ashrrev_i32_e32 v8, s16, v9
	v_and_b32_e32 v186, 0x3030303, v8
	v_add_u32_e32 v8, 0x2110, v10
	ds_read2_b32 v[8:9], v8 offset1:1
	v_dot4c_i32_i8_e32 v196, v185, v6
	v_dot4c_i32_i8_e32 v196, v186, v7
	;; [unrolled: 9-line block ×3, first 2 shown]
	s_waitcnt lgkmcnt(0)
	v_ashrrev_i32_e32 v8, s16, v8
	v_and_b32_e32 v181, 0x3030303, v8
	v_ashrrev_i32_e32 v8, s16, v9
	v_and_b32_e32 v182, 0x3030303, v8
	v_add3_u32 v8, s18, v133, v135
	ds_read_b32 v8, v8
	v_dot4c_i32_i8_e32 v206, v181, v2
	v_dot4c_i32_i8_e32 v206, v182, v3
	s_waitcnt lgkmcnt(0)
	v_cvt_f32_f16_e32 v148, v8
	v_cvt_f32_f16_sdwa v150, v8 dst_sel:DWORD dst_unused:UNUSED_PAD src0_sel:WORD_1
	v_add_u32_e32 v8, 0x3180, v10
	ds_read2_b32 v[8:9], v8 offset1:1
	s_waitcnt lgkmcnt(0)
	v_ashrrev_i32_e32 v8, s16, v8
	v_and_b32_e32 v191, 0x3030303, v8
	v_ashrrev_i32_e32 v8, s16, v9
	v_and_b32_e32 v188, 0x3030303, v8
	v_add_u32_e32 v8, 0x3188, v10
	ds_read2_b32 v[8:9], v8 offset1:1
	v_dot4c_i32_i8_e32 v207, v191, v4
	v_dot4c_i32_i8_e32 v207, v188, v5
	s_waitcnt lgkmcnt(0)
	v_ashrrev_i32_e32 v8, s16, v8
	v_and_b32_e32 v189, 0x3030303, v8
	v_ashrrev_i32_e32 v8, s16, v9
	v_and_b32_e32 v190, 0x3030303, v8
	v_add_u32_e32 v8, 0x3190, v10
	ds_read2_b32 v[8:9], v8 offset1:1
	v_dot4c_i32_i8_e32 v207, v189, v6
	v_dot4c_i32_i8_e32 v207, v190, v7
	;; [unrolled: 9-line block ×3, first 2 shown]
	s_waitcnt lgkmcnt(0)
	v_ashrrev_i32_e32 v8, s16, v8
	v_and_b32_e32 v162, 0x3030303, v8
	v_ashrrev_i32_e32 v8, s16, v9
	v_and_b32_e32 v163, 0x3030303, v8
	v_add3_u32 v8, s18, v137, v139
	ds_read_b32 v8, v8
	v_dot4c_i32_i8_e32 v208, v162, v2
	v_dot4c_i32_i8_e32 v208, v163, v3
	s_waitcnt lgkmcnt(0)
	v_cvt_f32_f16_e32 v136, v8
	v_cvt_f32_f16_sdwa v138, v8 dst_sel:DWORD dst_unused:UNUSED_PAD src0_sel:WORD_1
	ds_read_b128 v[12:15], v145 offset:1024
	ds_read_b128 v[8:11], v145 offset:1040
	ds_read_u16 v155, v155 offset:25088
	s_waitcnt lgkmcnt(2)
	v_dot4c_i32_i8_e32 v200, v175, v12
	v_dot4c_i32_i8_e32 v200, v172, v13
	s_waitcnt lgkmcnt(0)
	v_bfe_u32 v192, v155, 4, 4
	v_mul_lo_u32 v195, v192, s8
	v_dot4c_i32_i8_e32 v205, v195, v4
	v_dot4c_i32_i8_e32 v209, v195, v12
	;; [unrolled: 1-line block ×3, first 2 shown]
	v_and_b32_sdwa v192, v155, v158 dst_sel:DWORD dst_unused:UNUSED_PAD src0_sel:BYTE_1 src1_sel:DWORD
	v_and_b32_e32 v193, 15, v155
	v_lshrrev_b32_sdwa v155, v157, v155 dst_sel:DWORD dst_unused:UNUSED_PAD src0_sel:DWORD src1_sel:BYTE_1
	v_dot4c_i32_i8_e32 v209, v195, v13
	v_dot4c_i32_i8_e32 v205, v195, v6
	v_mul_lo_u32 v194, v155, s8
	v_dot4c_i32_i8_e32 v209, v195, v14
	v_mov_b32_e32 v155, 0
	v_dot4c_i32_i8_e32 v205, v195, v7
	v_dot4c_i32_i8_e32 v209, v195, v15
	;; [unrolled: 1-line block ×8, first 2 shown]
	v_and_b32_e32 v193, 0xffff, v193
	v_and_b32_e32 v192, 0xffff, v192
	v_dot4c_i32_i8_e32 v205, v194, v1
	v_dot4c_i32_i8_e32 v209, v194, v9
	;; [unrolled: 1-line block ×4, first 2 shown]
	v_mul_lo_u32 v198, v198, v192
	v_mul_lo_u32 v200, v200, v193
	v_dot4c_i32_i8_e32 v209, v194, v10
	v_dot4c_i32_i8_e32 v155, v167, v11
	;; [unrolled: 1-line block ×4, first 2 shown]
	s_nop 0
	v_mad_u64_u32 v[200:201], s[16:17], v155, v192, v[200:201]
	v_mad_u64_u32 v[154:155], s[16:17], v193, v154, v[198:199]
	v_cvt_f32_i32_e32 v155, v154
	v_cvt_f32_i32_e32 v154, v200
	;; [unrolled: 1-line block ×4, first 2 shown]
	ds_read_u16 v199, v199 offset:28160
	v_mov_b32_e32 v209, 0
                                        ; kill: def $vgpr205 killed $sgpr0 killed $exec
	v_pk_mul_f32 v[200:201], v[142:143], v[200:201] op_sel_hi:[0,1]
	v_pk_fma_f32 v[200:201], v[140:141], v[154:155], v[200:201] op_sel_hi:[0,1,1] neg_lo:[0,0,1] neg_hi:[0,0,1]
	v_mov_b32_e32 v155, v152
	ds_read_u16 v152, v197 offset:26112
	v_mov_b32_e32 v154, v153
	v_mov_b32_e32 v153, 0
	v_dot4c_i32_i8_e32 v153, v183, v12
	v_dot4c_i32_i8_e32 v153, v176, v13
	s_waitcnt lgkmcnt(0)
	v_bfe_u32 v197, v152, 4, 4
	v_pk_fma_f32 v[72:73], v[154:155], v[200:201], v[72:73]
	v_dot4c_i32_i8_e32 v153, v179, v14
	v_mul_lo_u32 v201, v197, s8
	v_and_b32_sdwa v197, v152, v158 dst_sel:DWORD dst_unused:UNUSED_PAD src0_sel:BYTE_1 src1_sel:DWORD
	v_and_b32_e32 v198, 15, v152
	v_dot4c_i32_i8_e32 v153, v180, v15
	v_dot4c_i32_i8_e32 v209, v201, v4
	v_and_b32_e32 v198, 0xffff, v198
	v_and_b32_e32 v197, 0xffff, v197
	v_lshrrev_b32_sdwa v152, v157, v152 dst_sel:DWORD dst_unused:UNUSED_PAD src0_sel:DWORD src1_sel:BYTE_1
	v_dot4c_i32_i8_e32 v210, v201, v12
	v_dot4c_i32_i8_e32 v209, v201, v5
	v_mul_lo_u32 v200, v152, s8
	v_dot4c_i32_i8_e32 v210, v201, v13
	v_mul_lo_u32 v152, v204, v197
	v_mul_lo_u32 v204, v153, v198
	v_mov_b32_e32 v153, 0
	v_dot4c_i32_i8_e32 v209, v201, v6
	v_dot4c_i32_i8_e32 v210, v201, v14
	v_dot4c_i32_i8_e32 v153, v168, v8
	v_dot4c_i32_i8_e32 v209, v201, v7
	v_dot4c_i32_i8_e32 v210, v201, v15
	v_dot4c_i32_i8_e32 v153, v169, v9
	v_dot4c_i32_i8_e32 v209, v200, v0
	v_dot4c_i32_i8_e32 v210, v200, v8
	v_dot4c_i32_i8_e32 v153, v170, v10
	v_dot4c_i32_i8_e32 v209, v200, v1
	v_dot4c_i32_i8_e32 v210, v200, v9
	v_dot4c_i32_i8_e32 v153, v171, v11
	v_dot4c_i32_i8_e32 v209, v200, v2
	v_dot4c_i32_i8_e32 v210, v200, v10
	v_dot4c_i32_i8_e32 v209, v200, v3
	v_mad_u64_u32 v[204:205], s[16:17], v153, v197, v[204:205]
                                        ; kill: def $vgpr153 killed $sgpr0 killed $exec
	v_dot4c_i32_i8_e32 v210, v200, v11
	v_mad_u64_u32 v[152:153], s[16:17], v198, v202, v[152:153]
	v_cvt_f32_i32_e32 v153, v152
	v_cvt_f32_i32_e32 v152, v204
	;; [unrolled: 1-line block ×4, first 2 shown]
	v_mov_b32_e32 v209, 0
	v_pk_mul_f32 v[204:205], v[146:147], v[204:205] op_sel_hi:[0,1]
	v_pk_fma_f32 v[152:153], v[144:145], v[152:153], v[204:205] op_sel_hi:[0,1,1] neg_lo:[0,0,1] neg_hi:[0,0,1]
	v_pk_fma_f32 v[78:79], v[154:155], v[152:153], v[78:79]
	ds_read_u16 v152, v203 offset:27136
	v_mov_b32_e32 v153, 0
	v_dot4c_i32_i8_e32 v153, v187, v12
	v_dot4c_i32_i8_e32 v153, v184, v13
	;; [unrolled: 1-line block ×3, first 2 shown]
	s_waitcnt lgkmcnt(0)
	v_bfe_u32 v202, v152, 4, 4
	v_mul_lo_u32 v205, v202, s8
	v_and_b32_sdwa v202, v152, v158 dst_sel:DWORD dst_unused:UNUSED_PAD src0_sel:BYTE_1 src1_sel:DWORD
	v_and_b32_e32 v203, 15, v152
	v_dot4c_i32_i8_e32 v153, v186, v15
	v_dot4c_i32_i8_e32 v209, v205, v4
	v_and_b32_e32 v203, 0xffff, v203
	v_and_b32_e32 v202, 0xffff, v202
	v_lshrrev_b32_sdwa v152, v157, v152 dst_sel:DWORD dst_unused:UNUSED_PAD src0_sel:DWORD src1_sel:BYTE_1
	v_dot4c_i32_i8_e32 v212, v205, v12
	v_dot4c_i32_i8_e32 v209, v205, v5
	v_mul_lo_u32 v204, v152, s8
	v_dot4c_i32_i8_e32 v212, v205, v13
	v_mul_lo_u32 v152, v206, v202
	v_mul_lo_u32 v206, v153, v203
	v_mov_b32_e32 v153, 0
	v_dot4c_i32_i8_e32 v209, v205, v6
	v_dot4c_i32_i8_e32 v212, v205, v14
	;; [unrolled: 1-line block ×15, first 2 shown]
	v_mad_u64_u32 v[210:211], s[16:17], v153, v202, v[206:207]
                                        ; kill: def $vgpr153 killed $sgpr0 killed $exec
	v_dot4c_i32_i8_e32 v212, v204, v11
	v_mad_u64_u32 v[152:153], s[16:17], v203, v196, v[152:153]
	v_cvt_f32_i32_e32 v153, v152
	v_cvt_f32_i32_e32 v152, v210
	;; [unrolled: 1-line block ×4, first 2 shown]
	v_mov_b32_e32 v209, 0
	v_mov_b32_e32 v212, 0
	v_pk_mul_f32 v[210:211], v[150:151], v[210:211] op_sel_hi:[0,1]
	v_pk_fma_f32 v[152:153], v[148:149], v[152:153], v[210:211] op_sel_hi:[0,1,1] neg_lo:[0,0,1] neg_hi:[0,0,1]
	v_pk_fma_f32 v[76:77], v[154:155], v[152:153], v[76:77]
	v_bfe_u32 v153, v199, 4, 4
	v_mul_lo_u32 v206, v153, s8
	v_dot4c_i32_i8_e32 v209, v206, v4
	v_dot4c_i32_i8_e32 v209, v206, v5
	v_and_b32_sdwa v4, v199, v158 dst_sel:DWORD dst_unused:UNUSED_PAD src0_sel:BYTE_1 src1_sel:DWORD
	v_dot4c_i32_i8_e32 v209, v206, v6
	v_and_b32_e32 v153, 0xffff, v4
	v_lshrrev_b32_sdwa v4, v157, v199 dst_sel:DWORD dst_unused:UNUSED_PAD src0_sel:DWORD src1_sel:BYTE_1
	v_dot4c_i32_i8_e32 v209, v206, v7
	v_and_b32_e32 v5, 15, v199
	v_mul_lo_u32 v199, v4, s8
	v_mov_b32_e32 v4, 0
	v_mov_b32_e32 v152, 0
	v_dot4c_i32_i8_e32 v209, v199, v0
	v_dot4c_i32_i8_e32 v4, v206, v12
	;; [unrolled: 1-line block ×5, first 2 shown]
	v_mov_b32_e32 v1, 0
	v_dot4c_i32_i8_e32 v152, v188, v13
	v_dot4c_i32_i8_e32 v4, v206, v14
	;; [unrolled: 1-line block ×7, first 2 shown]
	v_and_b32_e32 v196, 0xffff, v5
	v_dot4c_i32_i8_e32 v209, v199, v2
	v_dot4c_i32_i8_e32 v4, v199, v8
	;; [unrolled: 1-line block ×4, first 2 shown]
	v_mul_lo_u32 v2, v152, v196
	v_dot4c_i32_i8_e32 v4, v199, v9
	v_dot4c_i32_i8_e32 v1, v163, v11
                                        ; kill: def $vgpr3 killed $sgpr0 killed $exec
	v_mul_lo_u32 v0, v208, v153
	v_dot4c_i32_i8_e32 v4, v199, v10
	v_dot4c_i32_i8_e32 v4, v199, v11
	v_mad_u64_u32 v[2:3], s[16:17], v1, v153, v[2:3]
                                        ; kill: def $vgpr1 killed $sgpr0 killed $exec
	v_cvt_f32_i32_e32 v3, v209
	v_mad_u64_u32 v[0:1], s[16:17], v196, v207, v[0:1]
	v_cvt_f32_i32_e32 v1, v0
	v_cvt_f32_i32_e32 v0, v2
	;; [unrolled: 1-line block ×3, first 2 shown]
	v_mov_b32_e32 v10, 0
	v_mov_b32_e32 v207, 0
	;; [unrolled: 1-line block ×3, first 2 shown]
	v_pk_mul_f32 v[2:3], v[138:139], v[2:3] op_sel_hi:[0,1]
	v_pk_fma_f32 v[0:1], v[136:137], v[0:1], v[2:3] op_sel_hi:[0,1,1] neg_lo:[0,0,1] neg_hi:[0,0,1]
	v_pk_fma_f32 v[74:75], v[154:155], v[0:1], v[74:75]
	ds_read2_b32 v[8:9], v147 offset0:64 offset1:96
	ds_read_b128 v[4:7], v145 offset:2048
	ds_read_b128 v[0:3], v145 offset:2064
	v_mov_b32_e32 v11, 0
	v_mov_b32_e32 v155, 0
	;; [unrolled: 1-line block ×3, first 2 shown]
	s_waitcnt lgkmcnt(1)
	v_dot4c_i32_i8_e32 v207, v195, v4
	s_waitcnt lgkmcnt(0)
	v_dot4c_i32_i8_e32 v10, v164, v0
	v_dot4c_i32_i8_e32 v10, v165, v1
	;; [unrolled: 1-line block ×7, first 2 shown]
	v_mul_lo_u32 v152, v10, v192
	v_mov_b32_e32 v10, 0
	v_dot4c_i32_i8_e32 v10, v168, v0
	v_dot4c_i32_i8_e32 v10, v169, v1
	;; [unrolled: 1-line block ×7, first 2 shown]
	v_mov_b32_e32 v13, 0
	v_dot4c_i32_i8_e32 v11, v206, v5
	v_dot4c_i32_i8_e32 v155, v175, v4
	;; [unrolled: 1-line block ×5, first 2 shown]
	v_mul_lo_u32 v14, v10, v197
	v_dot4c_i32_i8_e32 v154, v187, v4
	v_dot4c_i32_i8_e32 v15, v205, v6
	v_mov_b32_e32 v10, 0
	v_dot4c_i32_i8_e32 v13, v191, v4
	v_dot4c_i32_i8_e32 v11, v206, v6
	v_mov_b32_e32 v4, 0
	v_dot4c_i32_i8_e32 v207, v195, v7
	v_dot4c_i32_i8_e32 v213, v201, v7
	;; [unrolled: 1-line block ×38, first 2 shown]
	v_mul_lo_u32 v12, v10, v202
	v_dot4c_i32_i8_e32 v13, v190, v7
	v_dot4c_i32_i8_e32 v11, v199, v3
	v_mul_lo_u32 v10, v4, v153
	ds_read_b128 v[4:7], v145 offset:3072
	ds_read_b128 v[0:3], v145 offset:3088
	v_mov_b32_e32 v208, 0
	v_mov_b32_e32 v209, 0
	v_mad_u64_u32 v[210:211], s[16:17], v155, v193, v[152:153]
	s_waitcnt lgkmcnt(1)
	v_dot4c_i32_i8_e32 v214, v195, v4
	v_dot4c_i32_i8_e32 v214, v195, v5
	;; [unrolled: 1-line block ×6, first 2 shown]
	s_waitcnt lgkmcnt(0)
	v_dot4c_i32_i8_e32 v209, v164, v0
	v_dot4c_i32_i8_e32 v208, v173, v6
	;; [unrolled: 1-line block ×8, first 2 shown]
	v_mul_lo_u32 v208, v208, v193
	v_dot4c_i32_i8_e32 v209, v167, v3
	v_mov_b32_e32 v155, 0
	v_dot4c_i32_i8_e32 v214, v194, v3
	v_mov_b32_e32 v152, 0
	v_mad_u64_u32 v[208:209], s[16:17], v209, v192, v[208:209]
	v_dot4c_i32_i8_e32 v155, v201, v4
	v_cvt_f32_i32_e32 v209, v208
	v_cvt_f32_i32_e32 v208, v210
	;; [unrolled: 1-line block ×4, first 2 shown]
	v_dot4c_i32_i8_e32 v152, v183, v4
	v_dot4c_i32_i8_e32 v155, v201, v5
	v_mov_b32_e32 v207, 0
	v_dot4c_i32_i8_e32 v152, v176, v5
	v_dot4c_i32_i8_e32 v155, v201, v6
	;; [unrolled: 1-line block ×9, first 2 shown]
	v_pk_mul_f32 v[210:211], v[142:143], v[210:211] op_sel_hi:[0,1]
	v_mul_lo_u32 v152, v152, v198
	v_dot4c_i32_i8_e32 v155, v200, v1
	v_dot4c_i32_i8_e32 v207, v171, v3
	v_pk_fma_f32 v[208:209], v[140:141], v[208:209], v[210:211] op_sel_hi:[0,1,1] neg_lo:[0,0,1] neg_hi:[0,0,1]
	v_dot4c_i32_i8_e32 v155, v200, v2
	v_pk_fma_f32 v[68:69], v[8:9], v[208:209], v[68:69]
	v_mad_u64_u32 v[210:211], s[16:17], v207, v197, v[152:153]
	v_mov_b32_e32 v152, 0
	v_dot4c_i32_i8_e32 v155, v200, v3
	v_mad_u64_u32 v[208:209], s[16:17], v212, v198, v[14:15]
	v_dot4c_i32_i8_e32 v152, v205, v4
	v_cvt_f32_i32_e32 v209, v210
	v_cvt_f32_i32_e32 v211, v155
	;; [unrolled: 1-line block ×3, first 2 shown]
	v_mov_b32_e32 v14, 0
	v_dot4c_i32_i8_e32 v152, v205, v5
	v_cvt_f32_i32_e32 v208, v208
	v_dot4c_i32_i8_e32 v14, v187, v4
	v_dot4c_i32_i8_e32 v152, v205, v6
	v_mov_b32_e32 v207, 0
	v_dot4c_i32_i8_e32 v14, v184, v5
	v_dot4c_i32_i8_e32 v152, v205, v7
	;; [unrolled: 1-line block ×6, first 2 shown]
	v_pk_mul_f32 v[210:211], v[146:147], v[210:211] op_sel_hi:[0,1]
	v_dot4c_i32_i8_e32 v14, v186, v7
	v_dot4c_i32_i8_e32 v152, v204, v1
	;; [unrolled: 1-line block ×3, first 2 shown]
	v_pk_fma_f32 v[208:209], v[144:145], v[208:209], v[210:211] op_sel_hi:[0,1,1] neg_lo:[0,0,1] neg_hi:[0,0,1]
	v_mul_lo_u32 v14, v14, v203
	v_dot4c_i32_i8_e32 v152, v204, v2
	v_dot4c_i32_i8_e32 v207, v182, v3
	v_pk_fma_f32 v[66:67], v[8:9], v[208:209], v[66:67]
	v_dot4c_i32_i8_e32 v152, v204, v3
	v_mad_u64_u32 v[154:155], s[16:17], v154, v203, v[12:13]
	v_mad_u64_u32 v[208:209], s[16:17], v207, v202, v[14:15]
	v_cvt_f32_i32_e32 v155, v208
	v_cvt_f32_i32_e32 v209, v152
	;; [unrolled: 1-line block ×4, first 2 shown]
	v_mov_b32_e32 v12, 0
	v_dot4c_i32_i8_e32 v12, v191, v4
	v_pk_mul_f32 v[14:15], v[150:151], v[208:209] op_sel_hi:[0,1]
	v_pk_fma_f32 v[14:15], v[148:149], v[154:155], v[14:15] op_sel_hi:[0,1,1] neg_lo:[0,0,1] neg_hi:[0,0,1]
	v_pk_fma_f32 v[64:65], v[8:9], v[14:15], v[64:65]
	v_mov_b32_e32 v14, 0
	v_dot4c_i32_i8_e32 v14, v206, v4
	v_dot4c_i32_i8_e32 v14, v206, v5
	v_dot4c_i32_i8_e32 v12, v188, v5
	v_dot4c_i32_i8_e32 v14, v206, v6
	v_mov_b32_e32 v5, 0
	v_dot4c_i32_i8_e32 v14, v206, v7
	v_dot4c_i32_i8_e32 v5, v160, v0
	;; [unrolled: 1-line block ×9, first 2 shown]
	v_mul_lo_u32 v4, v12, v196
	v_dot4c_i32_i8_e32 v5, v163, v3
	v_dot4c_i32_i8_e32 v14, v199, v3
	v_mad_u64_u32 v[0:1], s[16:17], v13, v196, v[10:11]
	s_nop 0
	v_mad_u64_u32 v[2:3], s[16:17], v5, v153, v[4:5]
	v_cvt_f32_i32_e32 v1, v2
	v_cvt_f32_i32_e32 v3, v14
	;; [unrolled: 1-line block ×4, first 2 shown]
	v_mov_b32_e32 v10, 0
	v_mov_b32_e32 v207, 0
	v_pk_mul_f32 v[2:3], v[138:139], v[2:3] op_sel_hi:[0,1]
	v_pk_fma_f32 v[0:1], v[136:137], v[0:1], v[2:3] op_sel_hi:[0,1,1] neg_lo:[0,0,1] neg_hi:[0,0,1]
	v_pk_fma_f32 v[60:61], v[8:9], v[0:1], v[60:61]
	ds_read2_b32 v[8:9], v147 offset0:128 offset1:160
	ds_read_b128 v[4:7], v145 offset:4096
	ds_read_b128 v[0:3], v145 offset:4112
	v_mov_b32_e32 v213, 0
	v_mov_b32_e32 v15, 0
	;; [unrolled: 1-line block ×3, first 2 shown]
	s_waitcnt lgkmcnt(1)
	v_dot4c_i32_i8_e32 v207, v195, v4
	s_waitcnt lgkmcnt(0)
	v_dot4c_i32_i8_e32 v10, v164, v0
	v_dot4c_i32_i8_e32 v10, v165, v1
	;; [unrolled: 1-line block ×7, first 2 shown]
	v_mul_lo_u32 v152, v10, v192
	v_mov_b32_e32 v10, 0
	v_dot4c_i32_i8_e32 v10, v168, v0
	v_dot4c_i32_i8_e32 v10, v169, v1
	;; [unrolled: 1-line block ×3, first 2 shown]
	v_mov_b32_e32 v155, 0
	v_dot4c_i32_i8_e32 v207, v195, v5
	v_mov_b32_e32 v212, 0
	v_dot4c_i32_i8_e32 v213, v201, v5
	v_dot4c_i32_i8_e32 v10, v171, v3
	v_mov_b32_e32 v154, 0
	v_dot4c_i32_i8_e32 v15, v205, v5
	v_mov_b32_e32 v13, 0
	v_dot4c_i32_i8_e32 v11, v206, v5
	v_dot4c_i32_i8_e32 v155, v175, v4
	;; [unrolled: 1-line block ×5, first 2 shown]
	v_mul_lo_u32 v14, v10, v197
	v_dot4c_i32_i8_e32 v154, v187, v4
	v_dot4c_i32_i8_e32 v15, v205, v6
	v_mov_b32_e32 v10, 0
	v_dot4c_i32_i8_e32 v13, v191, v4
	v_dot4c_i32_i8_e32 v11, v206, v6
	v_mov_b32_e32 v4, 0
	v_dot4c_i32_i8_e32 v207, v195, v7
	v_dot4c_i32_i8_e32 v213, v201, v7
	;; [unrolled: 1-line block ×38, first 2 shown]
	v_mul_lo_u32 v12, v10, v202
	v_dot4c_i32_i8_e32 v13, v190, v7
	v_dot4c_i32_i8_e32 v11, v199, v3
	v_mul_lo_u32 v10, v4, v153
	ds_read_b128 v[4:7], v145 offset:5120
	ds_read_b128 v[0:3], v145 offset:5136
	v_mov_b32_e32 v214, 0
	v_mov_b32_e32 v208, 0
	;; [unrolled: 1-line block ×3, first 2 shown]
	s_waitcnt lgkmcnt(1)
	v_dot4c_i32_i8_e32 v214, v195, v4
	v_dot4c_i32_i8_e32 v214, v195, v5
	;; [unrolled: 1-line block ×6, first 2 shown]
	s_waitcnt lgkmcnt(0)
	v_dot4c_i32_i8_e32 v209, v164, v0
	v_dot4c_i32_i8_e32 v208, v173, v6
	;; [unrolled: 1-line block ×8, first 2 shown]
	v_mul_lo_u32 v208, v208, v193
	v_dot4c_i32_i8_e32 v209, v167, v3
	v_mad_u64_u32 v[210:211], s[16:17], v155, v193, v[152:153]
	v_mov_b32_e32 v155, 0
	v_dot4c_i32_i8_e32 v214, v194, v3
	v_mad_u64_u32 v[208:209], s[16:17], v209, v192, v[208:209]
	v_mov_b32_e32 v152, 0
	v_dot4c_i32_i8_e32 v155, v201, v4
	v_cvt_f32_i32_e32 v209, v208
	v_cvt_f32_i32_e32 v208, v210
	;; [unrolled: 1-line block ×4, first 2 shown]
	v_dot4c_i32_i8_e32 v152, v183, v4
	v_dot4c_i32_i8_e32 v155, v201, v5
	v_mov_b32_e32 v207, 0
	v_dot4c_i32_i8_e32 v152, v176, v5
	v_dot4c_i32_i8_e32 v155, v201, v6
	;; [unrolled: 1-line block ×9, first 2 shown]
	v_pk_mul_f32 v[210:211], v[142:143], v[210:211] op_sel_hi:[0,1]
	v_mul_lo_u32 v152, v152, v198
	v_dot4c_i32_i8_e32 v155, v200, v1
	v_dot4c_i32_i8_e32 v207, v171, v3
	v_pk_fma_f32 v[208:209], v[140:141], v[208:209], v[210:211] op_sel_hi:[0,1,1] neg_lo:[0,0,1] neg_hi:[0,0,1]
	v_dot4c_i32_i8_e32 v155, v200, v2
	v_pk_fma_f32 v[30:31], v[8:9], v[208:209], v[30:31]
	v_mad_u64_u32 v[210:211], s[16:17], v207, v197, v[152:153]
	v_mov_b32_e32 v152, 0
	v_dot4c_i32_i8_e32 v155, v200, v3
	v_mad_u64_u32 v[208:209], s[16:17], v212, v198, v[14:15]
	v_dot4c_i32_i8_e32 v152, v205, v4
	v_cvt_f32_i32_e32 v209, v210
	v_cvt_f32_i32_e32 v211, v155
	;; [unrolled: 1-line block ×3, first 2 shown]
	v_mov_b32_e32 v14, 0
	v_dot4c_i32_i8_e32 v152, v205, v5
	v_cvt_f32_i32_e32 v208, v208
	v_dot4c_i32_i8_e32 v14, v187, v4
	v_dot4c_i32_i8_e32 v152, v205, v6
	v_mov_b32_e32 v207, 0
	v_dot4c_i32_i8_e32 v14, v184, v5
	v_dot4c_i32_i8_e32 v152, v205, v7
	;; [unrolled: 1-line block ×6, first 2 shown]
	v_pk_mul_f32 v[210:211], v[146:147], v[210:211] op_sel_hi:[0,1]
	v_dot4c_i32_i8_e32 v14, v186, v7
	v_dot4c_i32_i8_e32 v152, v204, v1
	;; [unrolled: 1-line block ×3, first 2 shown]
	v_pk_fma_f32 v[208:209], v[144:145], v[208:209], v[210:211] op_sel_hi:[0,1,1] neg_lo:[0,0,1] neg_hi:[0,0,1]
	v_mul_lo_u32 v14, v14, v203
	v_dot4c_i32_i8_e32 v152, v204, v2
	v_dot4c_i32_i8_e32 v207, v182, v3
	v_pk_fma_f32 v[28:29], v[8:9], v[208:209], v[28:29]
	v_dot4c_i32_i8_e32 v152, v204, v3
	v_mad_u64_u32 v[154:155], s[16:17], v154, v203, v[12:13]
	v_mad_u64_u32 v[208:209], s[16:17], v207, v202, v[14:15]
	v_cvt_f32_i32_e32 v155, v208
	v_cvt_f32_i32_e32 v209, v152
	;; [unrolled: 1-line block ×4, first 2 shown]
	v_mov_b32_e32 v12, 0
	v_dot4c_i32_i8_e32 v12, v191, v4
	v_pk_mul_f32 v[14:15], v[150:151], v[208:209] op_sel_hi:[0,1]
	v_pk_fma_f32 v[14:15], v[148:149], v[154:155], v[14:15] op_sel_hi:[0,1,1] neg_lo:[0,0,1] neg_hi:[0,0,1]
	v_pk_fma_f32 v[26:27], v[8:9], v[14:15], v[26:27]
	v_mov_b32_e32 v14, 0
	v_dot4c_i32_i8_e32 v14, v206, v4
	v_dot4c_i32_i8_e32 v14, v206, v5
	;; [unrolled: 1-line block ×4, first 2 shown]
	v_mov_b32_e32 v5, 0
	v_dot4c_i32_i8_e32 v14, v206, v7
	v_dot4c_i32_i8_e32 v5, v160, v0
	v_dot4c_i32_i8_e32 v12, v189, v6
	v_dot4c_i32_i8_e32 v14, v199, v0
	v_dot4c_i32_i8_e32 v5, v161, v1
	v_dot4c_i32_i8_e32 v12, v190, v7
	v_dot4c_i32_i8_e32 v14, v199, v1
	v_dot4c_i32_i8_e32 v5, v162, v2
	v_dot4c_i32_i8_e32 v14, v199, v2
	v_mul_lo_u32 v4, v12, v196
	v_dot4c_i32_i8_e32 v5, v163, v3
	v_dot4c_i32_i8_e32 v14, v199, v3
	v_mad_u64_u32 v[0:1], s[16:17], v13, v196, v[10:11]
	s_nop 0
	v_mad_u64_u32 v[2:3], s[16:17], v5, v153, v[4:5]
	v_cvt_f32_i32_e32 v1, v2
	v_cvt_f32_i32_e32 v3, v14
	;; [unrolled: 1-line block ×4, first 2 shown]
	v_mov_b32_e32 v10, 0
	v_mov_b32_e32 v207, 0
	v_pk_mul_f32 v[2:3], v[138:139], v[2:3] op_sel_hi:[0,1]
	v_pk_fma_f32 v[0:1], v[136:137], v[0:1], v[2:3] op_sel_hi:[0,1,1] neg_lo:[0,0,1] neg_hi:[0,0,1]
	v_pk_fma_f32 v[24:25], v[8:9], v[0:1], v[24:25]
	ds_read2_b32 v[8:9], v147 offset0:192 offset1:224
	ds_read_b128 v[4:7], v145 offset:6144
	ds_read_b128 v[0:3], v145 offset:6160
	v_mov_b32_e32 v209, 0
	v_mov_b32_e32 v15, 0
	;; [unrolled: 1-line block ×3, first 2 shown]
	s_waitcnt lgkmcnt(1)
	v_dot4c_i32_i8_e32 v207, v195, v4
	s_waitcnt lgkmcnt(0)
	v_dot4c_i32_i8_e32 v10, v164, v0
	v_dot4c_i32_i8_e32 v10, v165, v1
	;; [unrolled: 1-line block ×7, first 2 shown]
	v_mul_lo_u32 v152, v10, v192
	v_mov_b32_e32 v10, 0
	v_dot4c_i32_i8_e32 v10, v168, v0
	v_dot4c_i32_i8_e32 v10, v169, v1
	;; [unrolled: 1-line block ×3, first 2 shown]
	v_mov_b32_e32 v155, 0
	v_dot4c_i32_i8_e32 v207, v195, v5
	v_mov_b32_e32 v208, 0
	v_dot4c_i32_i8_e32 v209, v201, v5
	v_dot4c_i32_i8_e32 v10, v171, v3
	v_mov_b32_e32 v154, 0
	v_dot4c_i32_i8_e32 v15, v205, v5
	v_mov_b32_e32 v13, 0
	v_dot4c_i32_i8_e32 v11, v206, v5
	v_dot4c_i32_i8_e32 v155, v175, v4
	;; [unrolled: 1-line block ×5, first 2 shown]
	v_mul_lo_u32 v14, v10, v197
	v_dot4c_i32_i8_e32 v154, v187, v4
	v_dot4c_i32_i8_e32 v15, v205, v6
	v_mov_b32_e32 v10, 0
	v_dot4c_i32_i8_e32 v13, v191, v4
	v_dot4c_i32_i8_e32 v11, v206, v6
	v_mov_b32_e32 v4, 0
	v_dot4c_i32_i8_e32 v207, v195, v7
	v_dot4c_i32_i8_e32 v209, v201, v7
	;; [unrolled: 1-line block ×38, first 2 shown]
	v_mul_lo_u32 v12, v10, v202
	v_dot4c_i32_i8_e32 v13, v190, v7
	v_dot4c_i32_i8_e32 v11, v199, v3
	v_mul_lo_u32 v10, v4, v153
	ds_read_b128 v[4:7], v145 offset:7168
	ds_read_b128 v[0:3], v145 offset:7184
	v_mov_b32_e32 v210, 0
	s_waitcnt lgkmcnt(1)
	v_dot4c_i32_i8_e32 v210, v175, v4
	v_mov_b32_e32 v175, 0
	v_dot4c_i32_i8_e32 v175, v195, v4
	v_dot4c_i32_i8_e32 v210, v172, v5
	;; [unrolled: 1-line block ×5, first 2 shown]
	v_mov_b32_e32 v173, 0
	v_dot4c_i32_i8_e32 v175, v195, v7
	s_waitcnt lgkmcnt(0)
	v_dot4c_i32_i8_e32 v173, v164, v0
	v_dot4c_i32_i8_e32 v175, v194, v0
	;; [unrolled: 1-line block ×7, first 2 shown]
	v_mul_lo_u32 v172, v210, v193
	v_dot4c_i32_i8_e32 v173, v167, v3
	v_dot4c_i32_i8_e32 v175, v194, v3
	v_mad_u64_u32 v[164:165], s[16:17], v155, v193, v[152:153]
	s_nop 0
	v_mad_u64_u32 v[166:167], s[16:17], v173, v192, v[172:173]
	v_cvt_f32_i32_e32 v165, v166
	v_cvt_f32_i32_e32 v167, v175
	;; [unrolled: 1-line block ×4, first 2 shown]
	v_mov_b32_e32 v152, 0
	v_dot4c_i32_i8_e32 v152, v168, v0
	v_pk_mul_f32 v[166:167], v[142:143], v[166:167] op_sel_hi:[0,1]
	v_mov_b32_e32 v142, 0
	v_pk_fma_f32 v[164:165], v[140:141], v[164:165], v[166:167] op_sel_hi:[0,1,1] neg_lo:[0,0,1] neg_hi:[0,0,1]
	v_mov_b32_e32 v140, 0
	v_dot4c_i32_i8_e32 v142, v201, v4
	v_dot4c_i32_i8_e32 v140, v183, v4
	v_dot4c_i32_i8_e32 v142, v201, v5
	v_dot4c_i32_i8_e32 v140, v176, v5
	v_dot4c_i32_i8_e32 v142, v201, v6
	v_dot4c_i32_i8_e32 v140, v179, v6
	v_dot4c_i32_i8_e32 v142, v201, v7
	v_dot4c_i32_i8_e32 v152, v169, v1
	v_dot4c_i32_i8_e32 v140, v180, v7
	v_dot4c_i32_i8_e32 v142, v200, v0
	v_dot4c_i32_i8_e32 v152, v170, v2
	v_dot4c_i32_i8_e32 v142, v200, v1
	v_mul_lo_u32 v140, v140, v198
	v_dot4c_i32_i8_e32 v152, v171, v3
	v_dot4c_i32_i8_e32 v142, v200, v2
	v_pk_fma_f32 v[22:23], v[8:9], v[164:165], v[22:23]
	v_dot4c_i32_i8_e32 v142, v200, v3
	v_mad_u64_u32 v[166:167], s[16:17], v152, v197, v[140:141]
	v_mov_b32_e32 v140, 0
	v_mad_u64_u32 v[164:165], s[16:17], v208, v198, v[14:15]
	v_dot4c_i32_i8_e32 v140, v205, v4
	v_cvt_f32_i32_e32 v165, v166
	v_cvt_f32_i32_e32 v167, v142
	v_cvt_f32_i32_e32 v166, v209
	v_mov_b32_e32 v14, 0
	v_dot4c_i32_i8_e32 v140, v205, v5
	v_cvt_f32_i32_e32 v164, v164
	v_dot4c_i32_i8_e32 v14, v187, v4
	v_dot4c_i32_i8_e32 v140, v205, v6
	v_mov_b32_e32 v142, 0
	v_dot4c_i32_i8_e32 v14, v184, v5
	v_dot4c_i32_i8_e32 v140, v205, v7
	;; [unrolled: 1-line block ×6, first 2 shown]
	v_pk_mul_f32 v[166:167], v[146:147], v[166:167] op_sel_hi:[0,1]
	v_dot4c_i32_i8_e32 v14, v186, v7
	v_dot4c_i32_i8_e32 v140, v204, v1
	;; [unrolled: 1-line block ×3, first 2 shown]
	v_pk_fma_f32 v[164:165], v[144:145], v[164:165], v[166:167] op_sel_hi:[0,1,1] neg_lo:[0,0,1] neg_hi:[0,0,1]
	v_mul_lo_u32 v14, v14, v203
	v_dot4c_i32_i8_e32 v140, v204, v2
	v_dot4c_i32_i8_e32 v142, v182, v3
	v_pk_fma_f32 v[20:21], v[8:9], v[164:165], v[20:21]
	v_dot4c_i32_i8_e32 v140, v204, v3
	v_mad_u64_u32 v[154:155], s[16:17], v154, v203, v[12:13]
	v_mad_u64_u32 v[164:165], s[16:17], v142, v202, v[14:15]
	v_cvt_f32_i32_e32 v155, v164
	v_cvt_f32_i32_e32 v165, v140
	;; [unrolled: 1-line block ×4, first 2 shown]
	v_mov_b32_e32 v12, 0
	v_dot4c_i32_i8_e32 v12, v191, v4
	v_pk_mul_f32 v[14:15], v[150:151], v[164:165] op_sel_hi:[0,1]
	v_pk_fma_f32 v[14:15], v[148:149], v[154:155], v[14:15] op_sel_hi:[0,1,1] neg_lo:[0,0,1] neg_hi:[0,0,1]
	v_pk_fma_f32 v[18:19], v[8:9], v[14:15], v[18:19]
	v_mov_b32_e32 v14, 0
	v_dot4c_i32_i8_e32 v14, v206, v4
	v_dot4c_i32_i8_e32 v14, v206, v5
	;; [unrolled: 1-line block ×4, first 2 shown]
	v_mov_b32_e32 v5, 0
	v_dot4c_i32_i8_e32 v14, v206, v7
	v_dot4c_i32_i8_e32 v5, v160, v0
	;; [unrolled: 1-line block ×9, first 2 shown]
	v_mul_lo_u32 v4, v12, v196
	v_dot4c_i32_i8_e32 v5, v163, v3
	v_dot4c_i32_i8_e32 v14, v199, v3
	v_mad_u64_u32 v[0:1], s[16:17], v13, v196, v[10:11]
	s_nop 0
	v_mad_u64_u32 v[2:3], s[16:17], v5, v153, v[4:5]
	v_cvt_f32_i32_e32 v1, v2
	v_cvt_f32_i32_e32 v3, v14
	;; [unrolled: 1-line block ×4, first 2 shown]
	s_add_i32 s16, s11, 2
	v_add_u32_e32 v147, 4, v147
	v_pk_mul_f32 v[2:3], v[138:139], v[2:3] op_sel_hi:[0,1]
	v_pk_fma_f32 v[0:1], v[136:137], v[0:1], v[2:3] op_sel_hi:[0,1,1] neg_lo:[0,0,1] neg_hi:[0,0,1]
	v_pk_fma_f32 v[16:17], v[8:9], v[0:1], v[16:17]
	v_add_u32_e32 v145, 32, v145
	s_cmp_lt_u32 s11, 14
	s_mov_b32 s11, s16
	s_cbranch_scc1 .LBB128_9
; %bb.10:                               ;   in Loop: Header=BB128_6 Depth=1
	s_or_b32 s11, s4, 1
	s_cmp_ge_i32 s11, s5
	s_barrier
	s_cbranch_scc1 .LBB128_5
; %bb.11:                               ;   in Loop: Header=BB128_6 Depth=1
	v_add_u32_e32 v14, s9, v101
	v_add_u32_e32 v0, v14, v59
	;; [unrolled: 1-line block ×6, first 2 shown]
	v_mad_i64_i32 v[0:1], s[16:17], v0, 36, v[88:89]
	v_mad_i64_i32 v[2:3], s[16:17], v2, 36, v[88:89]
	;; [unrolled: 1-line block ×4, first 2 shown]
	v_add_u32_e32 v8, v14, v87
	v_add_u32_e32 v10, v14, v93
	;; [unrolled: 1-line block ×4, first 2 shown]
	v_mad_u64_u32 v[144:145], s[16:17], v136, 36, s[2:3]
	v_mad_i64_i32 v[8:9], s[16:17], v8, 36, v[88:89]
	v_mad_i64_i32 v[10:11], s[16:17], v10, 36, v[88:89]
	;; [unrolled: 1-line block ×4, first 2 shown]
	global_load_dword v136, v[144:145], off
	s_nop 0
	global_load_dword v0, v[0:1], off offset:4
	s_nop 0
	global_load_dword v1, v[2:3], off offset:4
	;; [unrolled: 2-line block ×3, first 2 shown]
	global_load_dword v3, v[6:7], off offset:4
	s_nop 0
	global_load_dword v4, v[8:9], off offset:4
	global_load_dword v5, v[10:11], off offset:4
	global_load_dword v6, v[12:13], off offset:4
	global_load_dword v7, v[14:15], off offset:4
	s_mov_b32 s11, 16
	v_mov_b32_e32 v9, v125
	v_mov_b32_e32 v11, v107
	s_waitcnt vmcnt(8)
	v_cvt_f32_f16_e32 v8, v136
	s_waitcnt vmcnt(7)
	ds_write_b32 v123, v0
	s_waitcnt vmcnt(6)
	ds_write_b32 v109, v1
	;; [unrolled: 2-line block ×8, first 2 shown]
	ds_write_b32 v57, v8
	s_waitcnt lgkmcnt(0)
	s_barrier
.LBB128_12:                             ;   Parent Loop BB128_6 Depth=1
                                        ; =>  This Inner Loop Header: Depth=2
	s_and_b32 s18, s11, 0x3ffffff8
	v_lshl_add_u32 v12, s18, 2, v105
	ds_read2_b32 v[144:145], v11 offset1:32
	ds_read_b128 v[4:7], v9
	ds_read_b128 v[0:3], v9 offset:16
	ds_read2_b32 v[14:15], v12 offset1:1
	ds_read2_b32 v[146:147], v12 offset0:6 offset1:7
	s_add_i32 s16, s11, -16
	s_lshr_b32 s18, s11, 2
	s_and_b32 s18, s18, 0x3ffffffc
	s_waitcnt lgkmcnt(1)
	v_ashrrev_i32_e32 v8, s16, v14
	v_and_b32_e32 v163, 0x3030303, v8
	v_ashrrev_i32_e32 v8, s16, v15
	ds_read2_b32 v[14:15], v12 offset0:2 offset1:3
	v_and_b32_e32 v154, 0x3030303, v8
	s_and_b32 s17, s11, -16
	s_addk_i32 s18, 0x7280
	s_add_i32 s17, s11, s17
	s_waitcnt lgkmcnt(0)
	v_ashrrev_i32_e32 v8, s16, v14
	v_and_b32_e32 v161, 0x3030303, v8
	v_ashrrev_i32_e32 v8, s16, v15
	ds_read2_b32 v[14:15], v12 offset0:4 offset1:5
	v_and_b32_e32 v162, 0x3030303, v8
	v_add3_u32 v10, s18, v156, v127
	v_add3_u32 v136, s18, v129, v131
	;; [unrolled: 1-line block ×3, first 2 shown]
	s_waitcnt lgkmcnt(0)
	v_ashrrev_i32_e32 v8, s16, v14
	v_and_b32_e32 v13, 0x3030303, v8
	v_ashrrev_i32_e32 v8, s16, v15
	v_and_b32_e32 v15, 0x3030303, v8
	;; [unrolled: 2-line block ×3, first 2 shown]
	v_ashrrev_i32_e32 v8, s16, v147
	v_add_u32_e32 v14, 0x1080, v12
	v_and_b32_e32 v150, 0x3030303, v8
	v_add_u32_e32 v8, s17, v39
	ds_read_b32 v10, v10
	ds_read_u16 v193, v8 offset:25072
	ds_read2_b32 v[152:153], v14 offset1:1
	v_mov_b32_e32 v147, 0
	v_mov_b32_e32 v200, 0
	;; [unrolled: 1-line block ×3, first 2 shown]
	s_waitcnt lgkmcnt(1)
	v_bfe_u32 v8, v193, 4, 4
	s_waitcnt lgkmcnt(0)
	v_ashrrev_i32_e32 v14, s16, v152
	v_and_b32_e32 v171, 0x3030303, v14
	v_ashrrev_i32_e32 v14, s16, v153
	v_and_b32_e32 v168, 0x3030303, v14
	v_add_u32_e32 v14, 0x1088, v12
	ds_read2_b32 v[152:153], v14 offset1:1
	v_mul_lo_u32 v173, v8, s8
	v_mov_b32_e32 v206, 0
	v_dot4c_i32_i8_e32 v147, v173, v4
	v_mov_b32_e32 v146, 0
	s_waitcnt lgkmcnt(0)
	v_ashrrev_i32_e32 v14, s16, v152
	v_and_b32_e32 v169, 0x3030303, v14
	v_ashrrev_i32_e32 v14, s16, v153
	v_and_b32_e32 v170, 0x3030303, v14
	v_add_u32_e32 v14, 0x1090, v12
	ds_read2_b32 v[152:153], v14 offset1:1
	v_dot4c_i32_i8_e32 v147, v173, v5
	v_mov_b32_e32 v199, 0
	v_mov_b32_e32 v202, 0
	;; [unrolled: 1-line block ×3, first 2 shown]
	s_waitcnt lgkmcnt(0)
	v_ashrrev_i32_e32 v14, s16, v152
	v_and_b32_e32 v164, 0x3030303, v14
	v_ashrrev_i32_e32 v14, s16, v153
	v_and_b32_e32 v165, 0x3030303, v14
	v_add_u32_e32 v14, 0x1098, v12
	ds_read2_b32 v[152:153], v14 offset1:1
	v_dot4c_i32_i8_e32 v146, v163, v4
	v_dot4c_i32_i8_e32 v147, v173, v6
	v_lshrrev_b32_sdwa v8, v157, v193 dst_sel:DWORD dst_unused:UNUSED_PAD src0_sel:DWORD src1_sel:BYTE_1
	v_dot4c_i32_i8_e32 v199, v171, v4
	s_waitcnt lgkmcnt(0)
	v_ashrrev_i32_e32 v14, s16, v152
	v_and_b32_e32 v166, 0x3030303, v14
	v_ashrrev_i32_e32 v14, s16, v153
	v_and_b32_e32 v167, 0x3030303, v14
	v_add_u32_e32 v14, s17, v41
	ds_read_b32 v138, v136
	ds_read_u16 v192, v14 offset:26096
	v_dot4c_i32_i8_e32 v147, v173, v7
	v_mul_lo_u32 v174, v8, s8
	v_mov_b32_e32 v196, 0
	v_mov_b32_e32 v204, 0
	s_waitcnt lgkmcnt(0)
	v_bfe_u32 v14, v192, 4, 4
	v_mul_lo_u32 v172, v14, s8
	v_lshrrev_b32_sdwa v14, v157, v192 dst_sel:DWORD dst_unused:UNUSED_PAD src0_sel:DWORD src1_sel:BYTE_1
	v_mul_lo_u32 v185, v14, s8
	v_add_u32_e32 v14, 0x2100, v12
	ds_read2_b32 v[152:153], v14 offset1:1
	v_dot4c_i32_i8_e32 v200, v172, v4
	v_dot4c_i32_i8_e32 v200, v172, v5
	;; [unrolled: 1-line block ×4, first 2 shown]
	s_waitcnt lgkmcnt(0)
	v_ashrrev_i32_e32 v14, s16, v152
	v_and_b32_e32 v182, 0x3030303, v14
	v_ashrrev_i32_e32 v14, s16, v153
	v_and_b32_e32 v179, 0x3030303, v14
	v_add_u32_e32 v14, 0x2108, v12
	ds_read2_b32 v[152:153], v14 offset1:1
	v_dot4c_i32_i8_e32 v202, v182, v4
	v_mov_b32_e32 v207, 0
	v_mov_b32_e32 v208, 0
	v_dot4c_i32_i8_e32 v196, v13, v0
	s_waitcnt lgkmcnt(0)
	v_ashrrev_i32_e32 v14, s16, v152
	v_and_b32_e32 v180, 0x3030303, v14
	v_ashrrev_i32_e32 v14, s16, v153
	v_and_b32_e32 v181, 0x3030303, v14
	v_add_u32_e32 v14, 0x2110, v12
	ds_read2_b32 v[152:153], v14 offset1:1
	v_dot4c_i32_i8_e32 v147, v174, v0
	v_dot4c_i32_i8_e32 v204, v164, v0
	;; [unrolled: 1-line block ×4, first 2 shown]
	s_waitcnt lgkmcnt(0)
	v_ashrrev_i32_e32 v14, s16, v152
	v_and_b32_e32 v175, 0x3030303, v14
	v_ashrrev_i32_e32 v14, s16, v153
	v_and_b32_e32 v176, 0x3030303, v14
	v_add_u32_e32 v14, 0x2118, v12
	ds_read2_b32 v[152:153], v14 offset1:1
	v_dot4c_i32_i8_e32 v207, v175, v0
	v_dot4c_i32_i8_e32 v196, v15, v1
	;; [unrolled: 1-line block ×4, first 2 shown]
	s_waitcnt lgkmcnt(0)
	v_ashrrev_i32_e32 v14, s16, v152
	v_and_b32_e32 v177, 0x3030303, v14
	v_ashrrev_i32_e32 v14, s16, v153
	v_and_b32_e32 v178, 0x3030303, v14
	v_add_u32_e32 v14, s17, v43
	ds_read_b32 v142, v140
	ds_read_u16 v198, v14 offset:27120
	v_dot4c_i32_i8_e32 v204, v165, v1
	v_dot4c_i32_i8_e32 v200, v185, v1
	;; [unrolled: 1-line block ×4, first 2 shown]
	s_waitcnt lgkmcnt(0)
	v_bfe_u32 v14, v198, 4, 4
	v_mul_lo_u32 v184, v14, s8
	v_lshrrev_b32_sdwa v14, v157, v198 dst_sel:DWORD dst_unused:UNUSED_PAD src0_sel:DWORD src1_sel:BYTE_1
	v_mul_lo_u32 v191, v14, s8
	v_add_u32_e32 v14, 0x3180, v12
	ds_read2_b32 v[152:153], v14 offset1:1
	v_dot4c_i32_i8_e32 v203, v184, v4
	v_dot4c_i32_i8_e32 v203, v184, v5
	;; [unrolled: 1-line block ×4, first 2 shown]
	s_waitcnt lgkmcnt(0)
	v_ashrrev_i32_e32 v14, s16, v152
	v_and_b32_e32 v189, 0x3030303, v14
	v_ashrrev_i32_e32 v14, s16, v153
	v_and_b32_e32 v186, 0x3030303, v14
	v_add_u32_e32 v14, 0x3188, v12
	ds_read2_b32 v[152:153], v14 offset1:1
	v_dot4c_i32_i8_e32 v205, v189, v4
	v_dot4c_i32_i8_e32 v203, v191, v0
	;; [unrolled: 1-line block ×4, first 2 shown]
	s_waitcnt lgkmcnt(0)
	v_ashrrev_i32_e32 v14, s16, v152
	v_and_b32_e32 v187, 0x3030303, v14
	v_ashrrev_i32_e32 v14, s16, v153
	v_and_b32_e32 v188, 0x3030303, v14
	v_add_u32_e32 v14, 0x3190, v12
	ds_read2_b32 v[152:153], v14 offset1:1
	v_add_u32_e32 v12, 0x3198, v12
	ds_read2_b32 v[194:195], v12 offset1:1
	v_dot4c_i32_i8_e32 v146, v161, v6
	v_dot4c_i32_i8_e32 v196, v148, v2
	s_waitcnt lgkmcnt(1)
	v_ashrrev_i32_e32 v14, s16, v152
	v_and_b32_e32 v152, 0x3030303, v14
	v_ashrrev_i32_e32 v14, s16, v153
	s_waitcnt lgkmcnt(0)
	v_ashrrev_i32_e32 v12, s16, v194
	v_and_b32_e32 v153, 0x3030303, v14
	v_and_b32_e32 v155, 0x3030303, v12
	v_ashrrev_i32_e32 v12, s16, v195
	v_add3_u32 v14, s18, v137, v139
	v_and_b32_e32 v160, 0x3030303, v12
	v_add_u32_e32 v12, s17, v45
	ds_read_b32 v14, v14
	ds_read_u16 v201, v12 offset:28144
	v_dot4c_i32_i8_e32 v208, v152, v0
	v_dot4c_i32_i8_e32 v208, v153, v1
	;; [unrolled: 1-line block ×4, first 2 shown]
	s_waitcnt lgkmcnt(0)
	v_bfe_u32 v12, v201, 4, 4
	v_mul_lo_u32 v190, v12, s8
	v_dot4c_i32_i8_e32 v206, v190, v4
	v_dot4c_i32_i8_e32 v206, v190, v5
	;; [unrolled: 1-line block ×3, first 2 shown]
	v_lshrrev_b32_sdwa v4, v157, v201 dst_sel:DWORD dst_unused:UNUSED_PAD src0_sel:DWORD src1_sel:BYTE_1
	v_dot4c_i32_i8_e32 v206, v190, v7
	v_mul_lo_u32 v183, v4, s8
	v_dot4c_i32_i8_e32 v206, v183, v0
	v_dot4c_i32_i8_e32 v206, v183, v1
	;; [unrolled: 1-line block ×22, first 2 shown]
	ds_read_b128 v[4:7], v9 offset:1024
	ds_read_b128 v[0:3], v9 offset:1040
	v_mov_b32_e32 v209, 0
	v_mov_b32_e32 v197, 0
	;; [unrolled: 1-line block ×3, first 2 shown]
	s_waitcnt lgkmcnt(1)
	v_dot4c_i32_i8_e32 v209, v173, v4
	v_dot4c_i32_i8_e32 v209, v173, v5
	;; [unrolled: 1-line block ×6, first 2 shown]
	s_waitcnt lgkmcnt(0)
	v_dot4c_i32_i8_e32 v211, v13, v0
	v_dot4c_i32_i8_e32 v209, v174, v0
	;; [unrolled: 1-line block ×8, first 2 shown]
	v_and_b32_sdwa v195, v193, v158 dst_sel:DWORD dst_unused:UNUSED_PAD src0_sel:BYTE_0 src1_sel:DWORD
	v_and_b32_sdwa v194, v193, v158 dst_sel:DWORD dst_unused:UNUSED_PAD src0_sel:BYTE_1 src1_sel:DWORD
	v_dot4c_i32_i8_e32 v211, v150, v3
	v_dot4c_i32_i8_e32 v209, v174, v3
	v_mul_lo_u32 v196, v194, v196
	v_mul_lo_u32 v210, v195, v197
	v_cvt_f32_f16_e32 v8, v10
	v_cvt_f32_f16_sdwa v10, v10 dst_sel:DWORD dst_unused:UNUSED_PAD src0_sel:WORD_1
	v_mad_u64_u32 v[210:211], s[16:17], v194, v211, v[210:211]
	v_mad_u64_u32 v[196:197], s[16:17], v195, v146, v[196:197]
	v_cvt_f32_i32_e32 v147, v147
	v_cvt_f32_i32_e32 v146, v209
	;; [unrolled: 1-line block ×4, first 2 shown]
	v_mov_b32_e32 v209, 0
	v_pk_mul_f32 v[146:147], v[10:11], v[146:147] op_sel_hi:[0,1]
	v_dot4c_i32_i8_e32 v209, v172, v4
	v_pk_fma_f32 v[196:197], v[8:9], v[196:197], v[146:147] op_sel_hi:[0,1,1] neg_lo:[0,0,1] neg_hi:[0,0,1]
	v_mov_b32_e32 v146, v145
	v_mov_b32_e32 v145, 0
	v_dot4c_i32_i8_e32 v209, v172, v5
	v_dot4c_i32_i8_e32 v145, v171, v4
	v_dot4c_i32_i8_e32 v209, v172, v6
	v_mov_b32_e32 v193, 0
	v_dot4c_i32_i8_e32 v145, v168, v5
	v_dot4c_i32_i8_e32 v209, v172, v7
	v_dot4c_i32_i8_e32 v193, v164, v0
	;; [unrolled: 4-line block ×3, first 2 shown]
	v_pk_fma_f32 v[72:73], v[146:147], v[196:197], v[72:73]
	v_dot4c_i32_i8_e32 v145, v170, v7
	v_dot4c_i32_i8_e32 v209, v185, v1
	v_dot4c_i32_i8_e32 v193, v166, v2
	v_and_b32_sdwa v197, v192, v158 dst_sel:DWORD dst_unused:UNUSED_PAD src0_sel:BYTE_0 src1_sel:DWORD
	v_and_b32_sdwa v196, v192, v158 dst_sel:DWORD dst_unused:UNUSED_PAD src0_sel:BYTE_1 src1_sel:DWORD
	v_dot4c_i32_i8_e32 v209, v185, v2
	v_dot4c_i32_i8_e32 v193, v167, v3
	v_mul_lo_u32 v144, v196, v204
	v_mul_lo_u32 v192, v197, v145
                                        ; kill: def $vgpr145 killed $sgpr0 killed $exec
	v_dot4c_i32_i8_e32 v209, v185, v3
	v_mad_u64_u32 v[192:193], s[16:17], v196, v193, v[192:193]
	v_mad_u64_u32 v[144:145], s[16:17], v197, v199, v[144:145]
	v_cvt_f32_f16_e32 v136, v138
	v_cvt_f32_f16_sdwa v138, v138 dst_sel:DWORD dst_unused:UNUSED_PAD src0_sel:WORD_1
	v_cvt_f32_i32_e32 v145, v144
	v_cvt_f32_i32_e32 v144, v192
	;; [unrolled: 1-line block ×4, first 2 shown]
	v_mov_b32_e32 v200, 0
	v_dot4c_i32_i8_e32 v200, v184, v4
	v_dot4c_i32_i8_e32 v200, v184, v5
	v_pk_mul_f32 v[192:193], v[138:139], v[192:193] op_sel_hi:[0,1]
	v_pk_fma_f32 v[144:145], v[136:137], v[144:145], v[192:193] op_sel_hi:[0,1,1] neg_lo:[0,0,1] neg_hi:[0,0,1]
	v_pk_fma_f32 v[78:79], v[146:147], v[144:145], v[78:79]
	v_mov_b32_e32 v145, 0
	v_dot4c_i32_i8_e32 v145, v182, v4
	v_dot4c_i32_i8_e32 v200, v184, v6
	v_mov_b32_e32 v193, 0
	v_dot4c_i32_i8_e32 v145, v179, v5
	v_dot4c_i32_i8_e32 v200, v184, v7
	;; [unrolled: 1-line block ×9, first 2 shown]
	v_and_b32_sdwa v199, v198, v158 dst_sel:DWORD dst_unused:UNUSED_PAD src0_sel:BYTE_0 src1_sel:DWORD
	v_and_b32_sdwa v198, v198, v158 dst_sel:DWORD dst_unused:UNUSED_PAD src0_sel:BYTE_1 src1_sel:DWORD
	v_dot4c_i32_i8_e32 v200, v191, v2
	v_dot4c_i32_i8_e32 v193, v178, v3
	v_mul_lo_u32 v144, v198, v207
	v_mul_lo_u32 v192, v199, v145
                                        ; kill: def $vgpr145 killed $sgpr0 killed $exec
	v_dot4c_i32_i8_e32 v200, v191, v3
	v_mad_u64_u32 v[192:193], s[16:17], v198, v193, v[192:193]
	v_mad_u64_u32 v[144:145], s[16:17], v199, v202, v[144:145]
	v_cvt_f32_f16_e32 v140, v142
	v_cvt_f32_f16_sdwa v142, v142 dst_sel:DWORD dst_unused:UNUSED_PAD src0_sel:WORD_1
	v_cvt_f32_i32_e32 v145, v144
	v_cvt_f32_i32_e32 v144, v192
	;; [unrolled: 1-line block ×4, first 2 shown]
	v_cvt_f32_f16_e32 v12, v14
	v_cvt_f32_f16_sdwa v14, v14 dst_sel:DWORD dst_unused:UNUSED_PAD src0_sel:WORD_1
	v_mov_b32_e32 v200, 0
	v_pk_mul_f32 v[192:193], v[142:143], v[192:193] op_sel_hi:[0,1]
	v_pk_fma_f32 v[144:145], v[140:141], v[144:145], v[192:193] op_sel_hi:[0,1,1] neg_lo:[0,0,1] neg_hi:[0,0,1]
	v_pk_fma_f32 v[76:77], v[146:147], v[144:145], v[76:77]
	v_mov_b32_e32 v145, 0
	v_dot4c_i32_i8_e32 v145, v190, v4
	v_mov_b32_e32 v144, 0
	v_dot4c_i32_i8_e32 v145, v190, v5
	v_dot4c_i32_i8_e32 v144, v189, v4
	;; [unrolled: 1-line block ×3, first 2 shown]
	v_mov_b32_e32 v4, 0
	v_dot4c_i32_i8_e32 v144, v186, v5
	v_dot4c_i32_i8_e32 v145, v190, v7
	;; [unrolled: 1-line block ×9, first 2 shown]
	v_and_b32_sdwa v193, v201, v158 dst_sel:DWORD dst_unused:UNUSED_PAD src0_sel:BYTE_0 src1_sel:DWORD
	v_and_b32_sdwa v192, v201, v158 dst_sel:DWORD dst_unused:UNUSED_PAD src0_sel:BYTE_1 src1_sel:DWORD
	v_dot4c_i32_i8_e32 v145, v183, v2
	v_dot4c_i32_i8_e32 v4, v160, v3
	v_mul_lo_u32 v0, v192, v208
	v_mul_lo_u32 v2, v193, v144
                                        ; kill: def $vgpr1 killed $sgpr0 killed $exec
	v_dot4c_i32_i8_e32 v145, v183, v3
	v_mad_u64_u32 v[2:3], s[16:17], v192, v4, v[2:3]
	v_mad_u64_u32 v[0:1], s[16:17], v193, v205, v[0:1]
	v_cvt_f32_i32_e32 v1, v0
	v_cvt_f32_i32_e32 v0, v2
	;; [unrolled: 1-line block ×4, first 2 shown]
	v_mov_b32_e32 v206, 0
	v_mov_b32_e32 v208, 0
	;; [unrolled: 1-line block ×3, first 2 shown]
	v_pk_mul_f32 v[2:3], v[14:15], v[2:3] op_sel_hi:[0,1]
	v_pk_fma_f32 v[0:1], v[12:13], v[0:1], v[2:3] op_sel_hi:[0,1,1] neg_lo:[0,0,1] neg_hi:[0,0,1]
	v_pk_fma_f32 v[74:75], v[146:147], v[0:1], v[74:75]
	ds_read2_b32 v[144:145], v11 offset0:64 offset1:96
	ds_read_b128 v[4:7], v9 offset:2048
	ds_read_b128 v[0:3], v9 offset:2064
	v_mov_b32_e32 v146, 0
	v_mov_b32_e32 v204, 0
	;; [unrolled: 1-line block ×3, first 2 shown]
	s_waitcnt lgkmcnt(1)
	v_dot4c_i32_i8_e32 v206, v173, v4
	v_dot4c_i32_i8_e32 v208, v172, v4
	;; [unrolled: 1-line block ×14, first 2 shown]
	v_mov_b32_e32 v209, 0
	v_mov_b32_e32 v201, 0
	v_dot4c_i32_i8_e32 v200, v184, v7
	v_mov_b32_e32 v210, 0
	v_mov_b32_e32 v147, 0
	v_dot4c_i32_i8_e32 v146, v190, v7
	v_mov_b32_e32 v211, 0
	v_dot4c_i32_i8_e32 v203, v163, v4
	s_waitcnt lgkmcnt(0)
	v_dot4c_i32_i8_e32 v204, v13, v0
	v_dot4c_i32_i8_e32 v206, v174, v0
	;; [unrolled: 1-line block ×47, first 2 shown]
	ds_read_b128 v[4:7], v9 offset:3072
	ds_read_b128 v[0:3], v9 offset:3088
	v_mov_b32_e32 v212, 0
	v_mov_b32_e32 v202, 0
	;; [unrolled: 1-line block ×3, first 2 shown]
	s_waitcnt lgkmcnt(1)
	v_dot4c_i32_i8_e32 v212, v173, v4
	v_dot4c_i32_i8_e32 v212, v173, v5
	;; [unrolled: 1-line block ×6, first 2 shown]
	s_waitcnt lgkmcnt(0)
	v_dot4c_i32_i8_e32 v213, v13, v0
	v_dot4c_i32_i8_e32 v202, v161, v6
	;; [unrolled: 1-line block ×7, first 2 shown]
	v_mul_lo_u32 v204, v204, v194
                                        ; kill: def $vgpr205 killed $sgpr0 killed $exec
	v_dot4c_i32_i8_e32 v212, v174, v2
	v_dot4c_i32_i8_e32 v213, v150, v3
	v_mul_lo_u32 v202, v202, v195
	v_mad_u64_u32 v[204:205], s[16:17], v203, v195, v[204:205]
                                        ; kill: def $vgpr203 killed $sgpr0 killed $exec
	v_dot4c_i32_i8_e32 v212, v174, v3
	v_mad_u64_u32 v[202:203], s[16:17], v213, v194, v[202:203]
	v_cvt_f32_i32_e32 v203, v202
	v_cvt_f32_i32_e32 v202, v204
	;; [unrolled: 1-line block ×4, first 2 shown]
	v_mov_b32_e32 v206, 0
	v_dot4c_i32_i8_e32 v206, v172, v4
	v_dot4c_i32_i8_e32 v206, v172, v5
	v_pk_mul_f32 v[204:205], v[10:11], v[204:205] op_sel_hi:[0,1]
	v_pk_fma_f32 v[202:203], v[8:9], v[202:203], v[204:205] op_sel_hi:[0,1,1] neg_lo:[0,0,1] neg_hi:[0,0,1]
	v_pk_fma_f32 v[68:69], v[144:145], v[202:203], v[68:69]
	v_mov_b32_e32 v202, 0
	v_dot4c_i32_i8_e32 v202, v171, v4
	v_dot4c_i32_i8_e32 v206, v172, v6
	v_mov_b32_e32 v203, 0
	v_dot4c_i32_i8_e32 v202, v168, v5
	v_dot4c_i32_i8_e32 v206, v172, v7
	;; [unrolled: 1-line block ×11, first 2 shown]
	v_mul_lo_u32 v202, v202, v197
	v_mul_lo_u32 v204, v209, v196
                                        ; kill: def $vgpr205 killed $sgpr0 killed $exec
	v_dot4c_i32_i8_e32 v206, v185, v3
	v_mad_u64_u32 v[204:205], s[16:17], v207, v197, v[204:205]
	v_mad_u64_u32 v[202:203], s[16:17], v203, v196, v[202:203]
	v_cvt_f32_i32_e32 v203, v202
	v_cvt_f32_i32_e32 v202, v204
	v_cvt_f32_i32_e32 v205, v206
	v_cvt_f32_i32_e32 v204, v208
	v_mov_b32_e32 v206, 0
	v_dot4c_i32_i8_e32 v206, v184, v4
	v_dot4c_i32_i8_e32 v206, v184, v5
	v_pk_mul_f32 v[204:205], v[138:139], v[204:205] op_sel_hi:[0,1]
	v_pk_fma_f32 v[202:203], v[136:137], v[202:203], v[204:205] op_sel_hi:[0,1,1] neg_lo:[0,0,1] neg_hi:[0,0,1]
	v_pk_fma_f32 v[66:67], v[144:145], v[202:203], v[66:67]
	v_mov_b32_e32 v202, 0
	v_dot4c_i32_i8_e32 v206, v184, v6
	v_dot4c_i32_i8_e32 v202, v182, v4
	;; [unrolled: 1-line block ×3, first 2 shown]
	v_mov_b32_e32 v203, 0
	v_dot4c_i32_i8_e32 v202, v179, v5
	v_dot4c_i32_i8_e32 v203, v175, v0
	;; [unrolled: 1-line block ×11, first 2 shown]
	v_mul_lo_u32 v202, v202, v199
	v_mul_lo_u32 v204, v210, v198
                                        ; kill: def $vgpr205 killed $sgpr0 killed $exec
	v_mad_u64_u32 v[202:203], s[16:17], v203, v198, v[202:203]
	v_mad_u64_u32 v[204:205], s[16:17], v201, v199, v[204:205]
	v_cvt_f32_i32_e32 v201, v206
	v_cvt_f32_i32_e32 v200, v200
	;; [unrolled: 1-line block ×4, first 2 shown]
	v_mov_b32_e32 v206, 0
	v_pk_mul_f32 v[200:201], v[142:143], v[200:201] op_sel_hi:[0,1]
	v_mov_b32_e32 v208, 0
	v_pk_fma_f32 v[200:201], v[140:141], v[202:203], v[200:201] op_sel_hi:[0,1,1] neg_lo:[0,0,1] neg_hi:[0,0,1]
	v_pk_fma_f32 v[64:65], v[144:145], v[200:201], v[64:65]
	v_mov_b32_e32 v201, 0
	v_dot4c_i32_i8_e32 v201, v190, v4
	v_mov_b32_e32 v200, 0
	v_dot4c_i32_i8_e32 v201, v190, v5
	v_dot4c_i32_i8_e32 v200, v189, v4
	;; [unrolled: 1-line block ×3, first 2 shown]
	v_mov_b32_e32 v4, 0
	v_dot4c_i32_i8_e32 v200, v186, v5
	v_dot4c_i32_i8_e32 v201, v190, v7
	v_dot4c_i32_i8_e32 v4, v152, v0
	v_dot4c_i32_i8_e32 v200, v187, v6
	v_dot4c_i32_i8_e32 v201, v183, v0
	v_dot4c_i32_i8_e32 v4, v153, v1
	v_dot4c_i32_i8_e32 v200, v188, v7
	v_dot4c_i32_i8_e32 v201, v183, v1
	v_dot4c_i32_i8_e32 v4, v155, v2
	v_dot4c_i32_i8_e32 v201, v183, v2
	v_dot4c_i32_i8_e32 v4, v160, v3
	v_mul_lo_u32 v0, v200, v193
	v_mul_lo_u32 v2, v211, v192
                                        ; kill: def $vgpr1 killed $sgpr0 killed $exec
	v_dot4c_i32_i8_e32 v201, v183, v3
	v_mad_u64_u32 v[2:3], s[16:17], v147, v193, v[2:3]
	v_mad_u64_u32 v[0:1], s[16:17], v4, v192, v[0:1]
	v_cvt_f32_i32_e32 v1, v0
	v_cvt_f32_i32_e32 v0, v2
	;; [unrolled: 1-line block ×4, first 2 shown]
	v_mov_b32_e32 v200, 0
	v_mov_b32_e32 v146, 0
	v_mov_b32_e32 v203, 0
	v_pk_mul_f32 v[2:3], v[14:15], v[2:3] op_sel_hi:[0,1]
	v_pk_fma_f32 v[0:1], v[12:13], v[0:1], v[2:3] op_sel_hi:[0,1,1] neg_lo:[0,0,1] neg_hi:[0,0,1]
	v_pk_fma_f32 v[60:61], v[144:145], v[0:1], v[60:61]
	ds_read2_b32 v[144:145], v11 offset0:128 offset1:160
	ds_read_b128 v[4:7], v9 offset:4096
	ds_read_b128 v[0:3], v9 offset:4112
	v_mov_b32_e32 v204, 0
	v_mov_b32_e32 v207, 0
	;; [unrolled: 1-line block ×3, first 2 shown]
	s_waitcnt lgkmcnt(1)
	v_dot4c_i32_i8_e32 v206, v173, v4
	v_dot4c_i32_i8_e32 v208, v172, v4
	;; [unrolled: 1-line block ×14, first 2 shown]
	v_mov_b32_e32 v201, 0
	v_dot4c_i32_i8_e32 v200, v184, v7
	v_mov_b32_e32 v210, 0
	v_mov_b32_e32 v147, 0
	v_dot4c_i32_i8_e32 v146, v190, v7
	v_mov_b32_e32 v211, 0
	v_dot4c_i32_i8_e32 v203, v163, v4
	s_waitcnt lgkmcnt(0)
	v_dot4c_i32_i8_e32 v204, v13, v0
	v_dot4c_i32_i8_e32 v206, v174, v0
	;; [unrolled: 1-line block ×47, first 2 shown]
	ds_read_b128 v[4:7], v9 offset:5120
	ds_read_b128 v[0:3], v9 offset:5136
	v_mov_b32_e32 v212, 0
	v_mov_b32_e32 v202, 0
	;; [unrolled: 1-line block ×3, first 2 shown]
	s_waitcnt lgkmcnt(1)
	v_dot4c_i32_i8_e32 v212, v173, v4
	v_dot4c_i32_i8_e32 v212, v173, v5
	;; [unrolled: 1-line block ×6, first 2 shown]
	s_waitcnt lgkmcnt(0)
	v_dot4c_i32_i8_e32 v213, v13, v0
	v_dot4c_i32_i8_e32 v202, v161, v6
	;; [unrolled: 1-line block ×7, first 2 shown]
	v_mul_lo_u32 v204, v204, v194
                                        ; kill: def $vgpr205 killed $sgpr0 killed $exec
	v_dot4c_i32_i8_e32 v212, v174, v2
	v_dot4c_i32_i8_e32 v213, v150, v3
	v_mul_lo_u32 v202, v202, v195
	v_mad_u64_u32 v[204:205], s[16:17], v203, v195, v[204:205]
                                        ; kill: def $vgpr203 killed $sgpr0 killed $exec
	v_dot4c_i32_i8_e32 v212, v174, v3
	v_mad_u64_u32 v[202:203], s[16:17], v213, v194, v[202:203]
	v_cvt_f32_i32_e32 v203, v202
	v_cvt_f32_i32_e32 v202, v204
	;; [unrolled: 1-line block ×4, first 2 shown]
	v_mov_b32_e32 v206, 0
	v_dot4c_i32_i8_e32 v206, v172, v4
	v_dot4c_i32_i8_e32 v206, v172, v5
	v_pk_mul_f32 v[204:205], v[10:11], v[204:205] op_sel_hi:[0,1]
	v_pk_fma_f32 v[202:203], v[8:9], v[202:203], v[204:205] op_sel_hi:[0,1,1] neg_lo:[0,0,1] neg_hi:[0,0,1]
	v_pk_fma_f32 v[30:31], v[144:145], v[202:203], v[30:31]
	v_mov_b32_e32 v202, 0
	v_dot4c_i32_i8_e32 v202, v171, v4
	v_dot4c_i32_i8_e32 v206, v172, v6
	v_mov_b32_e32 v203, 0
	v_dot4c_i32_i8_e32 v202, v168, v5
	v_dot4c_i32_i8_e32 v206, v172, v7
	;; [unrolled: 1-line block ×11, first 2 shown]
	v_mul_lo_u32 v202, v202, v197
	v_mul_lo_u32 v204, v209, v196
                                        ; kill: def $vgpr205 killed $sgpr0 killed $exec
	v_dot4c_i32_i8_e32 v206, v185, v3
	v_mad_u64_u32 v[204:205], s[16:17], v207, v197, v[204:205]
	v_mad_u64_u32 v[202:203], s[16:17], v203, v196, v[202:203]
	v_cvt_f32_i32_e32 v203, v202
	v_cvt_f32_i32_e32 v202, v204
	;; [unrolled: 1-line block ×4, first 2 shown]
	v_mov_b32_e32 v206, 0
	v_dot4c_i32_i8_e32 v206, v184, v4
	v_dot4c_i32_i8_e32 v206, v184, v5
	v_pk_mul_f32 v[204:205], v[138:139], v[204:205] op_sel_hi:[0,1]
	v_pk_fma_f32 v[202:203], v[136:137], v[202:203], v[204:205] op_sel_hi:[0,1,1] neg_lo:[0,0,1] neg_hi:[0,0,1]
	v_pk_fma_f32 v[28:29], v[144:145], v[202:203], v[28:29]
	v_mov_b32_e32 v202, 0
	v_dot4c_i32_i8_e32 v206, v184, v6
	v_dot4c_i32_i8_e32 v202, v182, v4
	;; [unrolled: 1-line block ×3, first 2 shown]
	v_mov_b32_e32 v203, 0
	v_dot4c_i32_i8_e32 v202, v179, v5
	v_dot4c_i32_i8_e32 v203, v175, v0
	;; [unrolled: 1-line block ×11, first 2 shown]
	v_mul_lo_u32 v202, v202, v199
	v_mul_lo_u32 v204, v210, v198
                                        ; kill: def $vgpr205 killed $sgpr0 killed $exec
	v_mad_u64_u32 v[202:203], s[16:17], v203, v198, v[202:203]
	v_mad_u64_u32 v[204:205], s[16:17], v201, v199, v[204:205]
	v_cvt_f32_i32_e32 v201, v206
	v_cvt_f32_i32_e32 v200, v200
	;; [unrolled: 1-line block ×4, first 2 shown]
	v_mov_b32_e32 v204, 0
	v_pk_mul_f32 v[200:201], v[142:143], v[200:201] op_sel_hi:[0,1]
	v_mov_b32_e32 v207, 0
	v_pk_fma_f32 v[200:201], v[140:141], v[202:203], v[200:201] op_sel_hi:[0,1,1] neg_lo:[0,0,1] neg_hi:[0,0,1]
	v_pk_fma_f32 v[26:27], v[144:145], v[200:201], v[26:27]
	v_mov_b32_e32 v201, 0
	v_dot4c_i32_i8_e32 v201, v190, v4
	v_mov_b32_e32 v200, 0
	v_dot4c_i32_i8_e32 v201, v190, v5
	v_dot4c_i32_i8_e32 v200, v189, v4
	;; [unrolled: 1-line block ×3, first 2 shown]
	v_mov_b32_e32 v4, 0
	v_dot4c_i32_i8_e32 v200, v186, v5
	v_dot4c_i32_i8_e32 v201, v190, v7
	;; [unrolled: 1-line block ×11, first 2 shown]
	v_mul_lo_u32 v0, v200, v193
	v_mul_lo_u32 v2, v211, v192
                                        ; kill: def $vgpr1 killed $sgpr0 killed $exec
	v_dot4c_i32_i8_e32 v201, v183, v3
	v_mad_u64_u32 v[2:3], s[16:17], v147, v193, v[2:3]
	v_mad_u64_u32 v[0:1], s[16:17], v4, v192, v[0:1]
	v_cvt_f32_i32_e32 v1, v0
	v_cvt_f32_i32_e32 v0, v2
	;; [unrolled: 1-line block ×4, first 2 shown]
	v_mov_b32_e32 v201, 0
	v_mov_b32_e32 v146, 0
	;; [unrolled: 1-line block ×3, first 2 shown]
	v_pk_mul_f32 v[2:3], v[14:15], v[2:3] op_sel_hi:[0,1]
	v_pk_fma_f32 v[0:1], v[12:13], v[0:1], v[2:3] op_sel_hi:[0,1,1] neg_lo:[0,0,1] neg_hi:[0,0,1]
	v_pk_fma_f32 v[24:25], v[144:145], v[0:1], v[24:25]
	ds_read2_b32 v[144:145], v11 offset0:192 offset1:224
	ds_read_b128 v[4:7], v9 offset:6144
	ds_read_b128 v[0:3], v9 offset:6160
	v_mov_b32_e32 v205, 0
	v_mov_b32_e32 v206, 0
	;; [unrolled: 1-line block ×3, first 2 shown]
	s_waitcnt lgkmcnt(1)
	v_dot4c_i32_i8_e32 v204, v173, v4
	v_dot4c_i32_i8_e32 v207, v172, v4
	;; [unrolled: 1-line block ×14, first 2 shown]
	v_mov_b32_e32 v202, 0
	v_dot4c_i32_i8_e32 v201, v184, v7
	v_mov_b32_e32 v209, 0
	v_mov_b32_e32 v147, 0
	v_dot4c_i32_i8_e32 v146, v190, v7
	v_mov_b32_e32 v200, 0
	v_dot4c_i32_i8_e32 v203, v163, v4
	s_waitcnt lgkmcnt(0)
	v_dot4c_i32_i8_e32 v205, v13, v0
	v_dot4c_i32_i8_e32 v204, v174, v0
	;; [unrolled: 1-line block ×47, first 2 shown]
	ds_read_b128 v[4:7], v9 offset:7168
	ds_read_b128 v[0:3], v9 offset:7184
	v_mov_b32_e32 v211, 0
	v_mov_b32_e32 v210, 0
	s_waitcnt lgkmcnt(1)
	v_dot4c_i32_i8_e32 v211, v173, v4
	v_dot4c_i32_i8_e32 v210, v163, v4
	;; [unrolled: 1-line block ×5, first 2 shown]
	v_mov_b32_e32 v154, 0
	v_dot4c_i32_i8_e32 v211, v173, v7
	s_waitcnt lgkmcnt(0)
	v_dot4c_i32_i8_e32 v154, v13, v0
	v_dot4c_i32_i8_e32 v210, v161, v6
	v_dot4c_i32_i8_e32 v211, v174, v0
	v_dot4c_i32_i8_e32 v154, v15, v1
	v_dot4c_i32_i8_e32 v210, v162, v7
	v_dot4c_i32_i8_e32 v211, v174, v1
	v_dot4c_i32_i8_e32 v154, v148, v2
	v_dot4c_i32_i8_e32 v211, v174, v2
	v_dot4c_i32_i8_e32 v154, v150, v3
	v_mul_lo_u32 v148, v210, v195
	v_mul_lo_u32 v150, v205, v194
	v_dot4c_i32_i8_e32 v211, v174, v3
	v_mad_u64_u32 v[162:163], s[16:17], v203, v195, v[150:151]
	v_mad_u64_u32 v[194:195], s[16:17], v154, v194, v[148:149]
	v_cvt_f32_i32_e32 v163, v194
	v_cvt_f32_i32_e32 v195, v211
	;; [unrolled: 1-line block ×4, first 2 shown]
	v_mov_b32_e32 v13, 0
	v_dot4c_i32_i8_e32 v13, v172, v4
	v_pk_mul_f32 v[194:195], v[10:11], v[194:195] op_sel_hi:[0,1]
	v_pk_fma_f32 v[162:163], v[8:9], v[162:163], v[194:195] op_sel_hi:[0,1,1] neg_lo:[0,0,1] neg_hi:[0,0,1]
	v_mov_b32_e32 v8, 0
	v_dot4c_i32_i8_e32 v13, v172, v5
	v_dot4c_i32_i8_e32 v8, v171, v4
	;; [unrolled: 1-line block ×3, first 2 shown]
	v_mov_b32_e32 v15, 0
	v_dot4c_i32_i8_e32 v8, v168, v5
	v_dot4c_i32_i8_e32 v13, v172, v7
	;; [unrolled: 1-line block ×11, first 2 shown]
	v_mul_lo_u32 v8, v8, v197
	v_mul_lo_u32 v10, v208, v196
	v_pk_fma_f32 v[22:23], v[144:145], v[162:163], v[22:23]
	v_dot4c_i32_i8_e32 v13, v185, v3
	v_mad_u64_u32 v[162:163], s[16:17], v206, v197, v[10:11]
	v_mad_u64_u32 v[164:165], s[16:17], v15, v196, v[8:9]
	v_cvt_f32_i32_e32 v163, v164
	v_cvt_f32_i32_e32 v165, v13
	;; [unrolled: 1-line block ×4, first 2 shown]
	v_mov_b32_e32 v8, 0
	v_dot4c_i32_i8_e32 v8, v182, v4
	v_mov_b32_e32 v15, 0
	v_pk_mul_f32 v[164:165], v[138:139], v[164:165] op_sel_hi:[0,1]
	v_dot4c_i32_i8_e32 v8, v179, v5
	v_dot4c_i32_i8_e32 v15, v175, v0
	v_pk_fma_f32 v[162:163], v[136:137], v[162:163], v[164:165] op_sel_hi:[0,1,1] neg_lo:[0,0,1] neg_hi:[0,0,1]
	v_dot4c_i32_i8_e32 v8, v180, v6
	v_dot4c_i32_i8_e32 v15, v176, v1
	v_mul_lo_u32 v10, v209, v198
	v_pk_fma_f32 v[20:21], v[144:145], v[162:163], v[20:21]
	v_mov_b32_e32 v13, 0
	v_dot4c_i32_i8_e32 v8, v181, v7
	v_dot4c_i32_i8_e32 v15, v177, v2
	v_mad_u64_u32 v[162:163], s[16:17], v202, v199, v[10:11]
	v_mov_b32_e32 v10, 0
	v_dot4c_i32_i8_e32 v13, v184, v4
	v_dot4c_i32_i8_e32 v15, v178, v3
	v_mul_lo_u32 v8, v8, v199
	v_dot4c_i32_i8_e32 v10, v190, v4
	v_dot4c_i32_i8_e32 v13, v184, v5
	v_mad_u64_u32 v[164:165], s[16:17], v15, v198, v[8:9]
	v_mov_b32_e32 v8, 0
	v_dot4c_i32_i8_e32 v10, v190, v5
	v_dot4c_i32_i8_e32 v13, v184, v6
	;; [unrolled: 1-line block ×4, first 2 shown]
	v_mov_b32_e32 v4, 0
	v_dot4c_i32_i8_e32 v13, v184, v7
	v_dot4c_i32_i8_e32 v8, v186, v5
	;; [unrolled: 1-line block ×15, first 2 shown]
	v_mul_lo_u32 v0, v8, v193
	v_mul_lo_u32 v2, v200, v192
                                        ; kill: def $vgpr1 killed $sgpr0 killed $exec
	v_dot4c_i32_i8_e32 v13, v191, v3
	v_dot4c_i32_i8_e32 v10, v183, v3
	v_mad_u64_u32 v[2:3], s[16:17], v147, v193, v[2:3]
	v_mad_u64_u32 v[0:1], s[16:17], v4, v192, v[0:1]
	v_cvt_f32_i32_e32 v163, v164
	v_cvt_f32_i32_e32 v165, v13
	;; [unrolled: 1-line block ×8, first 2 shown]
	v_pk_mul_f32 v[164:165], v[142:143], v[164:165] op_sel_hi:[0,1]
	s_add_i32 s16, s11, 2
	v_pk_mul_f32 v[2:3], v[14:15], v[2:3] op_sel_hi:[0,1]
	v_pk_fma_f32 v[162:163], v[140:141], v[162:163], v[164:165] op_sel_hi:[0,1,1] neg_lo:[0,0,1] neg_hi:[0,0,1]
	v_pk_fma_f32 v[0:1], v[12:13], v[0:1], v[2:3] op_sel_hi:[0,1,1] neg_lo:[0,0,1] neg_hi:[0,0,1]
	v_pk_fma_f32 v[18:19], v[144:145], v[162:163], v[18:19]
	v_pk_fma_f32 v[16:17], v[144:145], v[0:1], v[16:17]
	v_add_u32_e32 v11, 4, v11
	v_add_u32_e32 v9, 32, v9
	s_cmp_lt_u32 s11, 22
	s_mov_b32 s11, s16
	s_cbranch_scc1 .LBB128_12
; %bb.13:                               ;   in Loop: Header=BB128_6 Depth=1
	v_add_u32_e32 v14, s9, v103
	v_add_u32_e32 v0, v14, v59
	v_add_u32_e32 v2, v14, v71
	v_add_u32_e32 v4, v14, v83
	v_add_u32_e32 v6, v14, v85
	v_add_u32_e32 v136, 12, v159
	v_mad_i64_i32 v[0:1], s[16:17], v0, 36, v[88:89]
	v_mad_i64_i32 v[2:3], s[16:17], v2, 36, v[88:89]
	;; [unrolled: 1-line block ×4, first 2 shown]
	v_add_u32_e32 v8, v14, v87
	v_add_u32_e32 v10, v14, v93
	;; [unrolled: 1-line block ×4, first 2 shown]
	v_mad_u64_u32 v[144:145], s[16:17], v136, 36, s[2:3]
	s_barrier
	v_mad_i64_i32 v[8:9], s[16:17], v8, 36, v[88:89]
	v_mad_i64_i32 v[10:11], s[16:17], v10, 36, v[88:89]
	;; [unrolled: 1-line block ×4, first 2 shown]
	global_load_dword v136, v[144:145], off
	s_nop 0
	global_load_dword v0, v[0:1], off offset:4
	s_nop 0
	global_load_dword v1, v[2:3], off offset:4
	;; [unrolled: 2-line block ×3, first 2 shown]
	global_load_dword v3, v[6:7], off offset:4
	s_nop 0
	global_load_dword v4, v[8:9], off offset:4
	global_load_dword v5, v[10:11], off offset:4
	;; [unrolled: 1-line block ×4, first 2 shown]
	s_mov_b32 s9, 24
	v_mov_b32_e32 v145, v125
	v_mov_b32_e32 v147, v107
	s_waitcnt vmcnt(8)
	v_cvt_f32_f16_e32 v8, v136
	s_waitcnt vmcnt(7)
	ds_write_b32 v123, v0
	s_waitcnt vmcnt(6)
	ds_write_b32 v109, v1
	;; [unrolled: 2-line block ×8, first 2 shown]
	ds_write_b32 v57, v8
	s_waitcnt lgkmcnt(0)
	s_barrier
.LBB128_14:                             ;   Parent Loop BB128_6 Depth=1
                                        ; =>  This Inner Loop Header: Depth=2
	s_and_b32 s17, s9, 0x3ffffff8
	v_lshl_add_u32 v10, s17, 2, v105
	ds_read2_b32 v[152:153], v147 offset1:32
	ds_read_b128 v[4:7], v145
	ds_read_b128 v[0:3], v145 offset:16
	ds_read2_b32 v[8:9], v10 offset1:1
	s_sub_i32 s11, s9, 24
	s_lshr_b32 s17, s9, 2
	s_and_b32 s17, s17, 0x3ffffffc
	s_addk_i32 s17, 0x7280
	s_waitcnt lgkmcnt(0)
	v_ashrrev_i32_e32 v8, s11, v8
	v_and_b32_e32 v177, 0x3030303, v8
	v_ashrrev_i32_e32 v8, s11, v9
	v_and_b32_e32 v171, 0x3030303, v8
	ds_read2_b32 v[8:9], v10 offset0:2 offset1:3
	s_and_b32 s16, s9, -16
	s_add_i32 s16, s9, s16
	v_add_u32_e32 v155, s16, v39
	v_mov_b32_e32 v210, 0
	s_waitcnt lgkmcnt(0)
	v_ashrrev_i32_e32 v8, s11, v8
	v_and_b32_e32 v172, 0x3030303, v8
	v_ashrrev_i32_e32 v8, s11, v9
	v_and_b32_e32 v173, 0x3030303, v8
	ds_read2_b32 v[8:9], v10 offset0:4 offset1:5
	v_mov_b32_e32 v211, 0
	v_mov_b32_e32 v197, 0
	v_mov_b32_e32 v199, 0
	v_mov_b32_e32 v154, 0
	s_waitcnt lgkmcnt(0)
	v_ashrrev_i32_e32 v8, s11, v8
	v_and_b32_e32 v163, 0x3030303, v8
	v_ashrrev_i32_e32 v8, s11, v9
	v_and_b32_e32 v164, 0x3030303, v8
	ds_read2_b32 v[8:9], v10 offset0:6 offset1:7
	v_dot4c_i32_i8_e32 v197, v163, v0
	v_mov_b32_e32 v203, 0
	v_dot4c_i32_i8_e32 v154, v177, v4
	v_dot4c_i32_i8_e32 v197, v164, v1
	s_waitcnt lgkmcnt(0)
	v_ashrrev_i32_e32 v8, s11, v8
	v_and_b32_e32 v165, 0x3030303, v8
	v_ashrrev_i32_e32 v8, s11, v9
	v_and_b32_e32 v166, 0x3030303, v8
	v_add3_u32 v8, s17, v156, v127
	ds_read_b32 v8, v8
	v_dot4c_i32_i8_e32 v154, v171, v5
	v_dot4c_i32_i8_e32 v197, v165, v2
	;; [unrolled: 1-line block ×4, first 2 shown]
	s_waitcnt lgkmcnt(0)
	v_cvt_f32_f16_e32 v140, v8
	v_cvt_f32_f16_sdwa v142, v8 dst_sel:DWORD dst_unused:UNUSED_PAD src0_sel:WORD_1
	v_add_u32_e32 v8, 0x1080, v10
	ds_read2_b32 v[8:9], v8 offset1:1
	v_dot4c_i32_i8_e32 v154, v173, v7
	v_add_u32_e32 v195, s16, v41
	v_add_u32_e32 v200, s16, v43
	;; [unrolled: 1-line block ×3, first 2 shown]
	s_waitcnt lgkmcnt(0)
	v_ashrrev_i32_e32 v8, s11, v8
	v_and_b32_e32 v182, 0x3030303, v8
	v_ashrrev_i32_e32 v8, s11, v9
	v_and_b32_e32 v174, 0x3030303, v8
	v_add_u32_e32 v8, 0x1088, v10
	ds_read2_b32 v[8:9], v8 offset1:1
	v_mov_b32_e32 v202, 0
	v_mov_b32_e32 v201, 0
	v_dot4c_i32_i8_e32 v201, v182, v4
	v_dot4c_i32_i8_e32 v201, v174, v5
	s_waitcnt lgkmcnt(0)
	v_ashrrev_i32_e32 v8, s11, v8
	v_and_b32_e32 v178, 0x3030303, v8
	v_ashrrev_i32_e32 v8, s11, v9
	v_and_b32_e32 v179, 0x3030303, v8
	v_add_u32_e32 v8, 0x1090, v10
	ds_read2_b32 v[8:9], v8 offset1:1
	v_dot4c_i32_i8_e32 v201, v178, v6
	v_dot4c_i32_i8_e32 v201, v179, v7
	v_mov_b32_e32 v207, 0
	v_mov_b32_e32 v204, 0
	s_waitcnt lgkmcnt(0)
	v_ashrrev_i32_e32 v8, s11, v8
	v_and_b32_e32 v167, 0x3030303, v8
	v_ashrrev_i32_e32 v8, s11, v9
	v_and_b32_e32 v168, 0x3030303, v8
	v_add_u32_e32 v8, 0x1098, v10
	ds_read2_b32 v[8:9], v8 offset1:1
	v_dot4c_i32_i8_e32 v202, v167, v0
	v_dot4c_i32_i8_e32 v202, v168, v1
	v_mov_b32_e32 v205, 0
	v_mov_b32_e32 v206, 0
	s_waitcnt lgkmcnt(0)
	v_ashrrev_i32_e32 v8, s11, v8
	v_and_b32_e32 v169, 0x3030303, v8
	v_ashrrev_i32_e32 v8, s11, v9
	v_and_b32_e32 v170, 0x3030303, v8
	v_add3_u32 v8, s17, v129, v131
	ds_read_b32 v8, v8
	v_dot4c_i32_i8_e32 v202, v169, v2
	v_dot4c_i32_i8_e32 v202, v170, v3
	v_mov_b32_e32 v212, 0
	s_waitcnt lgkmcnt(0)
	v_cvt_f32_f16_e32 v144, v8
	v_cvt_f32_f16_sdwa v146, v8 dst_sel:DWORD dst_unused:UNUSED_PAD src0_sel:WORD_1
	v_add_u32_e32 v8, 0x2100, v10
	ds_read2_b32 v[8:9], v8 offset1:1
	s_waitcnt lgkmcnt(0)
	v_ashrrev_i32_e32 v8, s11, v8
	v_and_b32_e32 v186, 0x3030303, v8
	v_ashrrev_i32_e32 v8, s11, v9
	v_and_b32_e32 v183, 0x3030303, v8
	v_add_u32_e32 v8, 0x2108, v10
	ds_read2_b32 v[8:9], v8 offset1:1
	v_dot4c_i32_i8_e32 v204, v186, v4
	v_dot4c_i32_i8_e32 v204, v183, v5
	s_waitcnt lgkmcnt(0)
	v_ashrrev_i32_e32 v8, s11, v8
	v_and_b32_e32 v184, 0x3030303, v8
	v_ashrrev_i32_e32 v8, s11, v9
	v_and_b32_e32 v185, 0x3030303, v8
	v_add_u32_e32 v8, 0x2110, v10
	ds_read2_b32 v[8:9], v8 offset1:1
	v_dot4c_i32_i8_e32 v204, v184, v6
	v_dot4c_i32_i8_e32 v204, v185, v7
	;; [unrolled: 9-line block ×3, first 2 shown]
	s_waitcnt lgkmcnt(0)
	v_ashrrev_i32_e32 v8, s11, v8
	v_and_b32_e32 v180, 0x3030303, v8
	v_ashrrev_i32_e32 v8, s11, v9
	v_and_b32_e32 v181, 0x3030303, v8
	v_add3_u32 v8, s17, v133, v135
	ds_read_b32 v8, v8
	v_dot4c_i32_i8_e32 v207, v180, v2
	v_dot4c_i32_i8_e32 v207, v181, v3
	s_waitcnt lgkmcnt(0)
	v_cvt_f32_f16_e32 v148, v8
	v_cvt_f32_f16_sdwa v150, v8 dst_sel:DWORD dst_unused:UNUSED_PAD src0_sel:WORD_1
	v_add_u32_e32 v8, 0x3180, v10
	ds_read2_b32 v[8:9], v8 offset1:1
	s_waitcnt lgkmcnt(0)
	v_ashrrev_i32_e32 v8, s11, v8
	v_and_b32_e32 v190, 0x3030303, v8
	v_ashrrev_i32_e32 v8, s11, v9
	v_and_b32_e32 v187, 0x3030303, v8
	v_add_u32_e32 v8, 0x3188, v10
	ds_read2_b32 v[8:9], v8 offset1:1
	v_dot4c_i32_i8_e32 v205, v190, v4
	v_dot4c_i32_i8_e32 v205, v187, v5
	s_waitcnt lgkmcnt(0)
	v_ashrrev_i32_e32 v8, s11, v8
	v_and_b32_e32 v188, 0x3030303, v8
	v_ashrrev_i32_e32 v8, s11, v9
	v_and_b32_e32 v189, 0x3030303, v8
	v_add_u32_e32 v8, 0x3190, v10
	ds_read2_b32 v[8:9], v8 offset1:1
	v_dot4c_i32_i8_e32 v205, v188, v6
	v_dot4c_i32_i8_e32 v205, v189, v7
	;; [unrolled: 9-line block ×3, first 2 shown]
	s_waitcnt lgkmcnt(0)
	v_ashrrev_i32_e32 v8, s11, v8
	v_and_b32_e32 v161, 0x3030303, v8
	v_ashrrev_i32_e32 v8, s11, v9
	v_and_b32_e32 v162, 0x3030303, v8
	v_add3_u32 v8, s17, v137, v139
	ds_read_b32 v8, v8
	v_dot4c_i32_i8_e32 v206, v161, v2
	v_dot4c_i32_i8_e32 v206, v162, v3
	s_add_i32 s11, s9, 2
	s_cmp_lt_u32 s9, 30
	s_waitcnt lgkmcnt(0)
	v_cvt_f32_f16_e32 v136, v8
	v_cvt_f32_f16_sdwa v138, v8 dst_sel:DWORD dst_unused:UNUSED_PAD src0_sel:WORD_1
	ds_read_b128 v[12:15], v145 offset:1024
	ds_read_b128 v[8:11], v145 offset:1040
	ds_read_u16 v155, v155 offset:25072
	s_mov_b32 s9, s11
	s_waitcnt lgkmcnt(2)
	v_dot4c_i32_i8_e32 v199, v177, v12
	v_dot4c_i32_i8_e32 v199, v171, v13
	s_waitcnt lgkmcnt(0)
	v_bfe_u32 v191, v155, 4, 4
	v_mul_lo_u32 v194, v191, s8
	v_dot4c_i32_i8_e32 v210, v194, v4
	v_dot4c_i32_i8_e32 v211, v194, v12
	;; [unrolled: 1-line block ×5, first 2 shown]
	v_lshrrev_b32_sdwa v191, v157, v155 dst_sel:DWORD dst_unused:UNUSED_PAD src0_sel:DWORD src1_sel:BYTE_1
	v_dot4c_i32_i8_e32 v211, v194, v14
	v_dot4c_i32_i8_e32 v210, v194, v7
	v_mul_lo_u32 v193, v191, s8
	v_dot4c_i32_i8_e32 v211, v194, v15
	v_dot4c_i32_i8_e32 v203, v163, v8
	v_dot4c_i32_i8_e32 v210, v193, v0
	v_dot4c_i32_i8_e32 v211, v193, v8
	v_dot4c_i32_i8_e32 v199, v172, v14
	v_dot4c_i32_i8_e32 v203, v164, v9
	v_dot4c_i32_i8_e32 v210, v193, v1
	v_and_b32_sdwa v191, v155, v158 dst_sel:DWORD dst_unused:UNUSED_PAD src0_sel:BYTE_1 src1_sel:DWORD
	v_and_b32_e32 v155, 15, v155
	v_dot4c_i32_i8_e32 v211, v193, v9
	v_dot4c_i32_i8_e32 v199, v173, v15
	;; [unrolled: 1-line block ×4, first 2 shown]
	v_and_b32_e32 v192, 0xffff, v155
	v_and_b32_e32 v191, 0xffff, v191
	v_dot4c_i32_i8_e32 v211, v193, v10
	v_dot4c_i32_i8_e32 v203, v166, v11
	;; [unrolled: 1-line block ×3, first 2 shown]
	v_mul_lo_u32 v198, v197, v191
	v_mul_lo_u32 v208, v199, v192
	v_dot4c_i32_i8_e32 v211, v193, v11
	v_mad_u64_u32 v[208:209], s[16:17], v203, v191, v[208:209]
	v_mad_u64_u32 v[154:155], s[16:17], v154, v192, v[198:199]
	v_cvt_f32_i32_e32 v199, v210
	v_cvt_f32_i32_e32 v198, v211
	;; [unrolled: 1-line block ×4, first 2 shown]
	v_mov_b32_e32 v208, 0
	v_pk_mul_f32 v[198:199], v[142:143], v[198:199] op_sel_hi:[0,1]
	v_mov_b32_e32 v209, 0
	v_pk_fma_f32 v[198:199], v[140:141], v[154:155], v[198:199] op_sel_hi:[0,1,1] neg_lo:[0,0,1] neg_hi:[0,0,1]
	v_mov_b32_e32 v155, v152
	ds_read_u16 v152, v195 offset:26096
	v_mov_b32_e32 v154, v153
	v_pk_fma_f32 v[72:73], v[154:155], v[198:199], v[72:73]
	v_mov_b32_e32 v153, 0
	v_dot4c_i32_i8_e32 v153, v182, v12
	s_waitcnt lgkmcnt(0)
	v_bfe_u32 v195, v152, 4, 4
	v_mul_lo_u32 v199, v195, s8
	v_dot4c_i32_i8_e32 v208, v199, v4
	v_dot4c_i32_i8_e32 v209, v199, v12
	;; [unrolled: 1-line block ×4, first 2 shown]
	v_mov_b32_e32 v203, 0
	v_dot4c_i32_i8_e32 v208, v199, v6
	v_lshrrev_b32_sdwa v195, v157, v152 dst_sel:DWORD dst_unused:UNUSED_PAD src0_sel:DWORD src1_sel:BYTE_1
	v_dot4c_i32_i8_e32 v209, v199, v14
	v_dot4c_i32_i8_e32 v153, v174, v13
	;; [unrolled: 1-line block ×4, first 2 shown]
	v_mul_lo_u32 v198, v195, s8
	v_dot4c_i32_i8_e32 v209, v199, v15
	v_dot4c_i32_i8_e32 v153, v178, v14
	;; [unrolled: 1-line block ×4, first 2 shown]
	v_and_b32_sdwa v195, v152, v158 dst_sel:DWORD dst_unused:UNUSED_PAD src0_sel:BYTE_1 src1_sel:DWORD
	v_and_b32_e32 v152, 15, v152
	v_dot4c_i32_i8_e32 v209, v198, v8
	v_dot4c_i32_i8_e32 v153, v179, v15
	;; [unrolled: 1-line block ×4, first 2 shown]
	v_and_b32_e32 v197, 0xffff, v152
	v_and_b32_e32 v195, 0xffff, v195
	v_dot4c_i32_i8_e32 v209, v198, v9
	v_dot4c_i32_i8_e32 v203, v170, v11
	;; [unrolled: 1-line block ×3, first 2 shown]
	v_mul_lo_u32 v152, v202, v195
	v_mul_lo_u32 v202, v153, v197
	v_dot4c_i32_i8_e32 v209, v198, v10
                                        ; kill: def $vgpr153 killed $sgpr0 killed $exec
	v_dot4c_i32_i8_e32 v208, v198, v3
	v_dot4c_i32_i8_e32 v209, v198, v11
	v_mad_u64_u32 v[202:203], s[16:17], v203, v195, v[202:203]
	v_mad_u64_u32 v[152:153], s[16:17], v201, v197, v[152:153]
	v_cvt_f32_i32_e32 v153, v152
	v_cvt_f32_i32_e32 v152, v202
	v_cvt_f32_i32_e32 v203, v208
	v_cvt_f32_i32_e32 v202, v209
	v_mov_b32_e32 v210, 0
	v_mov_b32_e32 v211, 0
	;; [unrolled: 1-line block ×3, first 2 shown]
	v_pk_mul_f32 v[202:203], v[146:147], v[202:203] op_sel_hi:[0,1]
	v_pk_fma_f32 v[152:153], v[144:145], v[152:153], v[202:203] op_sel_hi:[0,1,1] neg_lo:[0,0,1] neg_hi:[0,0,1]
	v_pk_fma_f32 v[78:79], v[154:155], v[152:153], v[78:79]
	ds_read_u16 v152, v200 offset:27120
	v_mov_b32_e32 v153, 0
	v_dot4c_i32_i8_e32 v153, v186, v12
	v_dot4c_i32_i8_e32 v153, v183, v13
	v_dot4c_i32_i8_e32 v209, v175, v8
	s_waitcnt lgkmcnt(0)
	v_bfe_u32 v200, v152, 4, 4
	v_mul_lo_u32 v203, v200, s8
	v_dot4c_i32_i8_e32 v210, v203, v4
	v_dot4c_i32_i8_e32 v211, v203, v12
	;; [unrolled: 1-line block ×5, first 2 shown]
	v_lshrrev_b32_sdwa v200, v157, v152 dst_sel:DWORD dst_unused:UNUSED_PAD src0_sel:DWORD src1_sel:BYTE_1
	v_dot4c_i32_i8_e32 v211, v203, v14
	v_dot4c_i32_i8_e32 v210, v203, v7
	v_mul_lo_u32 v202, v200, s8
	v_dot4c_i32_i8_e32 v211, v203, v15
	v_dot4c_i32_i8_e32 v153, v184, v14
	;; [unrolled: 1-line block ×4, first 2 shown]
	v_and_b32_sdwa v200, v152, v158 dst_sel:DWORD dst_unused:UNUSED_PAD src0_sel:BYTE_1 src1_sel:DWORD
	v_and_b32_e32 v152, 15, v152
	v_dot4c_i32_i8_e32 v211, v202, v8
	v_dot4c_i32_i8_e32 v153, v185, v15
	;; [unrolled: 1-line block ×4, first 2 shown]
	v_and_b32_e32 v201, 0xffff, v152
	v_and_b32_e32 v200, 0xffff, v200
	v_dot4c_i32_i8_e32 v211, v202, v9
	v_dot4c_i32_i8_e32 v209, v181, v11
	;; [unrolled: 1-line block ×3, first 2 shown]
	v_mul_lo_u32 v152, v207, v200
	v_mul_lo_u32 v208, v153, v201
	v_dot4c_i32_i8_e32 v211, v202, v10
                                        ; kill: def $vgpr153 killed $sgpr0 killed $exec
	v_dot4c_i32_i8_e32 v210, v202, v3
	v_dot4c_i32_i8_e32 v211, v202, v11
	v_mad_u64_u32 v[208:209], s[16:17], v209, v200, v[208:209]
	v_mad_u64_u32 v[152:153], s[16:17], v204, v201, v[152:153]
	v_cvt_f32_i32_e32 v153, v152
	v_cvt_f32_i32_e32 v152, v208
	;; [unrolled: 1-line block ×4, first 2 shown]
	v_mov_b32_e32 v207, 0
	v_dot4c_i32_i8_e32 v207, v190, v12
	v_dot4c_i32_i8_e32 v207, v187, v13
	v_pk_mul_f32 v[208:209], v[150:151], v[208:209] op_sel_hi:[0,1]
	v_pk_fma_f32 v[152:153], v[148:149], v[152:153], v[208:209] op_sel_hi:[0,1,1] neg_lo:[0,0,1] neg_hi:[0,0,1]
	v_pk_fma_f32 v[76:77], v[154:155], v[152:153], v[76:77]
	ds_read_u16 v152, v196 offset:28144
	v_mov_b32_e32 v209, 0
	v_mov_b32_e32 v208, 0
	v_dot4c_i32_i8_e32 v208, v159, v8
	v_dot4c_i32_i8_e32 v207, v188, v14
	s_waitcnt lgkmcnt(0)
	v_bfe_u32 v153, v152, 4, 4
	v_mul_lo_u32 v204, v153, s8
	v_dot4c_i32_i8_e32 v209, v204, v4
	v_lshrrev_b32_sdwa v4, v157, v152 dst_sel:DWORD dst_unused:UNUSED_PAD src0_sel:DWORD src1_sel:BYTE_1
	v_mul_lo_u32 v196, v4, s8
	v_mov_b32_e32 v4, 0
	v_dot4c_i32_i8_e32 v209, v204, v5
	v_dot4c_i32_i8_e32 v4, v204, v12
	;; [unrolled: 1-line block ×10, first 2 shown]
	v_and_b32_sdwa v0, v152, v158 dst_sel:DWORD dst_unused:UNUSED_PAD src0_sel:BYTE_1 src1_sel:DWORD
	v_and_b32_e32 v1, 15, v152
	v_dot4c_i32_i8_e32 v4, v196, v8
	v_dot4c_i32_i8_e32 v207, v189, v15
	;; [unrolled: 1-line block ×3, first 2 shown]
	v_and_b32_e32 v153, 0xffff, v1
	v_and_b32_e32 v152, 0xffff, v0
	v_dot4c_i32_i8_e32 v4, v196, v9
	v_dot4c_i32_i8_e32 v208, v162, v11
	;; [unrolled: 1-line block ×3, first 2 shown]
	v_mul_lo_u32 v0, v206, v152
	v_mul_lo_u32 v2, v207, v153
	v_dot4c_i32_i8_e32 v4, v196, v10
                                        ; kill: def $vgpr1 killed $sgpr0 killed $exec
	v_dot4c_i32_i8_e32 v209, v196, v3
	v_dot4c_i32_i8_e32 v4, v196, v11
	v_mad_u64_u32 v[2:3], s[16:17], v208, v152, v[2:3]
	v_mad_u64_u32 v[0:1], s[16:17], v205, v153, v[0:1]
	v_cvt_f32_i32_e32 v1, v0
	v_cvt_f32_i32_e32 v0, v2
	v_cvt_f32_i32_e32 v3, v209
	v_cvt_f32_i32_e32 v2, v4
	v_mov_b32_e32 v205, 0
	v_mov_b32_e32 v207, 0
	;; [unrolled: 1-line block ×3, first 2 shown]
	v_pk_mul_f32 v[2:3], v[138:139], v[2:3] op_sel_hi:[0,1]
	v_pk_fma_f32 v[0:1], v[136:137], v[0:1], v[2:3] op_sel_hi:[0,1,1] neg_lo:[0,0,1] neg_hi:[0,0,1]
	v_pk_fma_f32 v[74:75], v[154:155], v[0:1], v[74:75]
	ds_read2_b32 v[8:9], v147 offset0:64 offset1:96
	ds_read_b128 v[4:7], v145 offset:2048
	ds_read_b128 v[0:3], v145 offset:2064
	v_mov_b32_e32 v10, 0
	v_mov_b32_e32 v15, 0
	;; [unrolled: 1-line block ×3, first 2 shown]
	s_waitcnt lgkmcnt(1)
	v_dot4c_i32_i8_e32 v205, v194, v4
	v_dot4c_i32_i8_e32 v207, v199, v4
	;; [unrolled: 1-line block ×13, first 2 shown]
	v_mov_b32_e32 v206, 0
	v_dot4c_i32_i8_e32 v207, v199, v7
	v_mov_b32_e32 v208, 0
	v_mov_b32_e32 v13, 0
	v_dot4c_i32_i8_e32 v12, v203, v7
	v_mov_b32_e32 v209, 0
	;; [unrolled: 3-line block ×3, first 2 shown]
	v_dot4c_i32_i8_e32 v15, v177, v4
	s_waitcnt lgkmcnt(0)
	v_dot4c_i32_i8_e32 v154, v163, v0
	v_dot4c_i32_i8_e32 v205, v193, v0
	;; [unrolled: 1-line block ×47, first 2 shown]
	ds_read_b128 v[4:7], v145 offset:3072
	ds_read_b128 v[0:3], v145 offset:3088
	v_mov_b32_e32 v211, 0
	v_mov_b32_e32 v14, 0
	v_mul_lo_u32 v154, v154, v191
	s_waitcnt lgkmcnt(1)
	v_dot4c_i32_i8_e32 v211, v194, v4
	v_dot4c_i32_i8_e32 v211, v194, v5
	;; [unrolled: 1-line block ×6, first 2 shown]
	s_waitcnt lgkmcnt(0)
	v_dot4c_i32_i8_e32 v212, v163, v0
	v_dot4c_i32_i8_e32 v14, v172, v6
	;; [unrolled: 1-line block ×7, first 2 shown]
                                        ; kill: def $vgpr155 killed $sgpr0 killed $exec
	v_dot4c_i32_i8_e32 v211, v193, v2
	v_dot4c_i32_i8_e32 v212, v166, v3
	v_mul_lo_u32 v14, v14, v192
	v_mad_u64_u32 v[154:155], s[16:17], v15, v192, v[154:155]
                                        ; kill: def $vgpr15 killed $sgpr0 killed $exec
	v_dot4c_i32_i8_e32 v211, v193, v3
	v_mad_u64_u32 v[14:15], s[16:17], v212, v191, v[14:15]
	v_cvt_f32_i32_e32 v15, v14
	v_cvt_f32_i32_e32 v14, v154
	;; [unrolled: 1-line block ×4, first 2 shown]
	v_mov_b32_e32 v205, 0
	v_dot4c_i32_i8_e32 v205, v199, v4
	v_dot4c_i32_i8_e32 v205, v199, v5
	v_pk_mul_f32 v[154:155], v[142:143], v[154:155] op_sel_hi:[0,1]
	v_pk_fma_f32 v[14:15], v[140:141], v[14:15], v[154:155] op_sel_hi:[0,1,1] neg_lo:[0,0,1] neg_hi:[0,0,1]
	v_pk_fma_f32 v[68:69], v[8:9], v[14:15], v[68:69]
	v_mov_b32_e32 v14, 0
	v_dot4c_i32_i8_e32 v14, v182, v4
	v_dot4c_i32_i8_e32 v205, v199, v6
	v_mov_b32_e32 v15, 0
	v_dot4c_i32_i8_e32 v14, v174, v5
	v_dot4c_i32_i8_e32 v205, v199, v7
	;; [unrolled: 1-line block ×11, first 2 shown]
	v_mul_lo_u32 v14, v14, v197
	v_mul_lo_u32 v154, v208, v195
                                        ; kill: def $vgpr155 killed $sgpr0 killed $exec
	v_dot4c_i32_i8_e32 v205, v198, v3
	v_mad_u64_u32 v[154:155], s[16:17], v206, v197, v[154:155]
	v_mad_u64_u32 v[14:15], s[16:17], v15, v195, v[14:15]
	v_cvt_f32_i32_e32 v15, v14
	v_cvt_f32_i32_e32 v14, v154
	;; [unrolled: 1-line block ×4, first 2 shown]
	v_mov_b32_e32 v205, 0
	v_dot4c_i32_i8_e32 v205, v203, v4
	v_dot4c_i32_i8_e32 v205, v203, v5
	v_pk_mul_f32 v[154:155], v[146:147], v[154:155] op_sel_hi:[0,1]
	v_pk_fma_f32 v[14:15], v[144:145], v[14:15], v[154:155] op_sel_hi:[0,1,1] neg_lo:[0,0,1] neg_hi:[0,0,1]
	v_pk_fma_f32 v[66:67], v[8:9], v[14:15], v[66:67]
	v_mov_b32_e32 v14, 0
	v_dot4c_i32_i8_e32 v205, v203, v6
	v_dot4c_i32_i8_e32 v14, v186, v4
	;; [unrolled: 1-line block ×3, first 2 shown]
	v_mov_b32_e32 v15, 0
	v_dot4c_i32_i8_e32 v14, v183, v5
	v_dot4c_i32_i8_e32 v15, v175, v0
	;; [unrolled: 1-line block ×11, first 2 shown]
	v_mul_lo_u32 v14, v14, v201
	v_mul_lo_u32 v154, v209, v200
                                        ; kill: def $vgpr155 killed $sgpr0 killed $exec
	v_mad_u64_u32 v[14:15], s[16:17], v15, v200, v[14:15]
	v_mad_u64_u32 v[154:155], s[16:17], v13, v201, v[154:155]
	v_cvt_f32_i32_e32 v13, v205
	v_cvt_f32_i32_e32 v12, v12
	;; [unrolled: 1-line block ×4, first 2 shown]
	v_mov_b32_e32 v205, 0
	v_pk_mul_f32 v[12:13], v[150:151], v[12:13] op_sel_hi:[0,1]
	v_mov_b32_e32 v207, 0
	v_pk_fma_f32 v[12:13], v[148:149], v[14:15], v[12:13] op_sel_hi:[0,1,1] neg_lo:[0,0,1] neg_hi:[0,0,1]
	v_pk_fma_f32 v[64:65], v[8:9], v[12:13], v[64:65]
	v_mov_b32_e32 v13, 0
	v_dot4c_i32_i8_e32 v13, v204, v4
	v_mov_b32_e32 v12, 0
	v_dot4c_i32_i8_e32 v13, v204, v5
	v_dot4c_i32_i8_e32 v12, v190, v4
	;; [unrolled: 1-line block ×3, first 2 shown]
	v_mov_b32_e32 v4, 0
	v_dot4c_i32_i8_e32 v12, v187, v5
	v_dot4c_i32_i8_e32 v13, v204, v7
	;; [unrolled: 1-line block ×11, first 2 shown]
	v_mul_lo_u32 v0, v12, v153
	v_mul_lo_u32 v2, v210, v152
                                        ; kill: def $vgpr1 killed $sgpr0 killed $exec
	v_dot4c_i32_i8_e32 v13, v196, v3
	v_mad_u64_u32 v[2:3], s[16:17], v11, v153, v[2:3]
	v_mad_u64_u32 v[0:1], s[16:17], v4, v152, v[0:1]
	v_cvt_f32_i32_e32 v1, v0
	v_cvt_f32_i32_e32 v0, v2
	;; [unrolled: 1-line block ×4, first 2 shown]
	v_mov_b32_e32 v12, 0
	v_mov_b32_e32 v10, 0
	;; [unrolled: 1-line block ×3, first 2 shown]
	v_pk_mul_f32 v[2:3], v[138:139], v[2:3] op_sel_hi:[0,1]
	v_pk_fma_f32 v[0:1], v[136:137], v[0:1], v[2:3] op_sel_hi:[0,1,1] neg_lo:[0,0,1] neg_hi:[0,0,1]
	v_pk_fma_f32 v[60:61], v[8:9], v[0:1], v[60:61]
	ds_read2_b32 v[8:9], v147 offset0:128 offset1:160
	ds_read_b128 v[4:7], v145 offset:4096
	ds_read_b128 v[0:3], v145 offset:4112
	v_mov_b32_e32 v154, 0
	v_mov_b32_e32 v206, 0
	;; [unrolled: 1-line block ×3, first 2 shown]
	s_waitcnt lgkmcnt(1)
	v_dot4c_i32_i8_e32 v205, v194, v4
	v_dot4c_i32_i8_e32 v207, v199, v4
	;; [unrolled: 1-line block ×14, first 2 shown]
	v_mov_b32_e32 v13, 0
	v_dot4c_i32_i8_e32 v12, v203, v7
	v_mov_b32_e32 v209, 0
	v_mov_b32_e32 v11, 0
	v_dot4c_i32_i8_e32 v10, v204, v7
	v_mov_b32_e32 v210, 0
	v_dot4c_i32_i8_e32 v15, v177, v4
	s_waitcnt lgkmcnt(0)
	v_dot4c_i32_i8_e32 v154, v163, v0
	v_dot4c_i32_i8_e32 v205, v193, v0
	;; [unrolled: 1-line block ×47, first 2 shown]
	ds_read_b128 v[4:7], v145 offset:5120
	ds_read_b128 v[0:3], v145 offset:5136
	v_mov_b32_e32 v211, 0
	v_mov_b32_e32 v14, 0
	;; [unrolled: 1-line block ×3, first 2 shown]
	s_waitcnt lgkmcnt(1)
	v_dot4c_i32_i8_e32 v211, v194, v4
	v_dot4c_i32_i8_e32 v211, v194, v5
	;; [unrolled: 1-line block ×6, first 2 shown]
	s_waitcnt lgkmcnt(0)
	v_dot4c_i32_i8_e32 v212, v163, v0
	v_dot4c_i32_i8_e32 v14, v172, v6
	;; [unrolled: 1-line block ×7, first 2 shown]
	v_mul_lo_u32 v154, v154, v191
                                        ; kill: def $vgpr155 killed $sgpr0 killed $exec
	v_dot4c_i32_i8_e32 v211, v193, v2
	v_dot4c_i32_i8_e32 v212, v166, v3
	v_mul_lo_u32 v14, v14, v192
	v_mad_u64_u32 v[154:155], s[16:17], v15, v192, v[154:155]
                                        ; kill: def $vgpr15 killed $sgpr0 killed $exec
	v_dot4c_i32_i8_e32 v211, v193, v3
	v_mad_u64_u32 v[14:15], s[16:17], v212, v191, v[14:15]
	v_cvt_f32_i32_e32 v15, v14
	v_cvt_f32_i32_e32 v14, v154
	;; [unrolled: 1-line block ×4, first 2 shown]
	v_mov_b32_e32 v205, 0
	v_dot4c_i32_i8_e32 v205, v199, v4
	v_dot4c_i32_i8_e32 v205, v199, v5
	v_pk_mul_f32 v[154:155], v[142:143], v[154:155] op_sel_hi:[0,1]
	v_pk_fma_f32 v[14:15], v[140:141], v[14:15], v[154:155] op_sel_hi:[0,1,1] neg_lo:[0,0,1] neg_hi:[0,0,1]
	v_pk_fma_f32 v[30:31], v[8:9], v[14:15], v[30:31]
	v_mov_b32_e32 v14, 0
	v_dot4c_i32_i8_e32 v14, v182, v4
	v_dot4c_i32_i8_e32 v205, v199, v6
	v_mov_b32_e32 v15, 0
	v_dot4c_i32_i8_e32 v14, v174, v5
	v_dot4c_i32_i8_e32 v205, v199, v7
	;; [unrolled: 1-line block ×11, first 2 shown]
	v_mul_lo_u32 v14, v14, v197
	v_mul_lo_u32 v154, v208, v195
                                        ; kill: def $vgpr155 killed $sgpr0 killed $exec
	v_dot4c_i32_i8_e32 v205, v198, v3
	v_mad_u64_u32 v[154:155], s[16:17], v206, v197, v[154:155]
	v_mad_u64_u32 v[14:15], s[16:17], v15, v195, v[14:15]
	v_cvt_f32_i32_e32 v15, v14
	v_cvt_f32_i32_e32 v14, v154
	;; [unrolled: 1-line block ×4, first 2 shown]
	v_mov_b32_e32 v205, 0
	v_dot4c_i32_i8_e32 v205, v203, v4
	v_dot4c_i32_i8_e32 v205, v203, v5
	v_pk_mul_f32 v[154:155], v[146:147], v[154:155] op_sel_hi:[0,1]
	v_pk_fma_f32 v[14:15], v[144:145], v[14:15], v[154:155] op_sel_hi:[0,1,1] neg_lo:[0,0,1] neg_hi:[0,0,1]
	v_pk_fma_f32 v[28:29], v[8:9], v[14:15], v[28:29]
	v_mov_b32_e32 v14, 0
	v_dot4c_i32_i8_e32 v205, v203, v6
	v_dot4c_i32_i8_e32 v14, v186, v4
	;; [unrolled: 1-line block ×3, first 2 shown]
	v_mov_b32_e32 v15, 0
	v_dot4c_i32_i8_e32 v14, v183, v5
	v_dot4c_i32_i8_e32 v15, v175, v0
	v_dot4c_i32_i8_e32 v205, v202, v0
	v_dot4c_i32_i8_e32 v14, v184, v6
	v_dot4c_i32_i8_e32 v15, v176, v1
	v_dot4c_i32_i8_e32 v205, v202, v1
	v_dot4c_i32_i8_e32 v14, v185, v7
	v_dot4c_i32_i8_e32 v15, v180, v2
	v_dot4c_i32_i8_e32 v205, v202, v2
	v_dot4c_i32_i8_e32 v15, v181, v3
	v_dot4c_i32_i8_e32 v205, v202, v3
	v_mul_lo_u32 v14, v14, v201
	v_mul_lo_u32 v154, v209, v200
                                        ; kill: def $vgpr155 killed $sgpr0 killed $exec
	v_mad_u64_u32 v[14:15], s[16:17], v15, v200, v[14:15]
	v_mad_u64_u32 v[154:155], s[16:17], v13, v201, v[154:155]
	v_cvt_f32_i32_e32 v13, v205
	v_cvt_f32_i32_e32 v12, v12
	;; [unrolled: 1-line block ×4, first 2 shown]
	v_mov_b32_e32 v205, 0
	v_pk_mul_f32 v[12:13], v[150:151], v[12:13] op_sel_hi:[0,1]
	v_mov_b32_e32 v207, 0
	v_pk_fma_f32 v[12:13], v[148:149], v[14:15], v[12:13] op_sel_hi:[0,1,1] neg_lo:[0,0,1] neg_hi:[0,0,1]
	v_pk_fma_f32 v[26:27], v[8:9], v[12:13], v[26:27]
	v_mov_b32_e32 v13, 0
	v_dot4c_i32_i8_e32 v13, v204, v4
	v_mov_b32_e32 v12, 0
	v_dot4c_i32_i8_e32 v13, v204, v5
	v_dot4c_i32_i8_e32 v12, v190, v4
	;; [unrolled: 1-line block ×3, first 2 shown]
	v_mov_b32_e32 v4, 0
	v_dot4c_i32_i8_e32 v12, v187, v5
	v_dot4c_i32_i8_e32 v13, v204, v7
	;; [unrolled: 1-line block ×11, first 2 shown]
	v_mul_lo_u32 v0, v12, v153
	v_mul_lo_u32 v2, v210, v152
                                        ; kill: def $vgpr1 killed $sgpr0 killed $exec
	v_dot4c_i32_i8_e32 v13, v196, v3
	v_mad_u64_u32 v[2:3], s[16:17], v11, v153, v[2:3]
	v_mad_u64_u32 v[0:1], s[16:17], v4, v152, v[0:1]
	v_cvt_f32_i32_e32 v1, v0
	v_cvt_f32_i32_e32 v0, v2
	;; [unrolled: 1-line block ×4, first 2 shown]
	v_mov_b32_e32 v13, 0
	v_mov_b32_e32 v10, 0
	;; [unrolled: 1-line block ×3, first 2 shown]
	v_pk_mul_f32 v[2:3], v[138:139], v[2:3] op_sel_hi:[0,1]
	v_pk_fma_f32 v[0:1], v[136:137], v[0:1], v[2:3] op_sel_hi:[0,1,1] neg_lo:[0,0,1] neg_hi:[0,0,1]
	v_pk_fma_f32 v[24:25], v[8:9], v[0:1], v[24:25]
	ds_read2_b32 v[8:9], v147 offset0:192 offset1:224
	ds_read_b128 v[4:7], v145 offset:6144
	ds_read_b128 v[0:3], v145 offset:6160
	v_mov_b32_e32 v155, 0
	v_mov_b32_e32 v206, 0
	v_mov_b32_e32 v208, 0
	s_waitcnt lgkmcnt(1)
	v_dot4c_i32_i8_e32 v205, v194, v4
	v_dot4c_i32_i8_e32 v207, v199, v4
	;; [unrolled: 1-line block ×14, first 2 shown]
	v_mov_b32_e32 v14, 0
	v_dot4c_i32_i8_e32 v13, v203, v7
	v_mov_b32_e32 v209, 0
	v_mov_b32_e32 v11, 0
	v_dot4c_i32_i8_e32 v10, v204, v7
	v_mov_b32_e32 v12, 0
	v_dot4c_i32_i8_e32 v15, v177, v4
	s_waitcnt lgkmcnt(0)
	v_dot4c_i32_i8_e32 v155, v163, v0
	v_dot4c_i32_i8_e32 v205, v193, v0
	;; [unrolled: 1-line block ×47, first 2 shown]
	ds_read_b128 v[4:7], v145 offset:7168
	ds_read_b128 v[0:3], v145 offset:7184
	v_mov_b32_e32 v154, 0
	s_waitcnt lgkmcnt(1)
	v_dot4c_i32_i8_e32 v154, v177, v4
	v_mov_b32_e32 v177, 0
	v_dot4c_i32_i8_e32 v177, v194, v4
	v_dot4c_i32_i8_e32 v177, v194, v5
	;; [unrolled: 1-line block ×4, first 2 shown]
	v_mov_b32_e32 v171, 0
	v_dot4c_i32_i8_e32 v177, v194, v7
	s_waitcnt lgkmcnt(0)
	v_dot4c_i32_i8_e32 v171, v163, v0
	v_dot4c_i32_i8_e32 v154, v172, v6
	v_dot4c_i32_i8_e32 v177, v193, v0
	v_dot4c_i32_i8_e32 v171, v164, v1
	v_dot4c_i32_i8_e32 v154, v173, v7
	v_dot4c_i32_i8_e32 v177, v193, v1
	v_dot4c_i32_i8_e32 v171, v165, v2
	v_dot4c_i32_i8_e32 v177, v193, v2
	v_dot4c_i32_i8_e32 v171, v166, v3
	v_mul_lo_u32 v154, v154, v192
	v_mul_lo_u32 v164, v155, v191
                                        ; kill: def $vgpr155 killed $sgpr0 killed $exec
	v_dot4c_i32_i8_e32 v177, v193, v3
	v_mad_u64_u32 v[164:165], s[16:17], v15, v192, v[164:165]
	v_mad_u64_u32 v[154:155], s[16:17], v171, v191, v[154:155]
	v_cvt_f32_i32_e32 v155, v154
	v_cvt_f32_i32_e32 v154, v164
	v_cvt_f32_i32_e32 v165, v177
	v_cvt_f32_i32_e32 v164, v205
	v_mov_b32_e32 v163, 0
	v_dot4c_i32_i8_e32 v163, v199, v4
	v_mov_b32_e32 v15, 0
	v_pk_mul_f32 v[164:165], v[142:143], v[164:165] op_sel_hi:[0,1]
	v_dot4c_i32_i8_e32 v163, v199, v5
	v_pk_fma_f32 v[154:155], v[140:141], v[154:155], v[164:165] op_sel_hi:[0,1,1] neg_lo:[0,0,1] neg_hi:[0,0,1]
	v_dot4c_i32_i8_e32 v15, v182, v4
	v_dot4c_i32_i8_e32 v163, v199, v6
	v_mov_b32_e32 v164, 0
	v_dot4c_i32_i8_e32 v15, v174, v5
	v_dot4c_i32_i8_e32 v163, v199, v7
	;; [unrolled: 1-line block ×11, first 2 shown]
	v_mul_lo_u32 v140, v15, v197
	v_mul_lo_u32 v142, v208, v195
	v_pk_fma_f32 v[22:23], v[8:9], v[154:155], v[22:23]
	v_dot4c_i32_i8_e32 v163, v198, v3
	v_mad_u64_u32 v[154:155], s[16:17], v206, v197, v[142:143]
	v_mad_u64_u32 v[164:165], s[16:17], v164, v195, v[140:141]
	v_cvt_f32_i32_e32 v155, v164
	v_cvt_f32_i32_e32 v165, v163
	v_cvt_f32_i32_e32 v164, v207
	v_cvt_f32_i32_e32 v154, v154
	v_mov_b32_e32 v15, 0
	v_dot4c_i32_i8_e32 v15, v186, v4
	v_pk_mul_f32 v[164:165], v[146:147], v[164:165] op_sel_hi:[0,1]
	v_pk_fma_f32 v[154:155], v[144:145], v[154:155], v[164:165] op_sel_hi:[0,1,1] neg_lo:[0,0,1] neg_hi:[0,0,1]
	v_mov_b32_e32 v144, 0
	v_dot4c_i32_i8_e32 v144, v203, v4
	v_dot4c_i32_i8_e32 v144, v203, v5
	;; [unrolled: 1-line block ×3, first 2 shown]
	v_mov_b32_e32 v146, 0
	v_dot4c_i32_i8_e32 v15, v183, v5
	v_dot4c_i32_i8_e32 v144, v203, v7
	;; [unrolled: 1-line block ×11, first 2 shown]
	v_mul_lo_u32 v140, v15, v201
	v_mul_lo_u32 v142, v209, v200
	v_pk_fma_f32 v[20:21], v[8:9], v[154:155], v[20:21]
	v_dot4c_i32_i8_e32 v144, v202, v3
	v_mad_u64_u32 v[14:15], s[16:17], v14, v201, v[142:143]
	v_mad_u64_u32 v[154:155], s[16:17], v146, v200, v[140:141]
	v_cvt_f32_i32_e32 v15, v154
	v_cvt_f32_i32_e32 v155, v144
	;; [unrolled: 1-line block ×4, first 2 shown]
	v_mov_b32_e32 v13, 0
	v_dot4c_i32_i8_e32 v13, v190, v4
	v_pk_mul_f32 v[154:155], v[150:151], v[154:155] op_sel_hi:[0,1]
	v_pk_fma_f32 v[14:15], v[148:149], v[14:15], v[154:155] op_sel_hi:[0,1,1] neg_lo:[0,0,1] neg_hi:[0,0,1]
	v_pk_fma_f32 v[18:19], v[8:9], v[14:15], v[18:19]
	v_mov_b32_e32 v14, 0
	v_dot4c_i32_i8_e32 v14, v204, v4
	v_dot4c_i32_i8_e32 v14, v204, v5
	v_dot4c_i32_i8_e32 v14, v204, v6
	v_mov_b32_e32 v4, 0
	v_dot4c_i32_i8_e32 v13, v187, v5
	v_dot4c_i32_i8_e32 v14, v204, v7
	v_dot4c_i32_i8_e32 v4, v159, v0
	v_dot4c_i32_i8_e32 v13, v188, v6
	v_dot4c_i32_i8_e32 v14, v196, v0
	v_dot4c_i32_i8_e32 v4, v160, v1
	v_dot4c_i32_i8_e32 v13, v189, v7
	v_dot4c_i32_i8_e32 v14, v196, v1
	v_dot4c_i32_i8_e32 v4, v161, v2
	v_dot4c_i32_i8_e32 v14, v196, v2
	v_dot4c_i32_i8_e32 v4, v162, v3
	v_mul_lo_u32 v0, v13, v153
	v_mul_lo_u32 v2, v12, v152
                                        ; kill: def $vgpr1 killed $sgpr0 killed $exec
	v_dot4c_i32_i8_e32 v14, v196, v3
	v_mad_u64_u32 v[2:3], s[16:17], v11, v153, v[2:3]
	v_mad_u64_u32 v[0:1], s[16:17], v4, v152, v[0:1]
	v_cvt_f32_i32_e32 v1, v0
	v_cvt_f32_i32_e32 v0, v2
	;; [unrolled: 1-line block ×4, first 2 shown]
	v_add_u32_e32 v147, 4, v147
	v_add_u32_e32 v145, 32, v145
	v_pk_mul_f32 v[2:3], v[138:139], v[2:3] op_sel_hi:[0,1]
	v_pk_fma_f32 v[0:1], v[136:137], v[0:1], v[2:3] op_sel_hi:[0,1,1] neg_lo:[0,0,1] neg_hi:[0,0,1]
	v_pk_fma_f32 v[16:17], v[8:9], v[0:1], v[16:17]
	s_cbranch_scc1 .LBB128_14
; %bb.15:                               ;   in Loop: Header=BB128_6 Depth=1
	s_barrier
	s_branch .LBB128_5
.LBB128_16:
	v_mov_b32_e32 v16, 0
	v_mov_b32_e32 v17, v16
	v_mov_b64_e32 v[24:25], v[16:17]
	v_mov_b64_e32 v[60:61], v[16:17]
	;; [unrolled: 1-line block ×15, first 2 shown]
	v_cmp_gt_u32_e32 vcc, s10, v35
	s_and_saveexec_b64 s[0:1], vcc
	s_cbranch_execnz .LBB128_19
.LBB128_17:
	s_endpgm
.LBB128_18:
	v_mov_b32_e32 v1, v91
	v_cmp_gt_u32_e32 vcc, s10, v35
	s_and_saveexec_b64 s[0:1], vcc
	s_cbranch_execz .LBB128_17
.LBB128_19:
	v_add_u32_e32 v0, s6, v63
	v_mul_lo_u32 v5, v35, s14
	v_cmp_gt_u32_e32 vcc, s14, v0
	s_and_saveexec_b64 s[0:1], vcc
	s_cbranch_execz .LBB128_21
; %bb.20:
	v_add_u32_e32 v2, v0, v5
	v_mov_b32_e32 v3, 0
	s_waitcnt lgkmcnt(0)
	v_lshl_add_u64 v[2:3], v[2:3], 2, s[12:13]
	global_store_dword v[2:3], v73, off
.LBB128_21:
	s_or_b64 exec, exec, s[0:1]
	v_add_u32_e32 v2, 32, v0
	v_cmp_gt_u32_e64 s[0:1], s14, v2
	s_and_saveexec_b64 s[2:3], s[0:1]
	s_cbranch_execz .LBB128_23
; %bb.22:
	v_add_u32_e32 v6, v2, v5
	v_mov_b32_e32 v7, 0
	s_waitcnt lgkmcnt(0)
	v_lshl_add_u64 v[6:7], v[6:7], 2, s[12:13]
	global_store_dword v[6:7], v79, off
.LBB128_23:
	s_or_b64 exec, exec, s[2:3]
	v_add_u32_e32 v3, 64, v0
	v_cmp_gt_u32_e64 s[2:3], s14, v3
	s_and_saveexec_b64 s[4:5], s[2:3]
	;; [unrolled: 12-line block ×3, first 2 shown]
	s_cbranch_execz .LBB128_27
; %bb.26:
	v_add_u32_e32 v6, v4, v5
	v_mov_b32_e32 v7, 0
	s_waitcnt lgkmcnt(0)
	v_lshl_add_u64 v[6:7], v[6:7], 2, s[12:13]
	global_store_dword v[6:7], v75, off
.LBB128_27:
	s_or_b64 exec, exec, s[6:7]
	v_add3_u32 v5, v1, s15, 8
	v_cmp_gt_u32_e64 s[6:7], s10, v5
	s_and_b64 exec, exec, s[6:7]
	s_cbranch_execz .LBB128_17
; %bb.28:
	v_mul_lo_u32 v5, v5, s14
	s_and_saveexec_b64 s[6:7], vcc
	s_cbranch_execnz .LBB128_68
; %bb.29:
	s_or_b64 exec, exec, s[6:7]
	s_and_saveexec_b64 s[6:7], s[0:1]
	s_cbranch_execnz .LBB128_69
.LBB128_30:
	s_or_b64 exec, exec, s[6:7]
	s_and_saveexec_b64 s[6:7], s[2:3]
	s_cbranch_execnz .LBB128_70
.LBB128_31:
	s_or_b64 exec, exec, s[6:7]
	s_and_saveexec_b64 s[6:7], s[4:5]
	s_cbranch_execz .LBB128_33
.LBB128_32:
	v_add_u32_e32 v6, v5, v4
	v_mov_b32_e32 v7, 0
	s_waitcnt lgkmcnt(0)
	v_lshl_add_u64 v[6:7], v[6:7], 2, s[12:13]
	global_store_dword v[6:7], v74, off
.LBB128_33:
	s_or_b64 exec, exec, s[6:7]
	v_add3_u32 v5, v1, s15, 16
	v_cmp_gt_u32_e64 s[6:7], s10, v5
	s_and_b64 exec, exec, s[6:7]
	s_cbranch_execz .LBB128_17
; %bb.34:
	v_mul_lo_u32 v5, v5, s14
	s_and_saveexec_b64 s[6:7], vcc
	s_cbranch_execnz .LBB128_71
; %bb.35:
	s_or_b64 exec, exec, s[6:7]
	s_and_saveexec_b64 s[6:7], s[0:1]
	s_cbranch_execnz .LBB128_72
.LBB128_36:
	s_or_b64 exec, exec, s[6:7]
	s_and_saveexec_b64 s[6:7], s[2:3]
	s_cbranch_execnz .LBB128_73
.LBB128_37:
	s_or_b64 exec, exec, s[6:7]
	s_and_saveexec_b64 s[6:7], s[4:5]
	s_cbranch_execz .LBB128_39
.LBB128_38:
	v_add_u32_e32 v6, v5, v4
	v_mov_b32_e32 v7, 0
	s_waitcnt lgkmcnt(0)
	v_lshl_add_u64 v[6:7], v[6:7], 2, s[12:13]
	global_store_dword v[6:7], v60, off
.LBB128_39:
	s_or_b64 exec, exec, s[6:7]
	v_add3_u32 v5, v1, s15, 24
	v_cmp_gt_u32_e64 s[6:7], s10, v5
	s_and_b64 exec, exec, s[6:7]
	s_cbranch_execz .LBB128_17
; %bb.40:
	v_mul_lo_u32 v5, v5, s14
	s_and_saveexec_b64 s[6:7], vcc
	s_cbranch_execnz .LBB128_74
; %bb.41:
	s_or_b64 exec, exec, s[6:7]
	s_and_saveexec_b64 s[6:7], s[0:1]
	s_cbranch_execnz .LBB128_75
.LBB128_42:
	s_or_b64 exec, exec, s[6:7]
	s_and_saveexec_b64 s[6:7], s[2:3]
	s_cbranch_execnz .LBB128_76
.LBB128_43:
	s_or_b64 exec, exec, s[6:7]
	s_and_saveexec_b64 s[6:7], s[4:5]
	s_cbranch_execz .LBB128_45
.LBB128_44:
	v_add_u32_e32 v6, v5, v4
	v_mov_b32_e32 v7, 0
	s_waitcnt lgkmcnt(0)
	v_lshl_add_u64 v[6:7], v[6:7], 2, s[12:13]
	global_store_dword v[6:7], v61, off
.LBB128_45:
	s_or_b64 exec, exec, s[6:7]
	v_add3_u32 v5, v1, s15, 32
	v_cmp_gt_u32_e64 s[6:7], s10, v5
	s_and_b64 exec, exec, s[6:7]
	s_cbranch_execz .LBB128_17
; %bb.46:
	v_mul_lo_u32 v5, v5, s14
	s_and_saveexec_b64 s[6:7], vcc
	s_cbranch_execnz .LBB128_77
; %bb.47:
	s_or_b64 exec, exec, s[6:7]
	s_and_saveexec_b64 s[6:7], s[0:1]
	s_cbranch_execnz .LBB128_78
.LBB128_48:
	s_or_b64 exec, exec, s[6:7]
	s_and_saveexec_b64 s[6:7], s[2:3]
	s_cbranch_execnz .LBB128_79
.LBB128_49:
	s_or_b64 exec, exec, s[6:7]
	s_and_saveexec_b64 s[6:7], s[4:5]
	s_cbranch_execz .LBB128_51
.LBB128_50:
	v_add_u32_e32 v6, v5, v4
	v_mov_b32_e32 v7, 0
	s_waitcnt lgkmcnt(0)
	v_lshl_add_u64 v[6:7], v[6:7], 2, s[12:13]
	global_store_dword v[6:7], v24, off
.LBB128_51:
	s_or_b64 exec, exec, s[6:7]
	v_add3_u32 v5, v1, s15, 40
	v_cmp_gt_u32_e64 s[6:7], s10, v5
	s_and_b64 exec, exec, s[6:7]
	s_cbranch_execz .LBB128_17
; %bb.52:
	v_mul_lo_u32 v5, v5, s14
	s_and_saveexec_b64 s[6:7], vcc
	s_cbranch_execnz .LBB128_80
; %bb.53:
	s_or_b64 exec, exec, s[6:7]
	s_and_saveexec_b64 s[6:7], s[0:1]
	s_cbranch_execnz .LBB128_81
.LBB128_54:
	s_or_b64 exec, exec, s[6:7]
	s_and_saveexec_b64 s[6:7], s[2:3]
	s_cbranch_execnz .LBB128_82
.LBB128_55:
	s_or_b64 exec, exec, s[6:7]
	s_and_saveexec_b64 s[6:7], s[4:5]
	s_cbranch_execz .LBB128_57
.LBB128_56:
	v_add_u32_e32 v6, v5, v4
	v_mov_b32_e32 v7, 0
	s_waitcnt lgkmcnt(0)
	v_lshl_add_u64 v[6:7], v[6:7], 2, s[12:13]
	global_store_dword v[6:7], v25, off
.LBB128_57:
	s_or_b64 exec, exec, s[6:7]
	v_add3_u32 v5, v1, s15, 48
	v_cmp_gt_u32_e64 s[6:7], s10, v5
	s_and_b64 exec, exec, s[6:7]
	s_cbranch_execz .LBB128_17
; %bb.58:
	v_mul_lo_u32 v5, v5, s14
	s_and_saveexec_b64 s[6:7], vcc
	s_cbranch_execnz .LBB128_83
; %bb.59:
	s_or_b64 exec, exec, s[6:7]
	s_and_saveexec_b64 s[6:7], s[0:1]
	s_cbranch_execnz .LBB128_84
.LBB128_60:
	s_or_b64 exec, exec, s[6:7]
	s_and_saveexec_b64 s[6:7], s[2:3]
	s_cbranch_execnz .LBB128_85
.LBB128_61:
	s_or_b64 exec, exec, s[6:7]
	s_and_saveexec_b64 s[6:7], s[4:5]
	s_cbranch_execz .LBB128_63
.LBB128_62:
	v_add_u32_e32 v6, v5, v4
	v_mov_b32_e32 v7, 0
	s_waitcnt lgkmcnt(0)
	v_lshl_add_u64 v[6:7], v[6:7], 2, s[12:13]
	global_store_dword v[6:7], v16, off
.LBB128_63:
	s_or_b64 exec, exec, s[6:7]
	v_add3_u32 v1, v1, s15, 56
	v_cmp_gt_u32_e64 s[6:7], s10, v1
	s_and_b64 exec, exec, s[6:7]
	s_cbranch_execz .LBB128_17
; %bb.64:
	v_mul_lo_u32 v1, v1, s14
	s_and_saveexec_b64 s[6:7], vcc
	s_cbranch_execnz .LBB128_86
; %bb.65:
	s_or_b64 exec, exec, s[6:7]
	s_and_saveexec_b64 s[6:7], s[0:1]
	s_cbranch_execnz .LBB128_87
.LBB128_66:
	s_or_b64 exec, exec, s[6:7]
	s_and_saveexec_b64 s[0:1], s[2:3]
	s_cbranch_execnz .LBB128_88
.LBB128_67:
	s_or_b64 exec, exec, s[0:1]
	s_and_b64 exec, exec, s[4:5]
	s_cbranch_execz .LBB128_17
	s_branch .LBB128_89
.LBB128_68:
	v_add_u32_e32 v6, v5, v0
	v_mov_b32_e32 v7, 0
	s_waitcnt lgkmcnt(0)
	v_lshl_add_u64 v[6:7], v[6:7], 2, s[12:13]
	global_store_dword v[6:7], v72, off
	s_or_b64 exec, exec, s[6:7]
	s_and_saveexec_b64 s[6:7], s[0:1]
	s_cbranch_execz .LBB128_30
.LBB128_69:
	v_add_u32_e32 v6, v5, v2
	v_mov_b32_e32 v7, 0
	s_waitcnt lgkmcnt(0)
	v_lshl_add_u64 v[6:7], v[6:7], 2, s[12:13]
	global_store_dword v[6:7], v78, off
	s_or_b64 exec, exec, s[6:7]
	s_and_saveexec_b64 s[6:7], s[2:3]
	s_cbranch_execz .LBB128_31
.LBB128_70:
	v_add_u32_e32 v6, v5, v3
	v_mov_b32_e32 v7, 0
	s_waitcnt lgkmcnt(0)
	v_lshl_add_u64 v[6:7], v[6:7], 2, s[12:13]
	global_store_dword v[6:7], v76, off
	s_or_b64 exec, exec, s[6:7]
	s_and_saveexec_b64 s[6:7], s[4:5]
	s_cbranch_execnz .LBB128_32
	s_branch .LBB128_33
.LBB128_71:
	v_add_u32_e32 v6, v5, v0
	v_mov_b32_e32 v7, 0
	s_waitcnt lgkmcnt(0)
	v_lshl_add_u64 v[6:7], v[6:7], 2, s[12:13]
	global_store_dword v[6:7], v68, off
	s_or_b64 exec, exec, s[6:7]
	s_and_saveexec_b64 s[6:7], s[0:1]
	s_cbranch_execz .LBB128_36
.LBB128_72:
	v_add_u32_e32 v6, v5, v2
	v_mov_b32_e32 v7, 0
	s_waitcnt lgkmcnt(0)
	v_lshl_add_u64 v[6:7], v[6:7], 2, s[12:13]
	global_store_dword v[6:7], v66, off
	s_or_b64 exec, exec, s[6:7]
	s_and_saveexec_b64 s[6:7], s[2:3]
	s_cbranch_execz .LBB128_37
.LBB128_73:
	v_add_u32_e32 v6, v5, v3
	v_mov_b32_e32 v7, 0
	s_waitcnt lgkmcnt(0)
	v_lshl_add_u64 v[6:7], v[6:7], 2, s[12:13]
	global_store_dword v[6:7], v64, off
	s_or_b64 exec, exec, s[6:7]
	s_and_saveexec_b64 s[6:7], s[4:5]
	s_cbranch_execnz .LBB128_38
	s_branch .LBB128_39
.LBB128_74:
	v_add_u32_e32 v6, v5, v0
	v_mov_b32_e32 v7, 0
	s_waitcnt lgkmcnt(0)
	v_lshl_add_u64 v[6:7], v[6:7], 2, s[12:13]
	global_store_dword v[6:7], v69, off
	s_or_b64 exec, exec, s[6:7]
	s_and_saveexec_b64 s[6:7], s[0:1]
	s_cbranch_execz .LBB128_42
.LBB128_75:
	v_add_u32_e32 v6, v5, v2
	v_mov_b32_e32 v7, 0
	s_waitcnt lgkmcnt(0)
	v_lshl_add_u64 v[6:7], v[6:7], 2, s[12:13]
	global_store_dword v[6:7], v67, off
	s_or_b64 exec, exec, s[6:7]
	s_and_saveexec_b64 s[6:7], s[2:3]
	s_cbranch_execz .LBB128_43
.LBB128_76:
	v_add_u32_e32 v6, v5, v3
	v_mov_b32_e32 v7, 0
	s_waitcnt lgkmcnt(0)
	v_lshl_add_u64 v[6:7], v[6:7], 2, s[12:13]
	global_store_dword v[6:7], v65, off
	s_or_b64 exec, exec, s[6:7]
	s_and_saveexec_b64 s[6:7], s[4:5]
	s_cbranch_execnz .LBB128_44
	s_branch .LBB128_45
.LBB128_77:
	v_add_u32_e32 v6, v5, v0
	v_mov_b32_e32 v7, 0
	s_waitcnt lgkmcnt(0)
	v_lshl_add_u64 v[6:7], v[6:7], 2, s[12:13]
	global_store_dword v[6:7], v30, off
	s_or_b64 exec, exec, s[6:7]
	s_and_saveexec_b64 s[6:7], s[0:1]
	s_cbranch_execz .LBB128_48
.LBB128_78:
	v_add_u32_e32 v6, v5, v2
	v_mov_b32_e32 v7, 0
	s_waitcnt lgkmcnt(0)
	v_lshl_add_u64 v[6:7], v[6:7], 2, s[12:13]
	global_store_dword v[6:7], v28, off
	s_or_b64 exec, exec, s[6:7]
	s_and_saveexec_b64 s[6:7], s[2:3]
	s_cbranch_execz .LBB128_49
.LBB128_79:
	v_add_u32_e32 v6, v5, v3
	v_mov_b32_e32 v7, 0
	s_waitcnt lgkmcnt(0)
	v_lshl_add_u64 v[6:7], v[6:7], 2, s[12:13]
	global_store_dword v[6:7], v26, off
	s_or_b64 exec, exec, s[6:7]
	s_and_saveexec_b64 s[6:7], s[4:5]
	s_cbranch_execnz .LBB128_50
	s_branch .LBB128_51
.LBB128_80:
	v_add_u32_e32 v6, v5, v0
	v_mov_b32_e32 v7, 0
	s_waitcnt lgkmcnt(0)
	v_lshl_add_u64 v[6:7], v[6:7], 2, s[12:13]
	global_store_dword v[6:7], v31, off
	s_or_b64 exec, exec, s[6:7]
	s_and_saveexec_b64 s[6:7], s[0:1]
	s_cbranch_execz .LBB128_54
.LBB128_81:
	v_add_u32_e32 v6, v5, v2
	v_mov_b32_e32 v7, 0
	s_waitcnt lgkmcnt(0)
	v_lshl_add_u64 v[6:7], v[6:7], 2, s[12:13]
	global_store_dword v[6:7], v29, off
	s_or_b64 exec, exec, s[6:7]
	s_and_saveexec_b64 s[6:7], s[2:3]
	s_cbranch_execz .LBB128_55
.LBB128_82:
	v_add_u32_e32 v6, v5, v3
	v_mov_b32_e32 v7, 0
	s_waitcnt lgkmcnt(0)
	v_lshl_add_u64 v[6:7], v[6:7], 2, s[12:13]
	global_store_dword v[6:7], v27, off
	s_or_b64 exec, exec, s[6:7]
	s_and_saveexec_b64 s[6:7], s[4:5]
	s_cbranch_execnz .LBB128_56
	s_branch .LBB128_57
.LBB128_83:
	v_add_u32_e32 v6, v5, v0
	v_mov_b32_e32 v7, 0
	s_waitcnt lgkmcnt(0)
	v_lshl_add_u64 v[6:7], v[6:7], 2, s[12:13]
	global_store_dword v[6:7], v22, off
	s_or_b64 exec, exec, s[6:7]
	s_and_saveexec_b64 s[6:7], s[0:1]
	s_cbranch_execz .LBB128_60
.LBB128_84:
	v_add_u32_e32 v6, v5, v2
	v_mov_b32_e32 v7, 0
	s_waitcnt lgkmcnt(0)
	v_lshl_add_u64 v[6:7], v[6:7], 2, s[12:13]
	global_store_dword v[6:7], v20, off
	s_or_b64 exec, exec, s[6:7]
	s_and_saveexec_b64 s[6:7], s[2:3]
	s_cbranch_execz .LBB128_61
.LBB128_85:
	v_add_u32_e32 v6, v5, v3
	v_mov_b32_e32 v7, 0
	s_waitcnt lgkmcnt(0)
	v_lshl_add_u64 v[6:7], v[6:7], 2, s[12:13]
	global_store_dword v[6:7], v18, off
	s_or_b64 exec, exec, s[6:7]
	s_and_saveexec_b64 s[6:7], s[4:5]
	s_cbranch_execnz .LBB128_62
	s_branch .LBB128_63
.LBB128_86:
	v_add_u32_e32 v6, v1, v0
	v_mov_b32_e32 v7, 0
	s_waitcnt lgkmcnt(0)
	v_lshl_add_u64 v[6:7], v[6:7], 2, s[12:13]
	global_store_dword v[6:7], v23, off
	s_or_b64 exec, exec, s[6:7]
	s_and_saveexec_b64 s[6:7], s[0:1]
	s_cbranch_execz .LBB128_66
.LBB128_87:
	v_add_u32_e32 v6, v1, v2
	v_mov_b32_e32 v7, 0
	s_waitcnt lgkmcnt(0)
	v_lshl_add_u64 v[6:7], v[6:7], 2, s[12:13]
	global_store_dword v[6:7], v21, off
	s_or_b64 exec, exec, s[6:7]
	s_and_saveexec_b64 s[0:1], s[2:3]
	s_cbranch_execz .LBB128_67
.LBB128_88:
	v_add_u32_e32 v2, v1, v3
	v_mov_b32_e32 v3, 0
	s_waitcnt lgkmcnt(0)
	v_lshl_add_u64 v[2:3], v[2:3], 2, s[12:13]
	global_store_dword v[2:3], v19, off
	s_or_b64 exec, exec, s[0:1]
	s_and_b64 exec, exec, s[4:5]
	s_cbranch_execz .LBB128_17
.LBB128_89:
	v_add_u32_e32 v0, v1, v4
	v_mov_b32_e32 v1, 0
	s_waitcnt lgkmcnt(0)
	v_lshl_add_u64 v[0:1], v[0:1], 2, s[12:13]
	global_store_dword v[0:1], v17, off
	s_endpgm
	.section	.rodata,"a",@progbits
	.p2align	6, 0x0
	.amdhsa_kernel _ZL12mul_mat_q2_KIfLb1EEvPKvS1_PT_iiiii
		.amdhsa_group_segment_fixed_size 31392
		.amdhsa_private_segment_fixed_size 0
		.amdhsa_kernarg_size 44
		.amdhsa_user_sgpr_count 2
		.amdhsa_user_sgpr_dispatch_ptr 0
		.amdhsa_user_sgpr_queue_ptr 0
		.amdhsa_user_sgpr_kernarg_segment_ptr 1
		.amdhsa_user_sgpr_dispatch_id 0
		.amdhsa_user_sgpr_kernarg_preload_length 0
		.amdhsa_user_sgpr_kernarg_preload_offset 0
		.amdhsa_user_sgpr_private_segment_size 0
		.amdhsa_uses_dynamic_stack 0
		.amdhsa_enable_private_segment 0
		.amdhsa_system_sgpr_workgroup_id_x 1
		.amdhsa_system_sgpr_workgroup_id_y 1
		.amdhsa_system_sgpr_workgroup_id_z 0
		.amdhsa_system_sgpr_workgroup_info 0
		.amdhsa_system_vgpr_workitem_id 1
		.amdhsa_next_free_vgpr 215
		.amdhsa_next_free_sgpr 96
		.amdhsa_accum_offset 216
		.amdhsa_reserve_vcc 1
		.amdhsa_float_round_mode_32 0
		.amdhsa_float_round_mode_16_64 0
		.amdhsa_float_denorm_mode_32 3
		.amdhsa_float_denorm_mode_16_64 3
		.amdhsa_dx10_clamp 1
		.amdhsa_ieee_mode 1
		.amdhsa_fp16_overflow 0
		.amdhsa_tg_split 0
		.amdhsa_exception_fp_ieee_invalid_op 0
		.amdhsa_exception_fp_denorm_src 0
		.amdhsa_exception_fp_ieee_div_zero 0
		.amdhsa_exception_fp_ieee_overflow 0
		.amdhsa_exception_fp_ieee_underflow 0
		.amdhsa_exception_fp_ieee_inexact 0
		.amdhsa_exception_int_div_zero 0
	.end_amdhsa_kernel
	.section	.text._ZL12mul_mat_q2_KIfLb1EEvPKvS1_PT_iiiii,"axG",@progbits,_ZL12mul_mat_q2_KIfLb1EEvPKvS1_PT_iiiii,comdat
.Lfunc_end128:
	.size	_ZL12mul_mat_q2_KIfLb1EEvPKvS1_PT_iiiii, .Lfunc_end128-_ZL12mul_mat_q2_KIfLb1EEvPKvS1_PT_iiiii
                                        ; -- End function
	.set _ZL12mul_mat_q2_KIfLb1EEvPKvS1_PT_iiiii.num_vgpr, 215
	.set _ZL12mul_mat_q2_KIfLb1EEvPKvS1_PT_iiiii.num_agpr, 0
	.set _ZL12mul_mat_q2_KIfLb1EEvPKvS1_PT_iiiii.numbered_sgpr, 19
	.set _ZL12mul_mat_q2_KIfLb1EEvPKvS1_PT_iiiii.num_named_barrier, 0
	.set _ZL12mul_mat_q2_KIfLb1EEvPKvS1_PT_iiiii.private_seg_size, 0
	.set _ZL12mul_mat_q2_KIfLb1EEvPKvS1_PT_iiiii.uses_vcc, 1
	.set _ZL12mul_mat_q2_KIfLb1EEvPKvS1_PT_iiiii.uses_flat_scratch, 0
	.set _ZL12mul_mat_q2_KIfLb1EEvPKvS1_PT_iiiii.has_dyn_sized_stack, 0
	.set _ZL12mul_mat_q2_KIfLb1EEvPKvS1_PT_iiiii.has_recursion, 0
	.set _ZL12mul_mat_q2_KIfLb1EEvPKvS1_PT_iiiii.has_indirect_call, 0
	.section	.AMDGPU.csdata,"",@progbits
; Kernel info:
; codeLenInByte = 25584
; TotalNumSgprs: 25
; NumVgprs: 215
; NumAgprs: 0
; TotalNumVgprs: 215
; ScratchSize: 0
; MemoryBound: 0
; FloatMode: 240
; IeeeMode: 1
; LDSByteSize: 31392 bytes/workgroup (compile time only)
; SGPRBlocks: 12
; VGPRBlocks: 26
; NumSGPRsForWavesPerEU: 102
; NumVGPRsForWavesPerEU: 215
; AccumOffset: 216
; Occupancy: 2
; WaveLimiterHint : 0
; COMPUTE_PGM_RSRC2:SCRATCH_EN: 0
; COMPUTE_PGM_RSRC2:USER_SGPR: 2
; COMPUTE_PGM_RSRC2:TRAP_HANDLER: 0
; COMPUTE_PGM_RSRC2:TGID_X_EN: 1
; COMPUTE_PGM_RSRC2:TGID_Y_EN: 1
; COMPUTE_PGM_RSRC2:TGID_Z_EN: 0
; COMPUTE_PGM_RSRC2:TIDIG_COMP_CNT: 1
; COMPUTE_PGM_RSRC3_GFX90A:ACCUM_OFFSET: 53
; COMPUTE_PGM_RSRC3_GFX90A:TG_SPLIT: 0
	.section	.text._ZL12mul_mat_q3_KIfLb0EEvPKvS1_PT_iiiii,"axG",@progbits,_ZL12mul_mat_q3_KIfLb0EEvPKvS1_PT_iiiii,comdat
	.globl	_ZL12mul_mat_q3_KIfLb0EEvPKvS1_PT_iiiii ; -- Begin function _ZL12mul_mat_q3_KIfLb0EEvPKvS1_PT_iiiii
	.p2align	8
	.type	_ZL12mul_mat_q3_KIfLb0EEvPKvS1_PT_iiiii,@function
_ZL12mul_mat_q3_KIfLb0EEvPKvS1_PT_iiiii: ; @_ZL12mul_mat_q3_KIfLb0EEvPKvS1_PT_iiiii
; %bb.0:
	s_load_dword s7, s[0:1], 0x18
	s_load_dwordx4 s[8:11], s[0:1], 0x20
	s_waitcnt lgkmcnt(0)
	s_lshl_b32 s11, s3, 6
	v_bfe_u32 v45, v0, 10, 10
	s_cmpk_gt_i32 s7, 0xff
	s_cbranch_scc1 .LBB129_2
; %bb.1:
	v_bfe_u32 v32, v0, 10, 10
	v_and_b32_e32 v41, 0x3ff, v0
	v_add_u32_e32 v89, s11, v32
	s_mov_b64 s[4:5], 0
	s_branch .LBB129_3
.LBB129_2:
	s_mov_b64 s[4:5], -1
                                        ; implicit-def: $vgpr32
                                        ; implicit-def: $vgpr41
                                        ; implicit-def: $vgpr89
.LBB129_3:
	s_load_dwordx2 s[12:13], s[0:1], 0x10
	s_lshl_b32 s6, s2, 7
	s_andn2_b64 vcc, exec, s[4:5]
	s_mov_b32 s4, 0
	s_cbranch_vccnz .LBB129_16
; %bb.4:
	s_ashr_i32 s5, s7, 31
	s_lshr_b32 s5, s5, 24
	s_load_dwordx4 s[0:3], s[0:1], 0x0
	s_add_i32 s7, s7, s5
	s_ashr_i32 s5, s7, 8
	s_ashr_i32 s7, s9, 31
	s_lshr_b32 s7, s7, 27
	s_add_i32 s7, s9, s7
	s_mul_i32 s9, s5, s6
	s_ashr_i32 s14, s7, 5
	s_mul_hi_i32 s15, s9, 0x6e
	s_mulk_i32 s9, 0x6e
	s_waitcnt lgkmcnt(0)
	s_add_u32 s0, s0, s9
	s_addc_u32 s1, s1, s15
	s_lshl_b32 s17, s5, 3
	v_mov_b32_e32 v2, s17
	v_lshlrev_b32_e32 v8, 4, v45
	v_bfe_u32 v9, v0, 1, 9
	v_and_b32_e32 v41, 0x3ff, v0
	v_mad_i32_i24 v46, s5, v45, v2
	v_and_b32_e32 v58, 1, v0
	v_add_u32_e32 v2, v9, v8
	v_lshlrev_b32_e32 v3, 2, v41
	s_movk_i32 s9, 0x84
	v_and_b32_e32 v4, 0x7f, v2
	v_lshlrev_b32_e32 v5, 2, v58
	v_lshrrev_b32_e32 v2, 2, v2
	v_mad_u32_u24 v47, v45, s9, v3
	v_mul_i32_i24_e32 v60, s5, v4
	v_lshl_or_b32 v4, v4, 3, v5
	v_and_b32_e32 v2, 28, v2
	s_mov_b32 s9, 0x9380
	v_bfe_u32 v40, v0, 4, 6
	v_add3_u32 v87, v4, v2, s9
	v_lshlrev_b32_e32 v2, 1, v45
	v_add_u32_e32 v4, v40, v2
	v_add_u16_e32 v2, v40, v2
	v_and_b32_e32 v1, 15, v0
	v_lshrrev_b16_e32 v2, 1, v2
	v_lshlrev_b32_e32 v42, 2, v1
	v_lshlrev_b32_e32 v2, 2, v2
	s_movk_i32 s9, 0x4200
	s_lshl_b32 s18, s5, 4
	v_add3_u32 v11, v2, v42, s9
	v_add_u32_e32 v2, 16, v4
	v_mov_b32_e32 v5, s18
	v_mad_i32_i24 v66, s5, v4, v5
	v_lshlrev_b32_e32 v5, 1, v2
	v_and_b32_e32 v5, 0xffc, v5
	v_lshlrev_b32_e32 v14, 6, v2
	v_add_u32_e32 v2, 32, v4
	v_add3_u32 v13, v5, v42, s9
	v_lshlrev_b32_e32 v5, 1, v2
	v_and_b32_e32 v5, 0xffc, v5
	v_lshlrev_b32_e32 v16, 6, v2
	v_add_u32_e32 v2, 48, v4
	v_add3_u32 v15, v5, v42, s9
	;; [unrolled: 5-line block ×5, first 2 shown]
	v_lshlrev_b32_e32 v5, 1, v2
	v_lshlrev_b32_e32 v24, 6, v2
	v_add_u32_e32 v2, 0x70, v4
	v_mul_i32_i24_e32 v64, s5, v4
	v_lshlrev_b32_e32 v12, 6, v4
	v_and_b32_e32 v5, 0xffc, v5
	v_lshlrev_b32_e32 v4, 1, v2
	v_lshlrev_b32_e32 v26, 6, v2
	v_and_b32_e32 v2, 3, v0
	v_add3_u32 v23, v5, v42, s9
	v_and_b32_e32 v4, 0xffc, v4
	v_bfe_u32 v91, v0, 3, 7
	v_add_u16_e32 v5, -2, v2
	v_cmp_gt_u32_e32 vcc, 2, v2
	v_and_b32_e32 v10, 7, v0
	v_add3_u32 v25, v4, v42, s9
	v_lshl_add_u32 v4, v45, 2, v91
	v_cndmask_b32_e32 v5, v5, v2, vcc
	v_mov_b32_e32 v6, 2
	v_lshlrev_b32_e32 v62, 2, v10
	v_lshlrev_b32_sdwa v68, v6, v5 dst_sel:DWORD dst_unused:UNUSED_PAD src0_sel:DWORD src1_sel:BYTE_0
	v_and_b32_e32 v5, 0x7fc, v4
	s_mov_b32 s15, 0x8300
	s_lshl_b32 s19, s5, 5
	v_add3_u32 v28, v5, v62, s15
	v_add_u32_e32 v5, 32, v4
	v_mov_b32_e32 v6, s19
	v_mad_i32_i24 v72, s5, v4, v6
	v_and_b32_e32 v6, 0xffc, v5
	v_lshlrev_b32_e32 v31, 5, v5
	v_add_u32_e32 v5, 64, v4
	v_add3_u32 v30, v6, v62, s15
	v_and_b32_e32 v6, 0xffc, v5
	v_add3_u32 v32, v6, v62, s15
	v_and_b32_e32 v36, 31, v0
	v_and_b32_e32 v6, 28, v3
	v_mov_b32_e32 v3, 0x6300
	v_lshl_or_b32 v36, v36, 2, v3
	v_bfe_u32 v3, v0, 2, 8
	v_mul_i32_i24_e32 v70, s5, v4
	v_lshlrev_b32_e32 v29, 5, v4
	v_add_u32_e32 v4, 0x60, v4
	v_lshl_add_u32 v3, v45, 3, v3
	v_lshlrev_b32_e32 v33, 5, v5
	v_and_b32_e32 v5, 0xffc, v4
	v_and_b32_e32 v3, 63, v3
	v_add3_u32 v34, v5, v62, s15
	s_add_i32 s15, s8, -1
	v_or_b32_e32 v37, s11, v3
	v_min_i32_e32 v37, s15, v37
	v_lshlrev_b32_e32 v95, 1, v2
	v_mad_u64_u32 v[74:75], s[20:21], v37, s14, v[2:3]
	v_lshlrev_b32_e32 v2, 2, v2
	v_add_u32_e32 v89, s11, v45
	v_lshl_or_b32 v2, v3, 4, v2
	v_lshlrev_b32_e32 v35, 5, v4
	v_cvt_f64_i32_e32 v[4:5], s15
	v_add_u32_e32 v75, 0x97a0, v2
	v_cvt_f64_u32_e32 v[2:3], v89
	v_min_f64 v[2:3], v[2:3], v[4:5]
	v_cvt_i32_f64_e32 v2, v[2:3]
	v_mul_lo_u32 v97, s14, v2
	v_add_u32_e32 v2, 8, v89
	v_cvt_f64_u32_e32 v[2:3], v2
	v_min_f64 v[2:3], v[2:3], v[4:5]
	v_cvt_i32_f64_e32 v2, v[2:3]
	v_mul_lo_u32 v99, s14, v2
	;; [unrolled: 5-line block ×5, first 2 shown]
	v_add_u32_e32 v2, 40, v89
	v_cvt_f64_u32_e32 v[2:3], v2
	v_min_f64 v[2:3], v[2:3], v[4:5]
	v_add_u32_e32 v48, s17, v46
	v_cvt_i32_f64_e32 v2, v[2:3]
	v_add_u32_e32 v50, s17, v48
	v_mul_lo_u32 v107, s14, v2
	v_add_u32_e32 v2, 48, v89
	v_add_u32_e32 v52, s17, v50
	v_cvt_f64_u32_e32 v[2:3], v2
	v_add_u32_e32 v54, s17, v52
	v_lshlrev_b32_e32 v37, 7, v45
	v_min_f64 v[2:3], v[2:3], v[4:5]
	v_add_u32_e32 v56, s17, v54
	v_add_u32_e32 v78, 0xc00, v37
	v_cvt_i32_f64_e32 v2, v[2:3]
	v_add_u32_e32 v80, 0x1000, v37
	v_mul_lo_u32 v109, s14, v2
	v_add_u32_e32 v2, 56, v89
	v_add_u32_e32 v170, v36, v78
	;; [unrolled: 1-line block ×4, first 2 shown]
	v_cvt_f64_u32_e32 v[2:3], v2
	v_add_u32_e32 v171, v36, v80
	v_add_u32_e32 v80, s17, v78
	;; [unrolled: 1-line block ×3, first 2 shown]
	v_min_f64 v[2:3], v[2:3], v[4:5]
	v_add_u32_e32 v4, 32, v41
	v_add_u32_e32 v172, v36, v82
	;; [unrolled: 1-line block ×3, first 2 shown]
	v_cvt_i32_f64_e32 v2, v[2:3]
	v_lshlrev_b32_e32 v3, 5, v41
	v_lshrrev_b32_e32 v86, 4, v4
	v_add_u32_e32 v76, 64, v41
	v_and_b32_e32 v0, 0xfc, v0
	v_add_u32_e32 v173, v36, v84
	v_add_u32_e32 v84, s17, v82
	;; [unrolled: 1-line block ×3, first 2 shown]
	v_lshrrev_b32_e32 v88, 1, v76
	v_add_u32_e32 v121, v3, v0
	v_and_b32_e32 v0, 0x1fc, v4
	v_lshlrev_b32_e32 v179, 2, v86
	v_add_u32_e32 v86, s17, v84
	v_add_u32_e32 v100, s18, v98
	v_mov_b32_e32 v43, 0
	v_lshrrev_b32_e32 v90, 4, v76
	v_add_u32_e32 v77, 0x60, v41
	v_add_u32_e32 v123, v3, v0
	v_and_b32_e32 v0, 0x1fc, v76
	v_lshlrev_b32_e32 v180, 2, v88
	v_add_u32_e32 v88, s17, v86
	v_add_u32_e32 v102, s18, v100
	v_lshlrev_b32_e32 v27, 1, v41
	v_mov_b32_e32 v7, v43
	v_mul_lo_u32 v111, s14, v2
	v_add_u32_e32 v2, 0x1c00, v37
	v_lshrrev_b32_e32 v5, 1, v4
	v_lshrrev_b32_e32 v92, 1, v77
	v_add_u32_e32 v140, v3, v0
	v_and_b32_e32 v0, 0x1fc, v77
	v_add_u32_e32 v147, v15, v16
	v_add_u32_e32 v152, v17, v18
	;; [unrolled: 1-line block ×3, first 2 shown]
	v_mov_b32_e32 v16, v43
	v_mov_b32_e32 v17, v43
	;; [unrolled: 1-line block ×4, first 2 shown]
	v_lshlrev_b32_e32 v181, 2, v90
	v_add_u32_e32 v90, s17, v88
	v_cmp_lt_u32_e32 vcc, 7, v1
	v_add_u32_e32 v104, s18, v102
	v_and_b32_e32 v93, 4, v27
	v_add_u32_e32 v38, 0x400, v37
	v_add_u32_e32 v39, 0x800, v37
	v_lshrrev_b32_e32 v94, 4, v77
	v_lshlrev_b32_e32 v117, 6, v4
	v_lshlrev_b32_e32 v119, 3, v4
	v_add_u32_e32 v141, v3, v0
	v_lshlrev_b32_e32 v142, 6, v76
	v_add_u32_e32 v143, v11, v12
	;; [unrolled: 2-line block ×3, first 2 shown]
	v_lshlrev_b32_e32 v146, 6, v77
	v_lshlrev_b32_e32 v148, 3, v77
	v_lshrrev_b32_e32 v149, 3, v4
	v_lshrrev_b32_e32 v150, 3, v76
	;; [unrolled: 1-line block ×3, first 2 shown]
	v_lshl_add_u64 v[76:77], s[2:3], 0, v[6:7]
	v_add_u32_e32 v156, v21, v22
	v_add_u32_e32 v158, v23, v24
	;; [unrolled: 1-line block ×7, first 2 shown]
	v_lshlrev_b32_e32 v175, 2, v9
	v_lshlrev_b32_e32 v177, 2, v27
	;; [unrolled: 1-line block ×4, first 2 shown]
	v_add_u32_e32 v92, s17, v90
	v_cndmask_b32_e64 v96, 0, 1, vcc
	v_add_u32_e32 v106, s18, v104
	v_cmp_lt_u32_e32 vcc, 3, v10
	v_add_u32_e32 v112, s19, v72
	v_mov_b64_e32 v[12:13], v[16:17]
	v_mov_b64_e32 v[30:31], v[18:19]
	;; [unrolled: 1-line block ×7, first 2 shown]
	s_movk_i32 s7, 0x6e
	v_mul_i32_i24_e32 v44, s5, v45
	v_add_u32_e32 v49, 0x420, v47
	v_add_u32_e32 v51, 0x840, v47
	;; [unrolled: 1-line block ×15, first 2 shown]
	v_mov_b32_e32 v63, v43
	s_movk_i32 s9, 0xff
	v_mov_b32_e32 v69, v43
	v_mul_u32_u24_e32 v113, 0x84, v41
	v_lshlrev_b32_e32 v115, 6, v41
	v_add_u32_e32 v153, 0x8300, v121
	v_add_u32_e32 v155, 0x8700, v123
	;; [unrolled: 1-line block ×7, first 2 shown]
	s_mov_b32 s14, 0x30303030
	s_movk_i32 s15, 0xe000
	s_movk_i32 s16, 0x3f00
	v_add_u32_e32 v167, v36, v37
	v_add_u32_e32 v168, v36, v38
	;; [unrolled: 1-line block ×3, first 2 shown]
	v_lshlrev_b32_e32 v176, 2, v40
	v_lshlrev_b32_e32 v183, 2, v94
	v_add_u32_e32 v94, s17, v92
	v_add_u32_e32 v108, s18, v106
	v_cndmask_b32_e64 v110, 0, 1, vcc
	v_add_u32_e32 v114, s19, v112
	v_mov_b64_e32 v[14:15], v[18:19]
	v_mov_b64_e32 v[28:29], v[16:17]
	;; [unrolled: 1-line block ×7, first 2 shown]
	s_branch .LBB129_6
.LBB129_5:                              ;   in Loop: Header=BB129_6 Depth=1
	s_add_i32 s4, s4, 2
	s_cmp_ge_i32 s4, s5
	s_cbranch_scc1 .LBB129_18
.LBB129_6:                              ; =>This Loop Header: Depth=1
                                        ;     Child Loop BB129_7 Depth 2
                                        ;     Child Loop BB129_9 Depth 2
	;; [unrolled: 1-line block ×4, first 2 shown]
	s_mul_i32 s18, s4, 0x6e
	s_mul_hi_u32 s17, s4, 0x6e
	s_add_u32 s18, s0, s18
	s_addc_u32 s19, s1, s17
	v_mov_b64_e32 v[32:33], s[18:19]
	v_mad_u64_u32 v[34:35], s[18:19], v40, s7, v[32:33]
	v_mad_u64_u32 v[36:37], s[18:19], v44, s7, v[34:35]
	;; [unrolled: 1-line block ×9, first 2 shown]
	v_lshl_add_u64 v[36:37], v[36:37], 0, v[42:43]
	v_lshl_add_u64 v[38:39], v[38:39], 0, v[42:43]
	v_lshl_add_u64 v[124:125], v[124:125], 0, v[42:43]
	v_lshl_add_u64 v[126:127], v[126:127], 0, v[42:43]
	v_lshl_add_u64 v[128:129], v[128:129], 0, v[42:43]
	v_lshl_add_u64 v[130:131], v[130:131], 0, v[42:43]
	v_lshl_add_u64 v[132:133], v[132:133], 0, v[42:43]
	v_lshl_add_u64 v[134:135], v[134:135], 0, v[42:43]
	global_load_dword v116, v[36:37], off offset:32
	global_load_dword v118, v[38:39], off offset:32
	;; [unrolled: 1-line block ×7, first 2 shown]
	s_nop 0
	global_load_dword v134, v[134:135], off offset:32
	v_mad_u64_u32 v[36:37], s[18:19], v80, s7, v[34:35]
	v_mad_u64_u32 v[38:39], s[18:19], v82, s7, v[34:35]
	;; [unrolled: 1-line block ×8, first 2 shown]
	v_lshl_add_u64 v[36:37], v[36:37], 0, v[42:43]
	v_lshl_add_u64 v[132:133], v[132:133], 0, v[42:43]
	;; [unrolled: 1-line block ×8, first 2 shown]
	global_load_dword v135, v[36:37], off offset:32
	global_load_dword v139, v[38:39], off offset:32
	;; [unrolled: 1-line block ×6, first 2 shown]
	s_nop 0
	global_load_dword v132, v[132:133], off offset:32
	s_nop 0
	global_load_dword v133, v[34:35], off offset:32
	v_mad_u64_u32 v[34:35], s[18:19], v60, s7, v[32:33]
	v_mad_u64_u32 v[36:37], s[18:19], v96, s7, v[32:33]
	;; [unrolled: 1-line block ×3, first 2 shown]
	v_lshl_add_u64 v[36:37], v[36:37], 0, v[62:63]
	v_mad_u64_u32 v[38:39], s[18:19], v64, s7, v[36:37]
	global_load_ushort v188, v[34:35], off offset:108
	global_load_dword v189, v[38:39], off
	v_mad_u64_u32 v[34:35], s[18:19], v66, s7, v[36:37]
	v_mad_u64_u32 v[124:125], s[18:19], v100, s7, v[36:37]
	;; [unrolled: 1-line block ×6, first 2 shown]
	global_load_dword v190, v[34:35], off
	global_load_dword v191, v[38:39], off
	s_nop 0
	global_load_dword v124, v[124:125], off
	s_nop 0
	;; [unrolled: 2-line block ×3, first 2 shown]
	global_load_dword v126, v[128:129], off
	global_load_dword v127, v[130:131], off
	v_mad_u64_u32 v[34:35], s[18:19], v108, s7, v[36:37]
	global_load_dword v128, v[34:35], off
	v_mad_u64_u32 v[32:33], s[18:19], v110, s7, v[32:33]
	v_mad_u64_u32 v[34:35], s[18:19], v70, s7, v[32:33]
	v_lshl_add_u64 v[36:37], v[34:35], 0, v[68:69]
	global_load_dword v129, v[36:37], off offset:96
	v_mad_u64_u32 v[36:37], s[18:19], v72, s7, v[32:33]
	v_mad_u64_u32 v[38:39], s[18:19], v112, s7, v[32:33]
	;; [unrolled: 1-line block ×3, first 2 shown]
	global_load_dword v130, v[32:33], off offset:104
	global_load_dword v131, v[38:39], off offset:104
	global_load_dword v192, v[36:37], off offset:104
	global_load_dword v193, v[34:35], off offset:104
	v_lshl_add_u64 v[34:35], v[36:37], 0, v[68:69]
	v_lshl_add_u64 v[36:37], v[38:39], 0, v[68:69]
	global_load_dword v194, v[34:35], off offset:96
	global_load_dword v195, v[36:37], off offset:96
	s_waitcnt vmcnt(31)
	ds_write_b32 v47, v116
	s_waitcnt vmcnt(30)
	ds_write_b32 v49, v118
	;; [unrolled: 2-line block ×13, first 2 shown]
	v_lshl_add_u64 v[32:33], v[32:33], 0, v[68:69]
	s_lshl_b32 s17, s4, 3
	v_add_u32_e32 v120, s17, v91
	v_add_u32_e32 v122, v120, v105
	;; [unrolled: 1-line block ×5, first 2 shown]
	v_mad_i64_i32 v[36:37], s[18:19], v36, 36, v[76:77]
	v_mad_i64_i32 v[38:39], s[18:19], v38, 36, v[76:77]
	s_waitcnt vmcnt(15)
	v_cvt_f32_f16_e32 v34, v188
	ds_write_b32 v81, v187
	ds_write_b32 v83, v132
	ds_write_b32 v85, v133
	ds_write_b32 v87, v34
	global_load_dword v118, v[32:33], off offset:96
	s_waitcnt vmcnt(15)
	v_not_b32_e32 v34, v189
	ds_write_b32 v143, v34
	v_add_u32_e32 v32, v120, v97
	v_mad_i64_i32 v[32:33], s[18:19], v32, 36, v[76:77]
	v_mov_b32_e32 v138, v162
	s_waitcnt vmcnt(14)
	v_not_b32_e32 v34, v190
	ds_write_b32 v145, v34
	s_waitcnt vmcnt(13)
	v_not_b32_e32 v34, v191
	ds_write_b32 v147, v34
	;; [unrolled: 3-line block ×7, first 2 shown]
	v_add_u32_e32 v34, v120, v99
	v_mad_i64_i32 v[34:35], s[18:19], v34, 36, v[76:77]
	v_mad_i64_i32 v[124:125], s[18:19], v122, 36, v[76:77]
	global_load_dword v122, v[32:33], off offset:4
	global_load_dword v126, v[34:35], off offset:4
	;; [unrolled: 1-line block ×4, first 2 shown]
	s_nop 0
	global_load_dword v124, v[124:125], off offset:4
	v_add_u32_e32 v32, v120, v107
	v_add_u32_e32 v34, v120, v109
	v_mad_i64_i32 v[32:33], s[18:19], v32, 36, v[76:77]
	v_mad_i64_i32 v[34:35], s[18:19], v34, 36, v[76:77]
	v_add_u32_e32 v36, v120, v111
	v_mad_u64_u32 v[38:39], s[18:19], v184, 36, s[2:3]
	v_mad_i64_i32 v[36:37], s[18:19], v36, 36, v[76:77]
	global_load_dword v38, v[38:39], off
	s_nop 0
	global_load_dword v32, v[32:33], off offset:4
	s_nop 0
	global_load_dword v33, v[34:35], off offset:4
	;; [unrolled: 2-line block ×3, first 2 shown]
	s_waitcnt vmcnt(16)
	v_ashrrev_i32_e32 v116, v93, v129
	s_waitcnt vmcnt(12)
	v_ashrrev_i32_e32 v36, v95, v193
	v_and_b32_e32 v35, 0xf0f0f0f, v116
	v_lshlrev_b32_e32 v36, 4, v36
	v_and_or_b32 v35, v36, s14, v35
	v_lshlrev_b16_e32 v37, 8, v35
	v_add_u16_e32 v37, 0xe000, v37
	v_lshrrev_b32_e32 v36, 16, v35
	v_lshrrev_b16_e32 v37, 8, v37
	v_bitop3_b16 v35, v35, v37, s16 bitop3:0xec
	v_lshlrev_b16_e32 v37, 8, v36
	v_add_u16_e32 v37, 0xe000, v37
	v_lshrrev_b16_e32 v37, 8, v37
	v_bitop3_b16 v36, v36, v37, s16 bitop3:0xec
	v_add_u16_e32 v35, 0xe000, v35
	v_add_u16_sdwa v36, v36, s15 dst_sel:WORD_1 dst_unused:UNUSED_PAD src0_sel:DWORD src1_sel:DWORD
	v_mov_b32_e32 v139, v160
	v_or_b32_e32 v35, v35, v36
	ds_write_b32 v163, v35
	s_waitcnt vmcnt(11)
	v_ashrrev_i32_e32 v35, v93, v194
	v_ashrrev_i32_e32 v36, v95, v192
	v_and_b32_e32 v35, 0xf0f0f0f, v35
	v_lshlrev_b32_e32 v36, 4, v36
	v_and_or_b32 v35, v36, s14, v35
	v_lshlrev_b16_e32 v37, 8, v35
	v_add_u16_e32 v37, 0xe000, v37
	v_lshrrev_b32_e32 v36, 16, v35
	v_lshrrev_b16_e32 v37, 8, v37
	v_bitop3_b16 v35, v35, v37, s16 bitop3:0xec
	v_lshlrev_b16_e32 v37, 8, v36
	v_add_u16_e32 v37, 0xe000, v37
	v_lshrrev_b16_e32 v37, 8, v37
	v_bitop3_b16 v36, v36, v37, s16 bitop3:0xec
	v_add_u16_e32 v35, 0xe000, v35
	v_add_u16_sdwa v36, v36, s15 dst_sel:WORD_1 dst_unused:UNUSED_PAD src0_sel:DWORD src1_sel:DWORD
	s_mov_b32 s18, 0
	v_or_b32_e32 v35, v35, v36
	ds_write_b32 v164, v35
	s_waitcnt vmcnt(10)
	v_ashrrev_i32_e32 v35, v93, v195
	v_ashrrev_i32_e32 v36, v95, v131
	v_and_b32_e32 v35, 0xf0f0f0f, v35
	v_lshlrev_b32_e32 v36, 4, v36
	v_and_or_b32 v35, v36, s14, v35
	v_lshlrev_b16_e32 v37, 8, v35
	v_add_u16_e32 v37, 0xe000, v37
	v_lshrrev_b32_e32 v36, 16, v35
	v_lshrrev_b16_e32 v37, 8, v37
	v_bitop3_b16 v35, v35, v37, s16 bitop3:0xec
	v_lshlrev_b16_e32 v37, 8, v36
	v_add_u16_e32 v37, 0xe000, v37
	v_lshrrev_b16_e32 v37, 8, v37
	v_bitop3_b16 v36, v36, v37, s16 bitop3:0xec
	v_add_u16_e32 v35, 0xe000, v35
	v_add_u16_sdwa v36, v36, s15 dst_sel:WORD_1 dst_unused:UNUSED_PAD src0_sel:DWORD src1_sel:DWORD
	s_mov_b32 s21, -2
	v_or_b32_e32 v35, v35, v36
	ds_write_b32 v165, v35
	s_waitcnt vmcnt(9)
	v_ashrrev_i32_e32 v35, v93, v118
	v_ashrrev_i32_e32 v36, v95, v130
	v_and_b32_e32 v35, 0xf0f0f0f, v35
	v_lshlrev_b32_e32 v36, 4, v36
	v_and_or_b32 v35, v36, s14, v35
	v_lshlrev_b16_e32 v37, 8, v35
	v_add_u16_e32 v37, 0xe000, v37
	v_lshrrev_b32_e32 v36, 16, v35
	v_lshrrev_b16_e32 v37, 8, v37
	v_bitop3_b16 v35, v35, v37, s16 bitop3:0xec
	v_lshlrev_b16_e32 v37, 8, v36
	v_add_u16_e32 v37, 0xe000, v37
	v_lshrrev_b16_e32 v37, 8, v37
	v_bitop3_b16 v36, v36, v37, s16 bitop3:0xec
	v_add_u16_e32 v35, 0xe000, v35
	v_add_u16_sdwa v36, v36, s15 dst_sel:WORD_1 dst_unused:UNUSED_PAD src0_sel:DWORD src1_sel:DWORD
	s_mov_b32 s19, 0
	v_or_b32_e32 v35, v35, v36
	ds_write_b32 v166, v35
	s_waitcnt vmcnt(8)
	ds_write_b32 v167, v122
	s_waitcnt vmcnt(7)
	;; [unrolled: 2-line block ×6, first 2 shown]
	v_cvt_f32_f16_e32 v35, v38
	s_waitcnt vmcnt(2)
	ds_write_b32 v172, v32
	s_waitcnt vmcnt(1)
	ds_write_b32 v173, v33
	;; [unrolled: 2-line block ×3, first 2 shown]
	ds_write_b32 v75, v35
	s_waitcnt lgkmcnt(0)
	s_barrier
.LBB129_7:                              ;   Parent Loop BB129_6 Depth=1
                                        ; =>  This Inner Loop Header: Depth=2
	s_add_i32 s20, s21, 2
	s_lshr_b32 s24, s20, 4
	s_and_b32 s22, s20, 0x3ffffff8
	v_lshl_add_u32 v122, s22, 2, v113
	s_lshl_b32 s22, s24, 5
	s_addk_i32 s22, 0x4200
	v_add3_u32 v120, s22, v175, v115
	ds_read2_b32 v[124:125], v139 offset1:32
	ds_read_b128 v[36:39], v138
	ds_read_b128 v[32:35], v138 offset:16
	ds_read2_b32 v[126:127], v122 offset1:1
	ds_read2_b32 v[128:129], v120 offset1:1
	s_and_b32 s23, s19, -16
	s_add_i32 s21, s21, s23
	s_lshl_b32 s23, s24, 2
	s_waitcnt lgkmcnt(1)
	v_ashrrev_i32_e32 v116, s20, v126
	s_waitcnt lgkmcnt(0)
	v_ashrrev_i32_e32 v126, s18, v128
	v_lshlrev_b32_e32 v126, 2, v126
	v_bfe_u32 v118, v116, 24, 2
	v_and_b32_e32 v116, 0x3030303, v116
	v_and_b32_e32 v126, 0x4040404, v126
	v_sub_u16_e32 v128, v116, v126
	v_sub_u16_sdwa v130, v116, v126 dst_sel:BYTE_1 dst_unused:UNUSED_PAD src0_sel:BYTE_1 src1_sel:BYTE_1
	v_sub_u16_sdwa v116, v116, v126 dst_sel:DWORD dst_unused:UNUSED_PAD src0_sel:WORD_1 src1_sel:WORD_1
	v_sub_u16_sdwa v118, v118, v126 dst_sel:BYTE_1 dst_unused:UNUSED_PAD src0_sel:DWORD src1_sel:BYTE_3
	v_bitop3_b16 v128, v128, v130, s9 bitop3:0xec
	v_bitop3_b16 v116, v116, v118, s9 bitop3:0xec
	v_lshlrev_b32_e32 v116, 16, v116
	v_or_b32_sdwa v126, v128, v116 dst_sel:DWORD dst_unused:UNUSED_PAD src0_sel:WORD_0 src1_sel:DWORD
	v_ashrrev_i32_e32 v116, s20, v127
	v_ashrrev_i32_e32 v127, s18, v129
	v_lshlrev_b32_e32 v127, 2, v127
	v_bfe_u32 v118, v116, 24, 2
	v_and_b32_e32 v116, 0x3030303, v116
	v_and_b32_e32 v127, 0x4040404, v127
	v_sub_u16_e32 v128, v116, v127
	v_sub_u16_sdwa v129, v116, v127 dst_sel:BYTE_1 dst_unused:UNUSED_PAD src0_sel:BYTE_1 src1_sel:BYTE_1
	v_sub_u16_sdwa v116, v116, v127 dst_sel:DWORD dst_unused:UNUSED_PAD src0_sel:WORD_1 src1_sel:WORD_1
	v_sub_u16_sdwa v118, v118, v127 dst_sel:BYTE_1 dst_unused:UNUSED_PAD src0_sel:DWORD src1_sel:BYTE_3
	v_bitop3_b16 v128, v128, v129, s9 bitop3:0xec
	v_bitop3_b16 v116, v116, v118, s9 bitop3:0xec
	v_lshlrev_b32_e32 v116, 16, v116
	v_or_b32_sdwa v127, v128, v116 dst_sel:DWORD dst_unused:UNUSED_PAD src0_sel:WORD_0 src1_sel:DWORD
	ds_read2_b32 v[128:129], v122 offset0:2 offset1:3
	ds_read2_b32 v[130:131], v120 offset0:2 offset1:3
	s_add_i32 s23, s23, 0x9380
	v_add3_u32 v137, s22, v178, v117
	v_add3_u32 v202, s22, v180, v142
	s_waitcnt lgkmcnt(1)
	v_ashrrev_i32_e32 v116, s20, v128
	s_waitcnt lgkmcnt(0)
	v_ashrrev_i32_e32 v128, s18, v130
	v_lshlrev_b32_e32 v128, 2, v128
	v_bfe_u32 v118, v116, 24, 2
	v_and_b32_e32 v116, 0x3030303, v116
	v_and_b32_e32 v128, 0x4040404, v128
	v_sub_u16_e32 v130, v116, v128
	v_sub_u16_sdwa v132, v116, v128 dst_sel:BYTE_1 dst_unused:UNUSED_PAD src0_sel:BYTE_1 src1_sel:BYTE_1
	v_sub_u16_sdwa v116, v116, v128 dst_sel:DWORD dst_unused:UNUSED_PAD src0_sel:WORD_1 src1_sel:WORD_1
	v_sub_u16_sdwa v118, v118, v128 dst_sel:BYTE_1 dst_unused:UNUSED_PAD src0_sel:DWORD src1_sel:BYTE_3
	v_bitop3_b16 v130, v130, v132, s9 bitop3:0xec
	v_bitop3_b16 v116, v116, v118, s9 bitop3:0xec
	v_lshlrev_b32_e32 v116, 16, v116
	v_or_b32_sdwa v128, v130, v116 dst_sel:DWORD dst_unused:UNUSED_PAD src0_sel:WORD_0 src1_sel:DWORD
	v_ashrrev_i32_e32 v116, s20, v129
	v_ashrrev_i32_e32 v129, s18, v131
	v_lshlrev_b32_e32 v129, 2, v129
	v_bfe_u32 v118, v116, 24, 2
	v_and_b32_e32 v116, 0x3030303, v116
	v_and_b32_e32 v129, 0x4040404, v129
	v_sub_u16_e32 v130, v116, v129
	v_sub_u16_sdwa v131, v116, v129 dst_sel:BYTE_1 dst_unused:UNUSED_PAD src0_sel:BYTE_1 src1_sel:BYTE_1
	v_sub_u16_sdwa v116, v116, v129 dst_sel:DWORD dst_unused:UNUSED_PAD src0_sel:WORD_1 src1_sel:WORD_1
	v_sub_u16_sdwa v118, v118, v129 dst_sel:BYTE_1 dst_unused:UNUSED_PAD src0_sel:DWORD src1_sel:BYTE_3
	v_bitop3_b16 v130, v130, v131, s9 bitop3:0xec
	v_bitop3_b16 v116, v116, v118, s9 bitop3:0xec
	v_lshlrev_b32_e32 v116, 16, v116
	v_or_b32_sdwa v129, v130, v116 dst_sel:DWORD dst_unused:UNUSED_PAD src0_sel:WORD_0 src1_sel:DWORD
	ds_read2_b32 v[130:131], v122 offset0:4 offset1:5
	ds_read2_b32 v[132:133], v120 offset0:4 offset1:5
	ds_read2_b32 v[188:189], v137 offset1:1
	v_add3_u32 v208, s22, v182, v146
	v_mov_b32_e32 v136, 0
	s_waitcnt lgkmcnt(2)
	v_ashrrev_i32_e32 v116, s20, v130
	s_waitcnt lgkmcnt(1)
	v_ashrrev_i32_e32 v130, s18, v132
	v_lshlrev_b32_e32 v130, 2, v130
	v_bfe_u32 v118, v116, 24, 2
	v_and_b32_e32 v116, 0x3030303, v116
	v_and_b32_e32 v130, 0x4040404, v130
	v_sub_u16_e32 v132, v116, v130
	v_sub_u16_sdwa v134, v116, v130 dst_sel:BYTE_1 dst_unused:UNUSED_PAD src0_sel:BYTE_1 src1_sel:BYTE_1
	v_sub_u16_sdwa v116, v116, v130 dst_sel:DWORD dst_unused:UNUSED_PAD src0_sel:WORD_1 src1_sel:WORD_1
	v_sub_u16_sdwa v118, v118, v130 dst_sel:BYTE_1 dst_unused:UNUSED_PAD src0_sel:DWORD src1_sel:BYTE_3
	v_bitop3_b16 v132, v132, v134, s9 bitop3:0xec
	v_bitop3_b16 v116, v116, v118, s9 bitop3:0xec
	v_lshlrev_b32_e32 v116, 16, v116
	v_or_b32_sdwa v130, v132, v116 dst_sel:DWORD dst_unused:UNUSED_PAD src0_sel:WORD_0 src1_sel:DWORD
	v_ashrrev_i32_e32 v116, s20, v131
	v_ashrrev_i32_e32 v131, s18, v133
	v_lshlrev_b32_e32 v131, 2, v131
	v_bfe_u32 v118, v116, 24, 2
	v_and_b32_e32 v116, 0x3030303, v116
	v_and_b32_e32 v131, 0x4040404, v131
	v_sub_u16_e32 v132, v116, v131
	v_sub_u16_sdwa v133, v116, v131 dst_sel:BYTE_1 dst_unused:UNUSED_PAD src0_sel:BYTE_1 src1_sel:BYTE_1
	v_sub_u16_sdwa v116, v116, v131 dst_sel:DWORD dst_unused:UNUSED_PAD src0_sel:WORD_1 src1_sel:WORD_1
	v_sub_u16_sdwa v118, v118, v131 dst_sel:BYTE_1 dst_unused:UNUSED_PAD src0_sel:DWORD src1_sel:BYTE_3
	v_bitop3_b16 v132, v132, v133, s9 bitop3:0xec
	v_bitop3_b16 v116, v116, v118, s9 bitop3:0xec
	v_lshlrev_b32_e32 v116, 16, v116
	v_or_b32_sdwa v131, v132, v116 dst_sel:DWORD dst_unused:UNUSED_PAD src0_sel:WORD_0 src1_sel:DWORD
	ds_read2_b32 v[132:133], v122 offset0:6 offset1:7
	ds_read2_b32 v[134:135], v120 offset0:6 offset1:7
	s_waitcnt lgkmcnt(2)
	v_ashrrev_i32_e32 v185, s18, v188
	v_lshlrev_b32_e32 v185, 2, v185
	v_and_b32_e32 v185, 0x4040404, v185
	s_waitcnt lgkmcnt(1)
	v_ashrrev_i32_e32 v116, s20, v132
	s_waitcnt lgkmcnt(0)
	v_ashrrev_i32_e32 v120, s18, v134
	v_lshlrev_b32_e32 v120, 2, v120
	v_bfe_u32 v118, v116, 24, 2
	v_and_b32_e32 v116, 0x3030303, v116
	v_and_b32_e32 v120, 0x4040404, v120
	v_sub_u16_e32 v132, v116, v120
	v_sub_u16_sdwa v134, v116, v120 dst_sel:BYTE_1 dst_unused:UNUSED_PAD src0_sel:BYTE_1 src1_sel:BYTE_1
	v_sub_u16_sdwa v116, v116, v120 dst_sel:DWORD dst_unused:UNUSED_PAD src0_sel:WORD_1 src1_sel:WORD_1
	v_sub_u16_sdwa v118, v118, v120 dst_sel:BYTE_1 dst_unused:UNUSED_PAD src0_sel:DWORD src1_sel:BYTE_3
	v_bitop3_b16 v132, v132, v134, s9 bitop3:0xec
	v_bitop3_b16 v116, v116, v118, s9 bitop3:0xec
	v_lshlrev_b32_e32 v116, 16, v116
	v_ashrrev_i32_e32 v120, s18, v135
	v_or_b32_sdwa v132, v132, v116 dst_sel:DWORD dst_unused:UNUSED_PAD src0_sel:WORD_0 src1_sel:DWORD
	v_ashrrev_i32_e32 v116, s20, v133
	v_lshlrev_b32_e32 v120, 2, v120
	v_bfe_u32 v118, v116, 24, 2
	v_and_b32_e32 v116, 0x3030303, v116
	v_and_b32_e32 v120, 0x4040404, v120
	v_sub_u16_e32 v133, v116, v120
	v_sub_u16_sdwa v134, v116, v120 dst_sel:BYTE_1 dst_unused:UNUSED_PAD src0_sel:BYTE_1 src1_sel:BYTE_1
	v_sub_u16_sdwa v116, v116, v120 dst_sel:DWORD dst_unused:UNUSED_PAD src0_sel:WORD_1 src1_sel:WORD_1
	v_sub_u16_sdwa v118, v118, v120 dst_sel:BYTE_1 dst_unused:UNUSED_PAD src0_sel:DWORD src1_sel:BYTE_3
	v_bitop3_b16 v133, v133, v134, s9 bitop3:0xec
	v_bitop3_b16 v116, v116, v118, s9 bitop3:0xec
	v_lshlrev_b32_e32 v116, 16, v116
	v_or_b32_sdwa v133, v133, v116 dst_sel:DWORD dst_unused:UNUSED_PAD src0_sel:WORD_0 src1_sel:DWORD
	v_add3_u32 v116, s23, v176, v177
	v_add_u32_e32 v118, 0x1080, v122
	ds_read_b32 v116, v116
	ds_read2_b32 v[186:187], v118 offset1:1
	ds_read2_b32 v[190:191], v137 offset0:2 offset1:3
	ds_read2_b32 v[192:193], v137 offset0:4 offset1:5
	;; [unrolled: 1-line block ×3, first 2 shown]
	ds_read2_b32 v[196:197], v202 offset1:1
	s_waitcnt lgkmcnt(4)
	v_ashrrev_i32_e32 v118, s20, v186
	v_bfe_u32 v120, v118, 24, 2
	v_and_b32_e32 v118, 0x3030303, v118
	v_sub_u16_e32 v186, v118, v185
	v_sub_u16_sdwa v188, v118, v185 dst_sel:BYTE_1 dst_unused:UNUSED_PAD src0_sel:BYTE_1 src1_sel:BYTE_1
	v_sub_u16_sdwa v118, v118, v185 dst_sel:DWORD dst_unused:UNUSED_PAD src0_sel:WORD_1 src1_sel:WORD_1
	v_sub_u16_sdwa v120, v120, v185 dst_sel:BYTE_1 dst_unused:UNUSED_PAD src0_sel:DWORD src1_sel:BYTE_3
	v_bitop3_b16 v186, v186, v188, s9 bitop3:0xec
	v_bitop3_b16 v118, v118, v120, s9 bitop3:0xec
	v_lshlrev_b32_e32 v118, 16, v118
	v_or_b32_sdwa v185, v186, v118 dst_sel:DWORD dst_unused:UNUSED_PAD src0_sel:WORD_0 src1_sel:DWORD
	v_ashrrev_i32_e32 v186, s18, v189
	v_ashrrev_i32_e32 v118, s20, v187
	v_lshlrev_b32_e32 v186, 2, v186
	v_bfe_u32 v120, v118, 24, 2
	v_and_b32_e32 v118, 0x3030303, v118
	v_and_b32_e32 v186, 0x4040404, v186
	v_sub_u16_e32 v187, v118, v186
	v_sub_u16_sdwa v188, v118, v186 dst_sel:BYTE_1 dst_unused:UNUSED_PAD src0_sel:BYTE_1 src1_sel:BYTE_1
	v_sub_u16_sdwa v118, v118, v186 dst_sel:DWORD dst_unused:UNUSED_PAD src0_sel:WORD_1 src1_sel:WORD_1
	v_sub_u16_sdwa v120, v120, v186 dst_sel:BYTE_1 dst_unused:UNUSED_PAD src0_sel:DWORD src1_sel:BYTE_3
	v_bitop3_b16 v187, v187, v188, s9 bitop3:0xec
	v_bitop3_b16 v118, v118, v120, s9 bitop3:0xec
	v_lshlrev_b32_e32 v118, 16, v118
	v_or_b32_sdwa v186, v187, v118 dst_sel:DWORD dst_unused:UNUSED_PAD src0_sel:WORD_0 src1_sel:DWORD
	v_add_u32_e32 v118, 0x1088, v122
	ds_read2_b32 v[188:189], v118 offset1:1
	s_waitcnt lgkmcnt(4)
	v_ashrrev_i32_e32 v187, s18, v190
	v_lshlrev_b32_e32 v187, 2, v187
	v_and_b32_e32 v187, 0x4040404, v187
	s_waitcnt lgkmcnt(2)
	v_ashrrev_i32_e32 v137, s18, v194
	s_waitcnt lgkmcnt(0)
	v_ashrrev_i32_e32 v118, s20, v188
	v_bfe_u32 v120, v118, 24, 2
	v_and_b32_e32 v118, 0x3030303, v118
	v_sub_u16_e32 v188, v118, v187
	v_sub_u16_sdwa v190, v118, v187 dst_sel:BYTE_1 dst_unused:UNUSED_PAD src0_sel:BYTE_1 src1_sel:BYTE_1
	v_sub_u16_sdwa v118, v118, v187 dst_sel:DWORD dst_unused:UNUSED_PAD src0_sel:WORD_1 src1_sel:WORD_1
	v_sub_u16_sdwa v120, v120, v187 dst_sel:BYTE_1 dst_unused:UNUSED_PAD src0_sel:DWORD src1_sel:BYTE_3
	v_bitop3_b16 v188, v188, v190, s9 bitop3:0xec
	v_bitop3_b16 v118, v118, v120, s9 bitop3:0xec
	v_lshlrev_b32_e32 v118, 16, v118
	v_or_b32_sdwa v187, v188, v118 dst_sel:DWORD dst_unused:UNUSED_PAD src0_sel:WORD_0 src1_sel:DWORD
	v_ashrrev_i32_e32 v188, s18, v191
	v_ashrrev_i32_e32 v118, s20, v189
	v_lshlrev_b32_e32 v188, 2, v188
	v_bfe_u32 v120, v118, 24, 2
	v_and_b32_e32 v118, 0x3030303, v118
	v_and_b32_e32 v188, 0x4040404, v188
	v_sub_u16_e32 v189, v118, v188
	v_sub_u16_sdwa v190, v118, v188 dst_sel:BYTE_1 dst_unused:UNUSED_PAD src0_sel:BYTE_1 src1_sel:BYTE_1
	v_sub_u16_sdwa v118, v118, v188 dst_sel:DWORD dst_unused:UNUSED_PAD src0_sel:WORD_1 src1_sel:WORD_1
	v_sub_u16_sdwa v120, v120, v188 dst_sel:BYTE_1 dst_unused:UNUSED_PAD src0_sel:DWORD src1_sel:BYTE_3
	v_bitop3_b16 v189, v189, v190, s9 bitop3:0xec
	v_bitop3_b16 v118, v118, v120, s9 bitop3:0xec
	v_lshlrev_b32_e32 v118, 16, v118
	v_or_b32_sdwa v188, v189, v118 dst_sel:DWORD dst_unused:UNUSED_PAD src0_sel:WORD_0 src1_sel:DWORD
	v_add_u32_e32 v118, 0x1090, v122
	ds_read2_b32 v[190:191], v118 offset1:1
	v_ashrrev_i32_e32 v189, s18, v192
	v_lshlrev_b32_e32 v189, 2, v189
	v_and_b32_e32 v189, 0x4040404, v189
	v_lshlrev_b32_e32 v137, 2, v137
	s_waitcnt lgkmcnt(0)
	v_ashrrev_i32_e32 v118, s20, v190
	v_bfe_u32 v120, v118, 24, 2
	v_and_b32_e32 v118, 0x3030303, v118
	v_sub_u16_e32 v190, v118, v189
	v_sub_u16_sdwa v192, v118, v189 dst_sel:BYTE_1 dst_unused:UNUSED_PAD src0_sel:BYTE_1 src1_sel:BYTE_1
	v_sub_u16_sdwa v118, v118, v189 dst_sel:DWORD dst_unused:UNUSED_PAD src0_sel:WORD_1 src1_sel:WORD_1
	v_sub_u16_sdwa v120, v120, v189 dst_sel:BYTE_1 dst_unused:UNUSED_PAD src0_sel:DWORD src1_sel:BYTE_3
	v_bitop3_b16 v190, v190, v192, s9 bitop3:0xec
	v_bitop3_b16 v118, v118, v120, s9 bitop3:0xec
	v_lshlrev_b32_e32 v118, 16, v118
	v_or_b32_sdwa v189, v190, v118 dst_sel:DWORD dst_unused:UNUSED_PAD src0_sel:WORD_0 src1_sel:DWORD
	v_ashrrev_i32_e32 v190, s18, v193
	v_ashrrev_i32_e32 v118, s20, v191
	v_lshlrev_b32_e32 v190, 2, v190
	v_bfe_u32 v120, v118, 24, 2
	v_and_b32_e32 v118, 0x3030303, v118
	v_and_b32_e32 v190, 0x4040404, v190
	v_sub_u16_e32 v191, v118, v190
	v_sub_u16_sdwa v192, v118, v190 dst_sel:BYTE_1 dst_unused:UNUSED_PAD src0_sel:BYTE_1 src1_sel:BYTE_1
	v_sub_u16_sdwa v118, v118, v190 dst_sel:DWORD dst_unused:UNUSED_PAD src0_sel:WORD_1 src1_sel:WORD_1
	v_sub_u16_sdwa v120, v120, v190 dst_sel:BYTE_1 dst_unused:UNUSED_PAD src0_sel:DWORD src1_sel:BYTE_3
	v_bitop3_b16 v191, v191, v192, s9 bitop3:0xec
	v_bitop3_b16 v118, v118, v120, s9 bitop3:0xec
	v_lshlrev_b32_e32 v118, 16, v118
	v_or_b32_sdwa v190, v191, v118 dst_sel:DWORD dst_unused:UNUSED_PAD src0_sel:WORD_0 src1_sel:DWORD
	v_add_u32_e32 v118, 0x1098, v122
	ds_read2_b32 v[192:193], v118 offset1:1
	v_and_b32_e32 v137, 0x4040404, v137
	v_mov_b32_e32 v135, 0
	v_mov_b32_e32 v209, 0
	;; [unrolled: 1-line block ×3, first 2 shown]
	s_waitcnt lgkmcnt(0)
	v_ashrrev_i32_e32 v118, s20, v192
	v_bfe_u32 v120, v118, 24, 2
	v_and_b32_e32 v118, 0x3030303, v118
	v_sub_u16_e32 v191, v118, v137
	v_sub_u16_sdwa v192, v118, v137 dst_sel:BYTE_1 dst_unused:UNUSED_PAD src0_sel:BYTE_1 src1_sel:BYTE_1
	v_sub_u16_sdwa v118, v118, v137 dst_sel:DWORD dst_unused:UNUSED_PAD src0_sel:WORD_1 src1_sel:WORD_1
	v_sub_u16_sdwa v120, v120, v137 dst_sel:BYTE_1 dst_unused:UNUSED_PAD src0_sel:DWORD src1_sel:BYTE_3
	v_bitop3_b16 v191, v191, v192, s9 bitop3:0xec
	v_bitop3_b16 v118, v118, v120, s9 bitop3:0xec
	v_lshlrev_b32_e32 v118, 16, v118
	v_ashrrev_i32_e32 v137, s18, v195
	v_or_b32_sdwa v191, v191, v118 dst_sel:DWORD dst_unused:UNUSED_PAD src0_sel:WORD_0 src1_sel:DWORD
	v_ashrrev_i32_e32 v118, s20, v193
	v_lshlrev_b32_e32 v137, 2, v137
	v_bfe_u32 v120, v118, 24, 2
	v_and_b32_e32 v118, 0x3030303, v118
	v_and_b32_e32 v137, 0x4040404, v137
	v_sub_u16_e32 v192, v118, v137
	v_sub_u16_sdwa v193, v118, v137 dst_sel:BYTE_1 dst_unused:UNUSED_PAD src0_sel:BYTE_1 src1_sel:BYTE_1
	v_sub_u16_sdwa v118, v118, v137 dst_sel:DWORD dst_unused:UNUSED_PAD src0_sel:WORD_1 src1_sel:WORD_1
	v_sub_u16_sdwa v120, v120, v137 dst_sel:BYTE_1 dst_unused:UNUSED_PAD src0_sel:DWORD src1_sel:BYTE_3
	v_bitop3_b16 v192, v192, v193, s9 bitop3:0xec
	v_bitop3_b16 v118, v118, v120, s9 bitop3:0xec
	v_lshlrev_b32_e32 v118, 16, v118
	v_or_b32_sdwa v192, v192, v118 dst_sel:DWORD dst_unused:UNUSED_PAD src0_sel:WORD_0 src1_sel:DWORD
	v_add3_u32 v118, s23, v179, v119
	v_add_u32_e32 v120, 0x2100, v122
	ds_read_b32 v118, v118
	ds_read2_b32 v[194:195], v120 offset1:1
	v_mov_b32_e32 v216, 0
	v_mov_b32_e32 v217, 0
	;; [unrolled: 1-line block ×4, first 2 shown]
	s_waitcnt lgkmcnt(0)
	v_ashrrev_i32_e32 v120, s20, v194
	v_ashrrev_i32_e32 v194, s18, v196
	v_lshlrev_b32_e32 v194, 2, v194
	v_bfe_u32 v193, v120, 24, 2
	v_and_b32_e32 v120, 0x3030303, v120
	v_and_b32_e32 v194, 0x4040404, v194
	v_sub_u16_e32 v196, v120, v194
	v_sub_u16_sdwa v198, v120, v194 dst_sel:BYTE_1 dst_unused:UNUSED_PAD src0_sel:BYTE_1 src1_sel:BYTE_1
	v_sub_u16_sdwa v120, v120, v194 dst_sel:DWORD dst_unused:UNUSED_PAD src0_sel:WORD_1 src1_sel:WORD_1
	v_sub_u16_sdwa v193, v193, v194 dst_sel:BYTE_1 dst_unused:UNUSED_PAD src0_sel:DWORD src1_sel:BYTE_3
	v_bitop3_b16 v196, v196, v198, s9 bitop3:0xec
	v_bitop3_b16 v120, v120, v193, s9 bitop3:0xec
	v_lshlrev_b32_e32 v120, 16, v120
	v_or_b32_sdwa v193, v196, v120 dst_sel:DWORD dst_unused:UNUSED_PAD src0_sel:WORD_0 src1_sel:DWORD
	v_ashrrev_i32_e32 v120, s20, v195
	v_ashrrev_i32_e32 v195, s18, v197
	v_lshlrev_b32_e32 v195, 2, v195
	v_bfe_u32 v194, v120, 24, 2
	v_and_b32_e32 v120, 0x3030303, v120
	v_and_b32_e32 v195, 0x4040404, v195
	v_sub_u16_e32 v196, v120, v195
	v_sub_u16_sdwa v197, v120, v195 dst_sel:BYTE_1 dst_unused:UNUSED_PAD src0_sel:BYTE_1 src1_sel:BYTE_1
	v_sub_u16_sdwa v120, v120, v195 dst_sel:DWORD dst_unused:UNUSED_PAD src0_sel:WORD_1 src1_sel:WORD_1
	v_sub_u16_sdwa v194, v194, v195 dst_sel:BYTE_1 dst_unused:UNUSED_PAD src0_sel:DWORD src1_sel:BYTE_3
	v_bitop3_b16 v196, v196, v197, s9 bitop3:0xec
	v_bitop3_b16 v120, v120, v194, s9 bitop3:0xec
	v_lshlrev_b32_e32 v120, 16, v120
	v_or_b32_sdwa v194, v196, v120 dst_sel:DWORD dst_unused:UNUSED_PAD src0_sel:WORD_0 src1_sel:DWORD
	v_add_u32_e32 v120, 0x2108, v122
	ds_read2_b32 v[196:197], v120 offset1:1
	ds_read2_b32 v[198:199], v202 offset0:2 offset1:3
	v_dot4c_i32_i8_e32 v135, v126, v36
	v_dot4c_i32_i8_e32 v136, v130, v32
	v_dot4c_i32_i8_e32 v209, v185, v36
	s_waitcnt lgkmcnt(1)
	v_ashrrev_i32_e32 v120, s20, v196
	s_waitcnt lgkmcnt(0)
	v_ashrrev_i32_e32 v196, s18, v198
	v_lshlrev_b32_e32 v196, 2, v196
	v_bfe_u32 v195, v120, 24, 2
	v_and_b32_e32 v120, 0x3030303, v120
	v_and_b32_e32 v196, 0x4040404, v196
	v_sub_u16_e32 v198, v120, v196
	v_sub_u16_sdwa v200, v120, v196 dst_sel:BYTE_1 dst_unused:UNUSED_PAD src0_sel:BYTE_1 src1_sel:BYTE_1
	v_sub_u16_sdwa v120, v120, v196 dst_sel:DWORD dst_unused:UNUSED_PAD src0_sel:WORD_1 src1_sel:WORD_1
	v_sub_u16_sdwa v195, v195, v196 dst_sel:BYTE_1 dst_unused:UNUSED_PAD src0_sel:DWORD src1_sel:BYTE_3
	v_bitop3_b16 v198, v198, v200, s9 bitop3:0xec
	v_bitop3_b16 v120, v120, v195, s9 bitop3:0xec
	v_lshlrev_b32_e32 v120, 16, v120
	v_or_b32_sdwa v195, v198, v120 dst_sel:DWORD dst_unused:UNUSED_PAD src0_sel:WORD_0 src1_sel:DWORD
	v_ashrrev_i32_e32 v120, s20, v197
	v_ashrrev_i32_e32 v197, s18, v199
	v_lshlrev_b32_e32 v197, 2, v197
	v_bfe_u32 v196, v120, 24, 2
	v_and_b32_e32 v120, 0x3030303, v120
	v_and_b32_e32 v197, 0x4040404, v197
	v_sub_u16_e32 v198, v120, v197
	v_sub_u16_sdwa v199, v120, v197 dst_sel:BYTE_1 dst_unused:UNUSED_PAD src0_sel:BYTE_1 src1_sel:BYTE_1
	v_sub_u16_sdwa v120, v120, v197 dst_sel:DWORD dst_unused:UNUSED_PAD src0_sel:WORD_1 src1_sel:WORD_1
	v_sub_u16_sdwa v196, v196, v197 dst_sel:BYTE_1 dst_unused:UNUSED_PAD src0_sel:DWORD src1_sel:BYTE_3
	v_bitop3_b16 v198, v198, v199, s9 bitop3:0xec
	v_bitop3_b16 v120, v120, v196, s9 bitop3:0xec
	v_lshlrev_b32_e32 v120, 16, v120
	v_or_b32_sdwa v196, v198, v120 dst_sel:DWORD dst_unused:UNUSED_PAD src0_sel:WORD_0 src1_sel:DWORD
	v_add_u32_e32 v120, 0x2110, v122
	ds_read2_b32 v[198:199], v120 offset1:1
	ds_read2_b32 v[200:201], v202 offset0:4 offset1:5
	v_dot4c_i32_i8_e32 v210, v189, v32
	v_dot4c_i32_i8_e32 v216, v193, v36
	v_dot4c_i32_i8_e32 v135, v127, v37
	s_waitcnt lgkmcnt(1)
	v_ashrrev_i32_e32 v120, s20, v198
	s_waitcnt lgkmcnt(0)
	v_ashrrev_i32_e32 v198, s18, v200
	v_lshlrev_b32_e32 v198, 2, v198
	v_bfe_u32 v197, v120, 24, 2
	v_and_b32_e32 v120, 0x3030303, v120
	v_and_b32_e32 v198, 0x4040404, v198
	v_sub_u16_e32 v200, v120, v198
	v_sub_u16_sdwa v203, v120, v198 dst_sel:BYTE_1 dst_unused:UNUSED_PAD src0_sel:BYTE_1 src1_sel:BYTE_1
	v_sub_u16_sdwa v120, v120, v198 dst_sel:DWORD dst_unused:UNUSED_PAD src0_sel:WORD_1 src1_sel:WORD_1
	v_sub_u16_sdwa v197, v197, v198 dst_sel:BYTE_1 dst_unused:UNUSED_PAD src0_sel:DWORD src1_sel:BYTE_3
	v_bitop3_b16 v200, v200, v203, s9 bitop3:0xec
	v_bitop3_b16 v120, v120, v197, s9 bitop3:0xec
	v_lshlrev_b32_e32 v120, 16, v120
	v_or_b32_sdwa v197, v200, v120 dst_sel:DWORD dst_unused:UNUSED_PAD src0_sel:WORD_0 src1_sel:DWORD
	v_ashrrev_i32_e32 v120, s20, v199
	v_ashrrev_i32_e32 v199, s18, v201
	v_lshlrev_b32_e32 v199, 2, v199
	v_bfe_u32 v198, v120, 24, 2
	v_and_b32_e32 v120, 0x3030303, v120
	v_and_b32_e32 v199, 0x4040404, v199
	v_sub_u16_e32 v200, v120, v199
	v_sub_u16_sdwa v201, v120, v199 dst_sel:BYTE_1 dst_unused:UNUSED_PAD src0_sel:BYTE_1 src1_sel:BYTE_1
	v_sub_u16_sdwa v120, v120, v199 dst_sel:DWORD dst_unused:UNUSED_PAD src0_sel:WORD_1 src1_sel:WORD_1
	v_sub_u16_sdwa v198, v198, v199 dst_sel:BYTE_1 dst_unused:UNUSED_PAD src0_sel:DWORD src1_sel:BYTE_3
	v_bitop3_b16 v200, v200, v201, s9 bitop3:0xec
	v_bitop3_b16 v120, v120, v198, s9 bitop3:0xec
	v_lshlrev_b32_e32 v120, 16, v120
	v_or_b32_sdwa v198, v200, v120 dst_sel:DWORD dst_unused:UNUSED_PAD src0_sel:WORD_0 src1_sel:DWORD
	v_add_u32_e32 v120, 0x2118, v122
	ds_read2_b32 v[200:201], v120 offset1:1
	ds_read2_b32 v[202:203], v202 offset0:6 offset1:7
	v_dot4c_i32_i8_e32 v217, v197, v32
	v_dot4c_i32_i8_e32 v136, v131, v33
	v_dot4c_i32_i8_e32 v209, v186, v37
	s_waitcnt lgkmcnt(1)
	v_ashrrev_i32_e32 v120, s20, v200
	s_waitcnt lgkmcnt(0)
	v_ashrrev_i32_e32 v200, s18, v202
	v_lshlrev_b32_e32 v200, 2, v200
	v_bfe_u32 v199, v120, 24, 2
	v_and_b32_e32 v120, 0x3030303, v120
	v_and_b32_e32 v200, 0x4040404, v200
	v_sub_u16_e32 v202, v120, v200
	v_sub_u16_sdwa v204, v120, v200 dst_sel:BYTE_1 dst_unused:UNUSED_PAD src0_sel:BYTE_1 src1_sel:BYTE_1
	v_sub_u16_sdwa v120, v120, v200 dst_sel:DWORD dst_unused:UNUSED_PAD src0_sel:WORD_1 src1_sel:WORD_1
	v_sub_u16_sdwa v199, v199, v200 dst_sel:BYTE_1 dst_unused:UNUSED_PAD src0_sel:DWORD src1_sel:BYTE_3
	v_bitop3_b16 v202, v202, v204, s9 bitop3:0xec
	v_bitop3_b16 v120, v120, v199, s9 bitop3:0xec
	v_lshlrev_b32_e32 v120, 16, v120
	v_or_b32_sdwa v199, v202, v120 dst_sel:DWORD dst_unused:UNUSED_PAD src0_sel:WORD_0 src1_sel:DWORD
	v_ashrrev_i32_e32 v120, s20, v201
	v_ashrrev_i32_e32 v201, s18, v203
	v_lshlrev_b32_e32 v201, 2, v201
	v_bfe_u32 v200, v120, 24, 2
	v_and_b32_e32 v120, 0x3030303, v120
	v_and_b32_e32 v201, 0x4040404, v201
	v_sub_u16_e32 v202, v120, v201
	v_sub_u16_sdwa v203, v120, v201 dst_sel:BYTE_1 dst_unused:UNUSED_PAD src0_sel:BYTE_1 src1_sel:BYTE_1
	v_sub_u16_sdwa v120, v120, v201 dst_sel:DWORD dst_unused:UNUSED_PAD src0_sel:WORD_1 src1_sel:WORD_1
	v_sub_u16_sdwa v200, v200, v201 dst_sel:BYTE_1 dst_unused:UNUSED_PAD src0_sel:DWORD src1_sel:BYTE_3
	v_bitop3_b16 v202, v202, v203, s9 bitop3:0xec
	v_bitop3_b16 v120, v120, v200, s9 bitop3:0xec
	v_lshlrev_b32_e32 v120, 16, v120
	v_add_u32_e32 v201, 0x3180, v122
	v_or_b32_sdwa v200, v202, v120 dst_sel:DWORD dst_unused:UNUSED_PAD src0_sel:WORD_0 src1_sel:DWORD
	ds_read2_b32 v[202:203], v201 offset1:1
	ds_read2_b32 v[204:205], v208 offset1:1
	v_add3_u32 v120, s23, v181, v144
	ds_read_b32 v120, v120
	v_dot4c_i32_i8_e32 v210, v190, v33
	s_waitcnt lgkmcnt(2)
	v_ashrrev_i32_e32 v201, s20, v202
	s_waitcnt lgkmcnt(1)
	v_ashrrev_i32_e32 v204, s18, v204
	v_lshlrev_b32_e32 v204, 2, v204
	v_bfe_u32 v202, v201, 24, 2
	v_and_b32_e32 v201, 0x3030303, v201
	v_and_b32_e32 v204, 0x4040404, v204
	v_sub_u16_e32 v206, v201, v204
	v_sub_u16_sdwa v207, v201, v204 dst_sel:BYTE_1 dst_unused:UNUSED_PAD src0_sel:BYTE_1 src1_sel:BYTE_1
	v_sub_u16_sdwa v201, v201, v204 dst_sel:DWORD dst_unused:UNUSED_PAD src0_sel:WORD_1 src1_sel:WORD_1
	v_sub_u16_sdwa v202, v202, v204 dst_sel:BYTE_1 dst_unused:UNUSED_PAD src0_sel:DWORD src1_sel:BYTE_3
	v_ashrrev_i32_e32 v204, s18, v205
	v_bitop3_b16 v201, v201, v202, s9 bitop3:0xec
	v_ashrrev_i32_e32 v202, s20, v203
	v_lshlrev_b32_e32 v204, 2, v204
	v_bitop3_b16 v206, v206, v207, s9 bitop3:0xec
	v_lshlrev_b32_e32 v201, 16, v201
	v_bfe_u32 v203, v202, 24, 2
	v_and_b32_e32 v202, 0x3030303, v202
	v_and_b32_e32 v204, 0x4040404, v204
	v_or_b32_sdwa v201, v206, v201 dst_sel:DWORD dst_unused:UNUSED_PAD src0_sel:WORD_0 src1_sel:DWORD
	v_sub_u16_e32 v205, v202, v204
	v_sub_u16_sdwa v206, v202, v204 dst_sel:BYTE_1 dst_unused:UNUSED_PAD src0_sel:BYTE_1 src1_sel:BYTE_1
	v_sub_u16_sdwa v202, v202, v204 dst_sel:DWORD dst_unused:UNUSED_PAD src0_sel:WORD_1 src1_sel:WORD_1
	v_sub_u16_sdwa v203, v203, v204 dst_sel:BYTE_1 dst_unused:UNUSED_PAD src0_sel:DWORD src1_sel:BYTE_3
	v_bitop3_b16 v205, v205, v206, s9 bitop3:0xec
	v_bitop3_b16 v202, v202, v203, s9 bitop3:0xec
	v_lshlrev_b32_e32 v202, 16, v202
	v_add_u32_e32 v203, 0x3188, v122
	v_or_b32_sdwa v202, v205, v202 dst_sel:DWORD dst_unused:UNUSED_PAD src0_sel:WORD_0 src1_sel:DWORD
	ds_read2_b32 v[204:205], v203 offset1:1
	ds_read2_b32 v[206:207], v208 offset0:2 offset1:3
	v_dot4c_i32_i8_e32 v219, v201, v36
	v_dot4c_i32_i8_e32 v216, v194, v37
	;; [unrolled: 1-line block ×3, first 2 shown]
	s_waitcnt lgkmcnt(1)
	v_ashrrev_i32_e32 v203, s20, v204
	s_waitcnt lgkmcnt(0)
	v_ashrrev_i32_e32 v206, s18, v206
	v_lshlrev_b32_e32 v206, 2, v206
	v_bfe_u32 v204, v203, 24, 2
	v_and_b32_e32 v203, 0x3030303, v203
	v_and_b32_e32 v206, 0x4040404, v206
	v_sub_u16_e32 v212, v203, v206
	v_sub_u16_sdwa v213, v203, v206 dst_sel:BYTE_1 dst_unused:UNUSED_PAD src0_sel:BYTE_1 src1_sel:BYTE_1
	v_sub_u16_sdwa v203, v203, v206 dst_sel:DWORD dst_unused:UNUSED_PAD src0_sel:WORD_1 src1_sel:WORD_1
	v_sub_u16_sdwa v204, v204, v206 dst_sel:BYTE_1 dst_unused:UNUSED_PAD src0_sel:DWORD src1_sel:BYTE_3
	v_ashrrev_i32_e32 v206, s18, v207
	v_bitop3_b16 v203, v203, v204, s9 bitop3:0xec
	v_ashrrev_i32_e32 v204, s20, v205
	v_lshlrev_b32_e32 v206, 2, v206
	v_bitop3_b16 v212, v212, v213, s9 bitop3:0xec
	v_lshlrev_b32_e32 v203, 16, v203
	v_bfe_u32 v205, v204, 24, 2
	v_and_b32_e32 v204, 0x3030303, v204
	v_and_b32_e32 v206, 0x4040404, v206
	v_or_b32_sdwa v203, v212, v203 dst_sel:DWORD dst_unused:UNUSED_PAD src0_sel:WORD_0 src1_sel:DWORD
	v_sub_u16_e32 v207, v204, v206
	v_sub_u16_sdwa v212, v204, v206 dst_sel:BYTE_1 dst_unused:UNUSED_PAD src0_sel:BYTE_1 src1_sel:BYTE_1
	v_sub_u16_sdwa v204, v204, v206 dst_sel:DWORD dst_unused:UNUSED_PAD src0_sel:WORD_1 src1_sel:WORD_1
	v_sub_u16_sdwa v205, v205, v206 dst_sel:BYTE_1 dst_unused:UNUSED_PAD src0_sel:DWORD src1_sel:BYTE_3
	v_bitop3_b16 v207, v207, v212, s9 bitop3:0xec
	v_bitop3_b16 v204, v204, v205, s9 bitop3:0xec
	v_lshlrev_b32_e32 v204, 16, v204
	v_add_u32_e32 v205, 0x3190, v122
	v_or_b32_sdwa v204, v207, v204 dst_sel:DWORD dst_unused:UNUSED_PAD src0_sel:WORD_0 src1_sel:DWORD
	ds_read2_b32 v[206:207], v205 offset1:1
	ds_read2_b32 v[212:213], v208 offset0:4 offset1:5
	v_add_u32_e32 v122, 0x3198, v122
	v_dot4c_i32_i8_e32 v219, v202, v37
	v_dot4c_i32_i8_e32 v135, v128, v38
	s_waitcnt lgkmcnt(1)
	v_ashrrev_i32_e32 v205, s20, v206
	s_waitcnt lgkmcnt(0)
	v_ashrrev_i32_e32 v212, s18, v212
	v_lshlrev_b32_e32 v212, 2, v212
	v_bfe_u32 v206, v205, 24, 2
	v_and_b32_e32 v205, 0x3030303, v205
	v_and_b32_e32 v212, 0x4040404, v212
	v_sub_u16_e32 v214, v205, v212
	v_sub_u16_sdwa v215, v205, v212 dst_sel:BYTE_1 dst_unused:UNUSED_PAD src0_sel:BYTE_1 src1_sel:BYTE_1
	v_sub_u16_sdwa v205, v205, v212 dst_sel:DWORD dst_unused:UNUSED_PAD src0_sel:WORD_1 src1_sel:WORD_1
	v_sub_u16_sdwa v206, v206, v212 dst_sel:BYTE_1 dst_unused:UNUSED_PAD src0_sel:DWORD src1_sel:BYTE_3
	v_ashrrev_i32_e32 v212, s18, v213
	v_bitop3_b16 v205, v205, v206, s9 bitop3:0xec
	v_ashrrev_i32_e32 v206, s20, v207
	v_lshlrev_b32_e32 v212, 2, v212
	v_bitop3_b16 v214, v214, v215, s9 bitop3:0xec
	v_lshlrev_b32_e32 v205, 16, v205
	v_bfe_u32 v207, v206, 24, 2
	v_and_b32_e32 v206, 0x3030303, v206
	v_and_b32_e32 v212, 0x4040404, v212
	v_or_b32_sdwa v205, v214, v205 dst_sel:DWORD dst_unused:UNUSED_PAD src0_sel:WORD_0 src1_sel:DWORD
	v_sub_u16_e32 v213, v206, v212
	v_sub_u16_sdwa v214, v206, v212 dst_sel:BYTE_1 dst_unused:UNUSED_PAD src0_sel:BYTE_1 src1_sel:BYTE_1
	v_sub_u16_sdwa v206, v206, v212 dst_sel:DWORD dst_unused:UNUSED_PAD src0_sel:WORD_1 src1_sel:WORD_1
	v_sub_u16_sdwa v207, v207, v212 dst_sel:BYTE_1 dst_unused:UNUSED_PAD src0_sel:DWORD src1_sel:BYTE_3
	v_bitop3_b16 v213, v213, v214, s9 bitop3:0xec
	v_bitop3_b16 v206, v206, v207, s9 bitop3:0xec
	v_lshlrev_b32_e32 v206, 16, v206
	v_or_b32_sdwa v206, v213, v206 dst_sel:DWORD dst_unused:UNUSED_PAD src0_sel:WORD_0 src1_sel:DWORD
	ds_read2_b32 v[212:213], v122 offset1:1
	ds_read2_b32 v[214:215], v208 offset0:6 offset1:7
	v_dot4c_i32_i8_e32 v232, v205, v32
	v_dot4c_i32_i8_e32 v232, v206, v33
	;; [unrolled: 1-line block ×3, first 2 shown]
	s_waitcnt lgkmcnt(1)
	v_ashrrev_i32_e32 v122, s20, v212
	s_waitcnt lgkmcnt(0)
	v_ashrrev_i32_e32 v208, s18, v214
	v_lshlrev_b32_e32 v208, 2, v208
	v_bfe_u32 v207, v122, 24, 2
	v_and_b32_e32 v122, 0x3030303, v122
	v_and_b32_e32 v208, 0x4040404, v208
	v_sub_u16_e32 v212, v122, v208
	v_sub_u16_sdwa v214, v122, v208 dst_sel:BYTE_1 dst_unused:UNUSED_PAD src0_sel:BYTE_1 src1_sel:BYTE_1
	v_sub_u16_sdwa v122, v122, v208 dst_sel:DWORD dst_unused:UNUSED_PAD src0_sel:WORD_1 src1_sel:WORD_1
	v_sub_u16_sdwa v207, v207, v208 dst_sel:BYTE_1 dst_unused:UNUSED_PAD src0_sel:DWORD src1_sel:BYTE_3
	v_bitop3_b16 v212, v212, v214, s9 bitop3:0xec
	v_bitop3_b16 v122, v122, v207, s9 bitop3:0xec
	v_lshlrev_b32_e32 v122, 16, v122
	v_or_b32_sdwa v207, v212, v122 dst_sel:DWORD dst_unused:UNUSED_PAD src0_sel:WORD_0 src1_sel:DWORD
	v_ashrrev_i32_e32 v212, s18, v215
	v_ashrrev_i32_e32 v122, s20, v213
	v_lshlrev_b32_e32 v212, 2, v212
	v_bfe_u32 v208, v122, 24, 2
	v_and_b32_e32 v122, 0x3030303, v122
	v_and_b32_e32 v212, 0x4040404, v212
	v_sub_u16_e32 v213, v122, v212
	v_sub_u16_sdwa v214, v122, v212 dst_sel:BYTE_1 dst_unused:UNUSED_PAD src0_sel:BYTE_1 src1_sel:BYTE_1
	v_sub_u16_sdwa v122, v122, v212 dst_sel:DWORD dst_unused:UNUSED_PAD src0_sel:WORD_1 src1_sel:WORD_1
	v_sub_u16_sdwa v208, v208, v212 dst_sel:BYTE_1 dst_unused:UNUSED_PAD src0_sel:DWORD src1_sel:BYTE_3
	v_bitop3_b16 v213, v213, v214, s9 bitop3:0xec
	v_bitop3_b16 v122, v122, v208, s9 bitop3:0xec
	v_lshlrev_b32_e32 v122, 16, v122
	v_dot4c_i32_i8_e32 v209, v187, v38
	v_dot4c_i32_i8_e32 v210, v191, v34
	;; [unrolled: 1-line block ×4, first 2 shown]
	v_or_b32_sdwa v208, v213, v122 dst_sel:DWORD dst_unused:UNUSED_PAD src0_sel:WORD_0 src1_sel:DWORD
	v_add3_u32 v122, s23, v183, v148
	v_dot4c_i32_i8_e32 v219, v203, v38
	v_dot4c_i32_i8_e32 v232, v207, v34
	;; [unrolled: 1-line block ×8, first 2 shown]
	ds_read_b32 v122, v122
	v_dot4c_i32_i8_e32 v219, v204, v39
	v_dot4c_i32_i8_e32 v232, v208, v35
	ds_read_b128 v[32:35], v138 offset:1024
	ds_read_b128 v[36:39], v138 offset:1040
	v_mov_b32_e32 v214, 0
	v_mov_b32_e32 v224, 0
	;; [unrolled: 1-line block ×8, first 2 shown]
	s_waitcnt lgkmcnt(1)
	v_dot4c_i32_i8_e32 v214, v126, v32
	s_waitcnt lgkmcnt(0)
	v_dot4c_i32_i8_e32 v224, v130, v36
	v_dot4c_i32_i8_e32 v233, v185, v32
	;; [unrolled: 1-line block ×31, first 2 shown]
	ds_read2_b32 v[212:213], v139 offset0:64 offset1:96
	ds_read_b128 v[32:35], v138 offset:2048
	ds_read_b128 v[36:39], v138 offset:2064
	v_mov_b32_e32 v221, 0
	v_mov_b32_e32 v220, 0
	;; [unrolled: 1-line block ×8, first 2 shown]
	s_waitcnt lgkmcnt(1)
	v_dot4c_i32_i8_e32 v221, v126, v32
	s_waitcnt lgkmcnt(0)
	v_dot4c_i32_i8_e32 v220, v130, v36
	v_dot4c_i32_i8_e32 v239, v185, v32
	;; [unrolled: 1-line block ×15, first 2 shown]
	v_add_u32_e32 v134, s21, v153
	v_dot4c_i32_i8_e32 v221, v128, v34
	v_dot4c_i32_i8_e32 v220, v132, v38
	;; [unrolled: 1-line block ×16, first 2 shown]
	ds_read_b128 v[32:35], v138 offset:3072
	ds_read_b128 v[36:39], v138 offset:3088
	ds_read_u16 v134, v134 offset:2
	v_add_u32_e32 v137, s21, v155
	v_mov_b32_e32 v222, 0
	s_waitcnt lgkmcnt(2)
	v_dot4c_i32_i8_e32 v222, v126, v32
	v_mov_b32_e32 v223, 0
	s_waitcnt lgkmcnt(0)
	v_lshrrev_b16_e32 v215, 8, v134
	v_bfe_i32 v134, v134, 0, 8
	v_bfe_i32 v215, v215, 0, 8
	v_mul_lo_u32 v136, v136, v215
	v_mul_lo_u32 v214, v214, v134
	v_mad_u64_u32 v[224:225], s[22:23], v224, v215, v[214:215]
	v_mad_u64_u32 v[226:227], s[22:23], v135, v134, v[136:137]
	v_cvt_f32_i32_e32 v225, v226
	v_cvt_f32_i32_e32 v224, v224
	v_dot4c_i32_i8_e32 v222, v127, v33
	v_dot4c_i32_i8_e32 v223, v130, v36
	;; [unrolled: 1-line block ×4, first 2 shown]
	v_mov_b32_e32 v228, v125
	v_mov_b32_e32 v229, v124
	v_dot4c_i32_i8_e32 v222, v129, v35
	v_dot4c_i32_i8_e32 v223, v132, v38
	v_pk_mul_f32 v[124:125], v[116:117], v[228:229] op_sel_hi:[0,1]
	v_dot4c_i32_i8_e32 v223, v133, v39
	v_mul_lo_u32 v220, v220, v215
	v_mul_lo_u32 v222, v222, v134
	v_pk_fma_f32 v[16:17], v[124:125], v[224:225], v[16:17]
	ds_read_u16 v124, v137 offset:2
	v_mad_u64_u32 v[222:223], s[22:23], v223, v215, v[222:223]
	v_mad_u64_u32 v[220:221], s[22:23], v221, v134, v[220:221]
	v_cvt_f32_i32_e32 v221, v220
	v_cvt_f32_i32_e32 v220, v222
	v_mov_b32_e32 v125, 0
	v_mov_b32_e32 v230, v213
	;; [unrolled: 1-line block ×3, first 2 shown]
	v_dot4c_i32_i8_e32 v125, v185, v32
	v_pk_mul_f32 v[212:213], v[116:117], v[230:231] op_sel_hi:[0,1]
	v_dot4c_i32_i8_e32 v125, v186, v33
	s_waitcnt lgkmcnt(0)
	v_lshrrev_b16_e32 v136, 8, v124
	v_pk_fma_f32 v[18:19], v[212:213], v[220:221], v[18:19]
	v_dot4c_i32_i8_e32 v125, v187, v34
	v_bfe_i32 v213, v124, 0, 8
	v_bfe_i32 v214, v136, 0, 8
	v_dot4c_i32_i8_e32 v125, v188, v35
	v_mul_lo_u32 v124, v210, v214
	v_mul_lo_u32 v136, v233, v213
	v_mov_b32_e32 v135, 0
	v_mul_lo_u32 v212, v125, v213
	v_mad_u64_u32 v[136:137], s[22:23], v234, v214, v[136:137]
	v_mad_u64_u32 v[124:125], s[22:23], v209, v213, v[124:125]
	v_dot4c_i32_i8_e32 v135, v189, v36
	v_cvt_f32_i32_e32 v125, v124
	v_cvt_f32_i32_e32 v124, v136
	v_dot4c_i32_i8_e32 v135, v190, v37
	v_dot4c_i32_i8_e32 v135, v191, v38
	v_add_u32_e32 v211, s21, v157
	v_dot4c_i32_i8_e32 v135, v192, v39
	v_mul_lo_u32 v210, v240, v214
	v_pk_mul_f32 v[224:225], v[118:119], v[228:229] op_sel_hi:[0,1]
	v_mad_u64_u32 v[222:223], s[22:23], v239, v213, v[210:211]
	v_mad_u64_u32 v[220:221], s[22:23], v135, v214, v[212:213]
	v_pk_fma_f32 v[28:29], v[224:225], v[124:125], v[28:29]
	ds_read_u16 v124, v211 offset:2
	v_cvt_f32_i32_e32 v137, v222
	v_cvt_f32_i32_e32 v136, v220
	v_mov_b32_e32 v125, 0
	v_pk_mul_f32 v[226:227], v[118:119], v[230:231] op_sel_hi:[0,1]
	v_dot4c_i32_i8_e32 v125, v193, v32
	v_pk_fma_f32 v[30:31], v[226:227], v[136:137], v[30:31]
	v_dot4c_i32_i8_e32 v125, v194, v33
	s_waitcnt lgkmcnt(0)
	v_lshrrev_b16_e32 v136, 8, v124
	v_dot4c_i32_i8_e32 v125, v195, v34
	v_bfe_i32 v211, v124, 0, 8
	v_bfe_i32 v212, v136, 0, 8
	v_dot4c_i32_i8_e32 v125, v196, v35
	v_mul_lo_u32 v124, v217, v212
	v_mul_lo_u32 v136, v235, v211
	v_mad_u64_u32 v[136:137], s[22:23], v236, v212, v[136:137]
	v_mul_lo_u32 v220, v125, v211
	v_mad_u64_u32 v[124:125], s[22:23], v216, v211, v[124:125]
	v_cvt_f32_i32_e32 v125, v124
	v_cvt_f32_i32_e32 v124, v136
	v_pk_mul_f32 v[216:217], v[120:121], v[228:229] op_sel_hi:[0,1]
	v_add_u32_e32 v218, s21, v159
	v_mov_b32_e32 v135, 0
	v_pk_fma_f32 v[24:25], v[216:217], v[124:125], v[24:25]
	v_mov_b32_e32 v124, 0
	v_dot4c_i32_i8_e32 v124, v201, v32
	ds_read_u16 v32, v218 offset:2
	v_dot4c_i32_i8_e32 v135, v197, v36
	v_dot4c_i32_i8_e32 v124, v202, v33
	v_mov_b32_e32 v33, 0
	v_dot4c_i32_i8_e32 v135, v198, v37
	v_dot4c_i32_i8_e32 v33, v205, v36
	;; [unrolled: 1-line block ×3, first 2 shown]
	v_mul_lo_u32 v210, v242, v212
	v_dot4c_i32_i8_e32 v124, v203, v34
	v_dot4c_i32_i8_e32 v33, v206, v37
	s_waitcnt lgkmcnt(0)
	v_lshrrev_b16_e32 v34, 8, v32
	v_dot4c_i32_i8_e32 v135, v200, v39
	v_mad_u64_u32 v[222:223], s[22:23], v241, v211, v[210:211]
	v_dot4c_i32_i8_e32 v124, v204, v35
	v_dot4c_i32_i8_e32 v33, v207, v38
	v_bfe_i32 v209, v32, 0, 8
	v_bfe_i32 v210, v34, 0, 8
	v_mad_u64_u32 v[220:221], s[22:23], v135, v212, v[220:221]
	v_dot4c_i32_i8_e32 v33, v208, v39
	v_mul_lo_u32 v32, v232, v210
	v_mul_lo_u32 v34, v237, v209
	;; [unrolled: 1-line block ×4, first 2 shown]
	v_cvt_f32_i32_e32 v137, v222
	v_cvt_f32_i32_e32 v136, v220
	v_mad_u64_u32 v[38:39], s[22:23], v33, v210, v[38:39]
	v_mad_u64_u32 v[36:37], s[22:23], v243, v209, v[36:37]
	;; [unrolled: 1-line block ×4, first 2 shown]
	v_cvt_f32_i32_e32 v33, v32
	v_cvt_f32_i32_e32 v32, v34
	;; [unrolled: 1-line block ×4, first 2 shown]
	v_pk_mul_f32 v[224:225], v[120:121], v[230:231] op_sel_hi:[0,1]
	v_pk_fma_f32 v[26:27], v[224:225], v[136:137], v[26:27]
	v_pk_mul_f32 v[124:125], v[122:123], v[228:229] op_sel_hi:[0,1]
	v_pk_mul_f32 v[136:137], v[122:123], v[230:231] op_sel_hi:[0,1]
	v_pk_fma_f32 v[22:23], v[136:137], v[34:35], v[22:23]
	v_pk_fma_f32 v[20:21], v[124:125], v[32:33], v[20:21]
	ds_read2_b32 v[124:125], v139 offset0:128 offset1:160
	ds_read_b128 v[32:35], v138 offset:4096
	ds_read_b128 v[36:39], v138 offset:4112
	v_mov_b32_e32 v135, 0
	v_mov_b32_e32 v234, 0
	;; [unrolled: 1-line block ×8, first 2 shown]
	s_waitcnt lgkmcnt(1)
	v_dot4c_i32_i8_e32 v135, v126, v32
	s_waitcnt lgkmcnt(0)
	v_dot4c_i32_i8_e32 v234, v130, v36
	v_dot4c_i32_i8_e32 v224, v185, v32
	;; [unrolled: 1-line block ×31, first 2 shown]
	ds_read_b128 v[32:35], v138 offset:5120
	ds_read_b128 v[36:39], v138 offset:5136
	v_mov_b32_e32 v235, 0
	v_mov_b32_e32 v236, 0
	;; [unrolled: 1-line block ×8, first 2 shown]
	s_waitcnt lgkmcnt(1)
	v_dot4c_i32_i8_e32 v235, v126, v32
	s_waitcnt lgkmcnt(0)
	v_dot4c_i32_i8_e32 v236, v130, v36
	v_dot4c_i32_i8_e32 v226, v185, v32
	v_dot4c_i32_i8_e32 v227, v189, v36
	v_dot4c_i32_i8_e32 v223, v193, v32
	v_dot4c_i32_i8_e32 v222, v197, v36
	v_dot4c_i32_i8_e32 v219, v201, v32
	v_dot4c_i32_i8_e32 v218, v205, v36
	v_dot4c_i32_i8_e32 v235, v127, v33
	v_dot4c_i32_i8_e32 v236, v131, v37
	v_dot4c_i32_i8_e32 v226, v186, v33
	v_dot4c_i32_i8_e32 v227, v190, v37
	v_dot4c_i32_i8_e32 v223, v194, v33
	v_dot4c_i32_i8_e32 v222, v198, v37
	v_dot4c_i32_i8_e32 v219, v202, v33
	v_dot4c_i32_i8_e32 v218, v206, v37
	v_dot4c_i32_i8_e32 v235, v128, v34
	v_dot4c_i32_i8_e32 v236, v132, v38
	v_dot4c_i32_i8_e32 v226, v187, v34
	v_dot4c_i32_i8_e32 v227, v191, v38
	v_dot4c_i32_i8_e32 v223, v195, v34
	v_dot4c_i32_i8_e32 v222, v199, v38
	v_dot4c_i32_i8_e32 v219, v203, v34
	v_dot4c_i32_i8_e32 v218, v207, v38
	v_dot4c_i32_i8_e32 v235, v129, v35
	v_dot4c_i32_i8_e32 v236, v133, v39
	v_dot4c_i32_i8_e32 v226, v188, v35
	v_dot4c_i32_i8_e32 v227, v192, v39
	v_dot4c_i32_i8_e32 v223, v196, v35
	v_dot4c_i32_i8_e32 v222, v200, v39
	v_dot4c_i32_i8_e32 v219, v204, v35
	v_dot4c_i32_i8_e32 v218, v208, v39
	ds_read2_b32 v[136:137], v139 offset0:192 offset1:224
	ds_read_b128 v[32:35], v138 offset:6144
	ds_read_b128 v[36:39], v138 offset:6160
	v_mov_b32_e32 v237, 0
	v_mov_b32_e32 v238, 0
	;; [unrolled: 1-line block ×8, first 2 shown]
	s_waitcnt lgkmcnt(1)
	v_dot4c_i32_i8_e32 v237, v126, v32
	s_waitcnt lgkmcnt(0)
	v_dot4c_i32_i8_e32 v238, v130, v36
	v_dot4c_i32_i8_e32 v232, v185, v32
	;; [unrolled: 1-line block ×31, first 2 shown]
	ds_read_b128 v[36:39], v138 offset:7168
	ds_read_b128 v[32:35], v138 offset:7184
	v_mov_b32_e32 v239, 0
	s_add_i32 s19, s19, 2
	s_add_i32 s18, s18, 1
	s_waitcnt lgkmcnt(1)
	v_dot4c_i32_i8_e32 v239, v126, v36
	v_dot4c_i32_i8_e32 v239, v127, v37
	v_mov_b32_e32 v127, 0
	s_waitcnt lgkmcnt(0)
	v_dot4c_i32_i8_e32 v127, v130, v32
	v_dot4c_i32_i8_e32 v239, v128, v38
	;; [unrolled: 1-line block ×6, first 2 shown]
	v_mul_lo_u32 v130, v238, v215
	v_mul_lo_u32 v128, v239, v134
	v_mad_u64_u32 v[130:131], s[22:23], v237, v134, v[130:131]
	v_mad_u64_u32 v[128:129], s[22:23], v127, v215, v[128:129]
	v_cvt_f32_i32_e32 v129, v130
	v_cvt_f32_i32_e32 v128, v128
	v_mul_lo_u32 v126, v234, v215
	v_mul_lo_u32 v132, v235, v134
	v_mad_u64_u32 v[134:135], s[22:23], v135, v134, v[126:127]
	v_mov_b32_e32 v126, v125
	v_mov_b32_e32 v127, v124
	v_mov_b32_e32 v124, v137
	v_mov_b32_e32 v125, v136
	v_pk_mul_f32 v[136:137], v[116:117], v[124:125] op_sel_hi:[0,1]
	v_mad_u64_u32 v[132:133], s[22:23], v236, v215, v[132:133]
	v_pk_fma_f32 v[14:15], v[136:137], v[128:129], v[14:15]
	v_mov_b32_e32 v129, 0
	v_cvt_f32_i32_e32 v133, v134
	v_cvt_f32_i32_e32 v132, v132
	v_dot4c_i32_i8_e32 v129, v185, v36
	v_dot4c_i32_i8_e32 v129, v186, v37
	v_mov_b32_e32 v131, 0
	v_dot4c_i32_i8_e32 v129, v187, v38
	v_dot4c_i32_i8_e32 v131, v189, v32
	v_pk_mul_f32 v[234:235], v[116:117], v[126:127] op_sel_hi:[0,1]
	v_dot4c_i32_i8_e32 v129, v188, v39
	v_dot4c_i32_i8_e32 v131, v190, v33
	v_mul_lo_u32 v116, v225, v214
	v_mul_lo_u32 v128, v226, v213
	v_pk_fma_f32 v[12:13], v[234:235], v[132:133], v[12:13]
	v_dot4c_i32_i8_e32 v131, v191, v34
	v_mul_lo_u32 v132, v129, v213
	v_mad_u64_u32 v[128:129], s[22:23], v227, v214, v[128:129]
	v_mad_u64_u32 v[134:135], s[22:23], v224, v213, v[116:117]
	v_dot4c_i32_i8_e32 v131, v192, v35
	v_mul_lo_u32 v130, v233, v214
	v_cvt_f32_i32_e32 v129, v134
	v_cvt_f32_i32_e32 v128, v128
	v_mad_u64_u32 v[132:133], s[22:23], v131, v214, v[132:133]
	v_mad_u64_u32 v[130:131], s[22:23], v232, v213, v[130:131]
	v_cvt_f32_i32_e32 v131, v130
	v_cvt_f32_i32_e32 v130, v132
	v_pk_mul_f32 v[136:137], v[118:119], v[126:127] op_sel_hi:[0,1]
	v_mul_lo_u32 v116, v221, v212
	v_pk_fma_f32 v[8:9], v[136:137], v[128:129], v[8:9]
	v_mov_b32_e32 v129, 0
	v_mad_u64_u32 v[134:135], s[22:23], v220, v211, v[116:117]
	v_mov_b32_e32 v116, 0
	v_pk_mul_f32 v[186:187], v[118:119], v[124:125] op_sel_hi:[0,1]
	v_dot4c_i32_i8_e32 v129, v193, v36
	v_dot4c_i32_i8_e32 v116, v201, v36
	v_pk_fma_f32 v[10:11], v[186:187], v[130:131], v[10:11]
	v_dot4c_i32_i8_e32 v129, v194, v37
	v_mov_b32_e32 v131, 0
	v_dot4c_i32_i8_e32 v116, v202, v37
	v_mov_b32_e32 v37, 0
	v_dot4c_i32_i8_e32 v131, v197, v32
	v_dot4c_i32_i8_e32 v37, v205, v32
	;; [unrolled: 1-line block ×11, first 2 shown]
	v_mul_lo_u32 v118, v223, v211
	v_mul_lo_u32 v128, v231, v212
	;; [unrolled: 1-line block ×3, first 2 shown]
                                        ; kill: def $vgpr129 killed $sgpr0 killed $exec
	v_dot4c_i32_i8_e32 v37, v208, v35
	v_mul_lo_u32 v32, v217, v210
	v_mul_lo_u32 v34, v219, v209
	;; [unrolled: 1-line block ×4, first 2 shown]
                                        ; kill: def $vgpr33 killed $sgpr0 killed $exec
	v_mad_u64_u32 v[130:131], s[22:23], v131, v212, v[130:131]
	v_mad_u64_u32 v[128:129], s[22:23], v230, v211, v[128:129]
	;; [unrolled: 1-line block ×7, first 2 shown]
	v_cvt_f32_i32_e32 v133, v134
	v_cvt_f32_i32_e32 v132, v132
	v_cvt_f32_i32_e32 v129, v128
	v_cvt_f32_i32_e32 v128, v130
	v_cvt_f32_i32_e32 v33, v32
	v_cvt_f32_i32_e32 v32, v34
	v_cvt_f32_i32_e32 v35, v36
	v_cvt_f32_i32_e32 v34, v38
	v_pk_mul_f32 v[136:137], v[120:121], v[126:127] op_sel_hi:[0,1]
	v_pk_mul_f32 v[186:187], v[120:121], v[124:125] op_sel_hi:[0,1]
	;; [unrolled: 1-line block ×4, first 2 shown]
	v_pk_fma_f32 v[6:7], v[186:187], v[128:129], v[6:7]
	v_pk_fma_f32 v[4:5], v[136:137], v[132:133], v[4:5]
	;; [unrolled: 1-line block ×4, first 2 shown]
	v_add_u32_e32 v139, 4, v139
	v_add_u32_e32 v138, 32, v138
	s_cmp_lt_u32 s20, 6
	s_mov_b32 s21, s20
	s_cbranch_scc1 .LBB129_7
; %bb.8:                                ;   in Loop: Header=BB129_6 Depth=1
	v_add_u32_e32 v116, s17, v149
	v_add_u32_e32 v118, v116, v105
	v_mad_i64_i32 v[124:125], s[18:19], v118, 36, v[76:77]
	v_add_u32_e32 v118, v116, v107
	v_add_u32_e32 v32, v116, v97
	;; [unrolled: 1-line block ×5, first 2 shown]
	v_mad_i64_i32 v[126:127], s[18:19], v118, 36, v[76:77]
	v_add_u32_e32 v118, v116, v109
	v_add_u32_e32 v116, v116, v111
	v_mad_i64_i32 v[130:131], s[18:19], v116, 36, v[76:77]
	v_add_u32_e32 v116, 4, v184
	v_mad_i64_i32 v[32:33], s[18:19], v32, 36, v[76:77]
	v_mad_i64_i32 v[34:35], s[18:19], v34, 36, v[76:77]
	;; [unrolled: 1-line block ×4, first 2 shown]
	v_mad_u64_u32 v[132:133], s[18:19], v116, 36, s[2:3]
	s_barrier
	v_mad_i64_i32 v[128:129], s[18:19], v118, 36, v[76:77]
	global_load_dword v116, v[132:133], off
	s_nop 0
	global_load_dword v32, v[32:33], off offset:4
	s_nop 0
	global_load_dword v33, v[34:35], off offset:4
	;; [unrolled: 2-line block ×3, first 2 shown]
	global_load_dword v35, v[38:39], off offset:4
	s_nop 0
	global_load_dword v36, v[124:125], off offset:4
	global_load_dword v37, v[126:127], off offset:4
	;; [unrolled: 1-line block ×4, first 2 shown]
	s_mov_b32 s18, 4
	s_mov_b32 s19, 8
	s_mov_b32 s22, 6
	v_mov_b32_e32 v185, v162
	v_mov_b32_e32 v186, v160
	s_waitcnt vmcnt(8)
	v_cvt_f32_f16_e32 v116, v116
	s_waitcnt vmcnt(7)
	ds_write_b32 v167, v32
	s_waitcnt vmcnt(6)
	ds_write_b32 v168, v33
	;; [unrolled: 2-line block ×8, first 2 shown]
	ds_write_b32 v75, v116
	s_waitcnt lgkmcnt(0)
	s_barrier
.LBB129_9:                              ;   Parent Loop BB129_6 Depth=1
                                        ; =>  This Inner Loop Header: Depth=2
	s_add_i32 s20, s22, 2
	s_lshr_b32 s25, s20, 4
	s_and_b32 s23, s20, 0x3ffffff8
	v_lshl_add_u32 v122, s23, 2, v113
	s_lshl_b32 s23, s25, 5
	s_addk_i32 s23, 0x4200
	v_add3_u32 v120, s23, v175, v115
	v_add3_u32 v210, s23, v182, v146
	ds_read2_b32 v[124:125], v186 offset1:32
	ds_read_b128 v[36:39], v185
	ds_read_b128 v[32:35], v185 offset:16
	ds_read2_b32 v[126:127], v122 offset1:1
	ds_read2_b32 v[218:219], v210 offset0:6 offset1:7
	ds_read2_b32 v[128:129], v120 offset1:1
	s_add_i32 s21, s22, -6
	s_and_b32 s24, s19, -16
	s_waitcnt lgkmcnt(2)
	v_ashrrev_i32_e32 v116, s21, v126
	v_bfe_u32 v118, v116, 24, 2
	s_waitcnt lgkmcnt(0)
	v_ashrrev_i32_e32 v126, s18, v128
	v_lshlrev_b32_e32 v126, 2, v126
	v_and_b32_e32 v116, 0x3030303, v116
	v_and_b32_e32 v126, 0x4040404, v126
	v_sub_u16_e32 v128, v116, v126
	v_sub_u16_sdwa v130, v116, v126 dst_sel:BYTE_1 dst_unused:UNUSED_PAD src0_sel:BYTE_1 src1_sel:BYTE_1
	v_sub_u16_sdwa v116, v116, v126 dst_sel:DWORD dst_unused:UNUSED_PAD src0_sel:WORD_1 src1_sel:WORD_1
	v_sub_u16_sdwa v118, v118, v126 dst_sel:BYTE_1 dst_unused:UNUSED_PAD src0_sel:DWORD src1_sel:BYTE_3
	v_bitop3_b16 v128, v128, v130, s9 bitop3:0xec
	v_bitop3_b16 v116, v116, v118, s9 bitop3:0xec
	v_lshlrev_b32_e32 v116, 16, v116
	v_or_b32_sdwa v126, v128, v116 dst_sel:DWORD dst_unused:UNUSED_PAD src0_sel:WORD_0 src1_sel:DWORD
	v_ashrrev_i32_e32 v116, s21, v127
	v_ashrrev_i32_e32 v127, s18, v129
	v_lshlrev_b32_e32 v127, 2, v127
	v_bfe_u32 v118, v116, 24, 2
	v_and_b32_e32 v116, 0x3030303, v116
	v_and_b32_e32 v127, 0x4040404, v127
	v_sub_u16_e32 v128, v116, v127
	v_sub_u16_sdwa v129, v116, v127 dst_sel:BYTE_1 dst_unused:UNUSED_PAD src0_sel:BYTE_1 src1_sel:BYTE_1
	v_sub_u16_sdwa v116, v116, v127 dst_sel:DWORD dst_unused:UNUSED_PAD src0_sel:WORD_1 src1_sel:WORD_1
	v_sub_u16_sdwa v118, v118, v127 dst_sel:BYTE_1 dst_unused:UNUSED_PAD src0_sel:DWORD src1_sel:BYTE_3
	v_bitop3_b16 v128, v128, v129, s9 bitop3:0xec
	v_bitop3_b16 v116, v116, v118, s9 bitop3:0xec
	v_lshlrev_b32_e32 v116, 16, v116
	v_or_b32_sdwa v127, v128, v116 dst_sel:DWORD dst_unused:UNUSED_PAD src0_sel:WORD_0 src1_sel:DWORD
	ds_read2_b32 v[128:129], v122 offset0:2 offset1:3
	ds_read2_b32 v[130:131], v120 offset0:2 offset1:3
	s_add_i32 s22, s22, s24
	s_lshl_b32 s24, s25, 2
	s_add_i32 s24, s24, 0x9380
	s_waitcnt lgkmcnt(1)
	v_ashrrev_i32_e32 v116, s21, v128
	s_waitcnt lgkmcnt(0)
	v_ashrrev_i32_e32 v128, s18, v130
	v_lshlrev_b32_e32 v128, 2, v128
	v_bfe_u32 v118, v116, 24, 2
	v_and_b32_e32 v116, 0x3030303, v116
	v_and_b32_e32 v128, 0x4040404, v128
	v_sub_u16_e32 v130, v116, v128
	v_sub_u16_sdwa v132, v116, v128 dst_sel:BYTE_1 dst_unused:UNUSED_PAD src0_sel:BYTE_1 src1_sel:BYTE_1
	v_sub_u16_sdwa v116, v116, v128 dst_sel:DWORD dst_unused:UNUSED_PAD src0_sel:WORD_1 src1_sel:WORD_1
	v_sub_u16_sdwa v118, v118, v128 dst_sel:BYTE_1 dst_unused:UNUSED_PAD src0_sel:DWORD src1_sel:BYTE_3
	v_bitop3_b16 v130, v130, v132, s9 bitop3:0xec
	v_bitop3_b16 v116, v116, v118, s9 bitop3:0xec
	v_lshlrev_b32_e32 v116, 16, v116
	v_or_b32_sdwa v128, v130, v116 dst_sel:DWORD dst_unused:UNUSED_PAD src0_sel:WORD_0 src1_sel:DWORD
	v_ashrrev_i32_e32 v116, s21, v129
	v_ashrrev_i32_e32 v129, s18, v131
	v_lshlrev_b32_e32 v129, 2, v129
	v_bfe_u32 v118, v116, 24, 2
	v_and_b32_e32 v116, 0x3030303, v116
	v_and_b32_e32 v129, 0x4040404, v129
	v_sub_u16_e32 v130, v116, v129
	v_sub_u16_sdwa v131, v116, v129 dst_sel:BYTE_1 dst_unused:UNUSED_PAD src0_sel:BYTE_1 src1_sel:BYTE_1
	v_sub_u16_sdwa v116, v116, v129 dst_sel:DWORD dst_unused:UNUSED_PAD src0_sel:WORD_1 src1_sel:WORD_1
	v_sub_u16_sdwa v118, v118, v129 dst_sel:BYTE_1 dst_unused:UNUSED_PAD src0_sel:DWORD src1_sel:BYTE_3
	v_bitop3_b16 v130, v130, v131, s9 bitop3:0xec
	v_bitop3_b16 v116, v116, v118, s9 bitop3:0xec
	v_lshlrev_b32_e32 v116, 16, v116
	v_or_b32_sdwa v129, v130, v116 dst_sel:DWORD dst_unused:UNUSED_PAD src0_sel:WORD_0 src1_sel:DWORD
	ds_read2_b32 v[130:131], v122 offset0:4 offset1:5
	ds_read2_b32 v[132:133], v120 offset0:4 offset1:5
	v_add3_u32 v137, s23, v178, v117
	ds_read2_b32 v[188:189], v137 offset1:1
	v_add3_u32 v204, s23, v180, v142
	s_waitcnt lgkmcnt(2)
	v_ashrrev_i32_e32 v116, s21, v130
	s_waitcnt lgkmcnt(1)
	v_ashrrev_i32_e32 v130, s18, v132
	v_lshlrev_b32_e32 v130, 2, v130
	v_bfe_u32 v118, v116, 24, 2
	v_and_b32_e32 v116, 0x3030303, v116
	v_and_b32_e32 v130, 0x4040404, v130
	v_sub_u16_e32 v132, v116, v130
	v_sub_u16_sdwa v134, v116, v130 dst_sel:BYTE_1 dst_unused:UNUSED_PAD src0_sel:BYTE_1 src1_sel:BYTE_1
	v_sub_u16_sdwa v116, v116, v130 dst_sel:DWORD dst_unused:UNUSED_PAD src0_sel:WORD_1 src1_sel:WORD_1
	v_sub_u16_sdwa v118, v118, v130 dst_sel:BYTE_1 dst_unused:UNUSED_PAD src0_sel:DWORD src1_sel:BYTE_3
	v_bitop3_b16 v132, v132, v134, s9 bitop3:0xec
	v_bitop3_b16 v116, v116, v118, s9 bitop3:0xec
	v_lshlrev_b32_e32 v116, 16, v116
	v_or_b32_sdwa v130, v132, v116 dst_sel:DWORD dst_unused:UNUSED_PAD src0_sel:WORD_0 src1_sel:DWORD
	v_ashrrev_i32_e32 v116, s21, v131
	v_ashrrev_i32_e32 v131, s18, v133
	v_lshlrev_b32_e32 v131, 2, v131
	v_bfe_u32 v118, v116, 24, 2
	v_and_b32_e32 v116, 0x3030303, v116
	v_and_b32_e32 v131, 0x4040404, v131
	v_sub_u16_e32 v132, v116, v131
	v_sub_u16_sdwa v133, v116, v131 dst_sel:BYTE_1 dst_unused:UNUSED_PAD src0_sel:BYTE_1 src1_sel:BYTE_1
	v_sub_u16_sdwa v116, v116, v131 dst_sel:DWORD dst_unused:UNUSED_PAD src0_sel:WORD_1 src1_sel:WORD_1
	v_sub_u16_sdwa v118, v118, v131 dst_sel:BYTE_1 dst_unused:UNUSED_PAD src0_sel:DWORD src1_sel:BYTE_3
	v_bitop3_b16 v132, v132, v133, s9 bitop3:0xec
	v_bitop3_b16 v116, v116, v118, s9 bitop3:0xec
	v_lshlrev_b32_e32 v116, 16, v116
	v_or_b32_sdwa v131, v132, v116 dst_sel:DWORD dst_unused:UNUSED_PAD src0_sel:WORD_0 src1_sel:DWORD
	ds_read2_b32 v[132:133], v122 offset0:6 offset1:7
	ds_read2_b32 v[134:135], v120 offset0:6 offset1:7
	;; [unrolled: 1-line block ×4, first 2 shown]
	v_mov_b32_e32 v136, 0
	s_waitcnt lgkmcnt(3)
	v_ashrrev_i32_e32 v116, s21, v132
	s_waitcnt lgkmcnt(2)
	v_ashrrev_i32_e32 v120, s18, v134
	v_lshlrev_b32_e32 v120, 2, v120
	v_bfe_u32 v118, v116, 24, 2
	v_and_b32_e32 v116, 0x3030303, v116
	v_and_b32_e32 v120, 0x4040404, v120
	v_sub_u16_e32 v132, v116, v120
	v_sub_u16_sdwa v134, v116, v120 dst_sel:BYTE_1 dst_unused:UNUSED_PAD src0_sel:BYTE_1 src1_sel:BYTE_1
	v_sub_u16_sdwa v116, v116, v120 dst_sel:DWORD dst_unused:UNUSED_PAD src0_sel:WORD_1 src1_sel:WORD_1
	v_sub_u16_sdwa v118, v118, v120 dst_sel:BYTE_1 dst_unused:UNUSED_PAD src0_sel:DWORD src1_sel:BYTE_3
	v_bitop3_b16 v132, v132, v134, s9 bitop3:0xec
	v_bitop3_b16 v116, v116, v118, s9 bitop3:0xec
	v_lshlrev_b32_e32 v116, 16, v116
	v_ashrrev_i32_e32 v120, s18, v135
	v_or_b32_sdwa v132, v132, v116 dst_sel:DWORD dst_unused:UNUSED_PAD src0_sel:WORD_0 src1_sel:DWORD
	v_ashrrev_i32_e32 v116, s21, v133
	v_lshlrev_b32_e32 v120, 2, v120
	v_bfe_u32 v118, v116, 24, 2
	v_and_b32_e32 v116, 0x3030303, v116
	v_and_b32_e32 v120, 0x4040404, v120
	v_sub_u16_e32 v133, v116, v120
	v_sub_u16_sdwa v134, v116, v120 dst_sel:BYTE_1 dst_unused:UNUSED_PAD src0_sel:BYTE_1 src1_sel:BYTE_1
	v_sub_u16_sdwa v116, v116, v120 dst_sel:DWORD dst_unused:UNUSED_PAD src0_sel:WORD_1 src1_sel:WORD_1
	v_sub_u16_sdwa v118, v118, v120 dst_sel:BYTE_1 dst_unused:UNUSED_PAD src0_sel:DWORD src1_sel:BYTE_3
	v_bitop3_b16 v133, v133, v134, s9 bitop3:0xec
	v_bitop3_b16 v116, v116, v118, s9 bitop3:0xec
	v_lshlrev_b32_e32 v116, 16, v116
	v_or_b32_sdwa v133, v133, v116 dst_sel:DWORD dst_unused:UNUSED_PAD src0_sel:WORD_0 src1_sel:DWORD
	v_add3_u32 v116, s24, v176, v177
	v_add_u32_e32 v118, 0x1080, v122
	ds_read_b32 v116, v116
	ds_read2_b32 v[138:139], v118 offset1:1
	ds_read2_b32 v[194:195], v137 offset0:6 offset1:7
	ds_read2_b32 v[198:199], v204 offset1:1
	v_mov_b32_e32 v135, 0
	v_mov_b32_e32 v212, 0
	s_waitcnt lgkmcnt(2)
	v_ashrrev_i32_e32 v118, s21, v138
	v_ashrrev_i32_e32 v138, s18, v188
	v_lshlrev_b32_e32 v138, 2, v138
	v_bfe_u32 v120, v118, 24, 2
	v_and_b32_e32 v118, 0x3030303, v118
	v_and_b32_e32 v138, 0x4040404, v138
	v_sub_u16_e32 v187, v118, v138
	v_sub_u16_sdwa v188, v118, v138 dst_sel:BYTE_1 dst_unused:UNUSED_PAD src0_sel:BYTE_1 src1_sel:BYTE_1
	v_sub_u16_sdwa v118, v118, v138 dst_sel:DWORD dst_unused:UNUSED_PAD src0_sel:WORD_1 src1_sel:WORD_1
	v_sub_u16_sdwa v120, v120, v138 dst_sel:BYTE_1 dst_unused:UNUSED_PAD src0_sel:DWORD src1_sel:BYTE_3
	v_bitop3_b16 v187, v187, v188, s9 bitop3:0xec
	v_bitop3_b16 v118, v118, v120, s9 bitop3:0xec
	v_lshlrev_b32_e32 v118, 16, v118
	v_ashrrev_i32_e32 v138, s18, v189
	v_or_b32_sdwa v187, v187, v118 dst_sel:DWORD dst_unused:UNUSED_PAD src0_sel:WORD_0 src1_sel:DWORD
	v_ashrrev_i32_e32 v118, s21, v139
	v_lshlrev_b32_e32 v138, 2, v138
	v_bfe_u32 v120, v118, 24, 2
	v_and_b32_e32 v118, 0x3030303, v118
	v_and_b32_e32 v138, 0x4040404, v138
	v_sub_u16_e32 v139, v118, v138
	v_sub_u16_sdwa v188, v118, v138 dst_sel:BYTE_1 dst_unused:UNUSED_PAD src0_sel:BYTE_1 src1_sel:BYTE_1
	v_sub_u16_sdwa v118, v118, v138 dst_sel:DWORD dst_unused:UNUSED_PAD src0_sel:WORD_1 src1_sel:WORD_1
	v_sub_u16_sdwa v120, v120, v138 dst_sel:BYTE_1 dst_unused:UNUSED_PAD src0_sel:DWORD src1_sel:BYTE_3
	v_bitop3_b16 v139, v139, v188, s9 bitop3:0xec
	v_bitop3_b16 v118, v118, v120, s9 bitop3:0xec
	v_lshlrev_b32_e32 v118, 16, v118
	v_or_b32_sdwa v188, v139, v118 dst_sel:DWORD dst_unused:UNUSED_PAD src0_sel:WORD_0 src1_sel:DWORD
	v_add_u32_e32 v118, 0x1088, v122
	ds_read2_b32 v[138:139], v118 offset1:1
	s_waitcnt lgkmcnt(2)
	v_ashrrev_i32_e32 v137, s18, v194
	v_lshlrev_b32_e32 v137, 2, v137
	v_and_b32_e32 v137, 0x4040404, v137
	v_mov_b32_e32 v217, 0
	s_waitcnt lgkmcnt(0)
	v_ashrrev_i32_e32 v118, s21, v138
	v_ashrrev_i32_e32 v138, s18, v190
	v_lshlrev_b32_e32 v138, 2, v138
	v_bfe_u32 v120, v118, 24, 2
	v_and_b32_e32 v118, 0x3030303, v118
	v_and_b32_e32 v138, 0x4040404, v138
	v_sub_u16_e32 v189, v118, v138
	v_sub_u16_sdwa v190, v118, v138 dst_sel:BYTE_1 dst_unused:UNUSED_PAD src0_sel:BYTE_1 src1_sel:BYTE_1
	v_sub_u16_sdwa v118, v118, v138 dst_sel:DWORD dst_unused:UNUSED_PAD src0_sel:WORD_1 src1_sel:WORD_1
	v_sub_u16_sdwa v120, v120, v138 dst_sel:BYTE_1 dst_unused:UNUSED_PAD src0_sel:DWORD src1_sel:BYTE_3
	v_bitop3_b16 v189, v189, v190, s9 bitop3:0xec
	v_bitop3_b16 v118, v118, v120, s9 bitop3:0xec
	v_lshlrev_b32_e32 v118, 16, v118
	v_ashrrev_i32_e32 v138, s18, v191
	v_or_b32_sdwa v189, v189, v118 dst_sel:DWORD dst_unused:UNUSED_PAD src0_sel:WORD_0 src1_sel:DWORD
	v_ashrrev_i32_e32 v118, s21, v139
	v_lshlrev_b32_e32 v138, 2, v138
	v_bfe_u32 v120, v118, 24, 2
	v_and_b32_e32 v118, 0x3030303, v118
	v_and_b32_e32 v138, 0x4040404, v138
	v_sub_u16_e32 v139, v118, v138
	v_sub_u16_sdwa v190, v118, v138 dst_sel:BYTE_1 dst_unused:UNUSED_PAD src0_sel:BYTE_1 src1_sel:BYTE_1
	v_sub_u16_sdwa v118, v118, v138 dst_sel:DWORD dst_unused:UNUSED_PAD src0_sel:WORD_1 src1_sel:WORD_1
	v_sub_u16_sdwa v120, v120, v138 dst_sel:BYTE_1 dst_unused:UNUSED_PAD src0_sel:DWORD src1_sel:BYTE_3
	v_bitop3_b16 v139, v139, v190, s9 bitop3:0xec
	v_bitop3_b16 v118, v118, v120, s9 bitop3:0xec
	v_lshlrev_b32_e32 v118, 16, v118
	v_or_b32_sdwa v190, v139, v118 dst_sel:DWORD dst_unused:UNUSED_PAD src0_sel:WORD_0 src1_sel:DWORD
	v_add_u32_e32 v118, 0x1090, v122
	ds_read2_b32 v[138:139], v118 offset1:1
	v_mov_b32_e32 v228, 0
	v_dot4c_i32_i8_e32 v135, v126, v36
	v_dot4c_i32_i8_e32 v136, v130, v32
	;; [unrolled: 1-line block ×3, first 2 shown]
	s_waitcnt lgkmcnt(0)
	v_ashrrev_i32_e32 v118, s21, v138
	v_ashrrev_i32_e32 v138, s18, v192
	v_lshlrev_b32_e32 v138, 2, v138
	v_bfe_u32 v120, v118, 24, 2
	v_and_b32_e32 v118, 0x3030303, v118
	v_and_b32_e32 v138, 0x4040404, v138
	v_sub_u16_e32 v191, v118, v138
	v_sub_u16_sdwa v192, v118, v138 dst_sel:BYTE_1 dst_unused:UNUSED_PAD src0_sel:BYTE_1 src1_sel:BYTE_1
	v_sub_u16_sdwa v118, v118, v138 dst_sel:DWORD dst_unused:UNUSED_PAD src0_sel:WORD_1 src1_sel:WORD_1
	v_sub_u16_sdwa v120, v120, v138 dst_sel:BYTE_1 dst_unused:UNUSED_PAD src0_sel:DWORD src1_sel:BYTE_3
	v_bitop3_b16 v191, v191, v192, s9 bitop3:0xec
	v_bitop3_b16 v118, v118, v120, s9 bitop3:0xec
	v_lshlrev_b32_e32 v118, 16, v118
	v_ashrrev_i32_e32 v138, s18, v193
	v_or_b32_sdwa v191, v191, v118 dst_sel:DWORD dst_unused:UNUSED_PAD src0_sel:WORD_0 src1_sel:DWORD
	v_ashrrev_i32_e32 v118, s21, v139
	v_lshlrev_b32_e32 v138, 2, v138
	v_bfe_u32 v120, v118, 24, 2
	v_and_b32_e32 v118, 0x3030303, v118
	v_and_b32_e32 v138, 0x4040404, v138
	v_sub_u16_e32 v139, v118, v138
	v_sub_u16_sdwa v192, v118, v138 dst_sel:BYTE_1 dst_unused:UNUSED_PAD src0_sel:BYTE_1 src1_sel:BYTE_1
	v_sub_u16_sdwa v118, v118, v138 dst_sel:DWORD dst_unused:UNUSED_PAD src0_sel:WORD_1 src1_sel:WORD_1
	v_sub_u16_sdwa v120, v120, v138 dst_sel:BYTE_1 dst_unused:UNUSED_PAD src0_sel:DWORD src1_sel:BYTE_3
	v_bitop3_b16 v139, v139, v192, s9 bitop3:0xec
	v_bitop3_b16 v118, v118, v120, s9 bitop3:0xec
	v_lshlrev_b32_e32 v118, 16, v118
	v_or_b32_sdwa v192, v139, v118 dst_sel:DWORD dst_unused:UNUSED_PAD src0_sel:WORD_0 src1_sel:DWORD
	v_add_u32_e32 v118, 0x1098, v122
	ds_read2_b32 v[138:139], v118 offset1:1
	v_dot4c_i32_i8_e32 v136, v131, v33
	v_dot4c_i32_i8_e32 v135, v128, v38
	;; [unrolled: 1-line block ×4, first 2 shown]
	s_waitcnt lgkmcnt(0)
	v_ashrrev_i32_e32 v118, s21, v138
	v_bfe_u32 v120, v118, 24, 2
	v_and_b32_e32 v118, 0x3030303, v118
	v_sub_u16_e32 v138, v118, v137
	v_sub_u16_sdwa v193, v118, v137 dst_sel:BYTE_1 dst_unused:UNUSED_PAD src0_sel:BYTE_1 src1_sel:BYTE_1
	v_sub_u16_sdwa v118, v118, v137 dst_sel:DWORD dst_unused:UNUSED_PAD src0_sel:WORD_1 src1_sel:WORD_1
	v_sub_u16_sdwa v120, v120, v137 dst_sel:BYTE_1 dst_unused:UNUSED_PAD src0_sel:DWORD src1_sel:BYTE_3
	v_bitop3_b16 v138, v138, v193, s9 bitop3:0xec
	v_bitop3_b16 v118, v118, v120, s9 bitop3:0xec
	v_lshlrev_b32_e32 v118, 16, v118
	v_ashrrev_i32_e32 v137, s18, v195
	v_or_b32_sdwa v193, v138, v118 dst_sel:DWORD dst_unused:UNUSED_PAD src0_sel:WORD_0 src1_sel:DWORD
	v_ashrrev_i32_e32 v118, s21, v139
	v_lshlrev_b32_e32 v137, 2, v137
	v_bfe_u32 v120, v118, 24, 2
	v_and_b32_e32 v118, 0x3030303, v118
	v_and_b32_e32 v137, 0x4040404, v137
	v_sub_u16_e32 v138, v118, v137
	v_sub_u16_sdwa v139, v118, v137 dst_sel:BYTE_1 dst_unused:UNUSED_PAD src0_sel:BYTE_1 src1_sel:BYTE_1
	v_sub_u16_sdwa v118, v118, v137 dst_sel:DWORD dst_unused:UNUSED_PAD src0_sel:WORD_1 src1_sel:WORD_1
	v_sub_u16_sdwa v120, v120, v137 dst_sel:BYTE_1 dst_unused:UNUSED_PAD src0_sel:DWORD src1_sel:BYTE_3
	v_bitop3_b16 v138, v138, v139, s9 bitop3:0xec
	v_bitop3_b16 v118, v118, v120, s9 bitop3:0xec
	v_lshlrev_b32_e32 v118, 16, v118
	v_or_b32_sdwa v194, v138, v118 dst_sel:DWORD dst_unused:UNUSED_PAD src0_sel:WORD_0 src1_sel:DWORD
	v_add3_u32 v118, s24, v179, v119
	v_add_u32_e32 v120, 0x2100, v122
	ds_read_b32 v118, v118
	ds_read2_b32 v[196:197], v120 offset1:1
	v_mov_b32_e32 v138, 0
	v_mov_b32_e32 v139, 0
	v_dot4c_i32_i8_e32 v138, v187, v36
	v_dot4c_i32_i8_e32 v139, v191, v32
	s_waitcnt lgkmcnt(0)
	v_ashrrev_i32_e32 v120, s21, v196
	v_ashrrev_i32_e32 v196, s18, v198
	v_lshlrev_b32_e32 v196, 2, v196
	v_bfe_u32 v195, v120, 24, 2
	v_and_b32_e32 v120, 0x3030303, v120
	v_and_b32_e32 v196, 0x4040404, v196
	v_sub_u16_e32 v198, v120, v196
	v_sub_u16_sdwa v200, v120, v196 dst_sel:BYTE_1 dst_unused:UNUSED_PAD src0_sel:BYTE_1 src1_sel:BYTE_1
	v_sub_u16_sdwa v120, v120, v196 dst_sel:DWORD dst_unused:UNUSED_PAD src0_sel:WORD_1 src1_sel:WORD_1
	v_sub_u16_sdwa v195, v195, v196 dst_sel:BYTE_1 dst_unused:UNUSED_PAD src0_sel:DWORD src1_sel:BYTE_3
	v_bitop3_b16 v198, v198, v200, s9 bitop3:0xec
	v_bitop3_b16 v120, v120, v195, s9 bitop3:0xec
	v_lshlrev_b32_e32 v120, 16, v120
	v_or_b32_sdwa v195, v198, v120 dst_sel:DWORD dst_unused:UNUSED_PAD src0_sel:WORD_0 src1_sel:DWORD
	v_ashrrev_i32_e32 v120, s21, v197
	v_ashrrev_i32_e32 v197, s18, v199
	v_lshlrev_b32_e32 v197, 2, v197
	v_bfe_u32 v196, v120, 24, 2
	v_and_b32_e32 v120, 0x3030303, v120
	v_and_b32_e32 v197, 0x4040404, v197
	v_sub_u16_e32 v198, v120, v197
	v_sub_u16_sdwa v199, v120, v197 dst_sel:BYTE_1 dst_unused:UNUSED_PAD src0_sel:BYTE_1 src1_sel:BYTE_1
	v_sub_u16_sdwa v120, v120, v197 dst_sel:DWORD dst_unused:UNUSED_PAD src0_sel:WORD_1 src1_sel:WORD_1
	v_sub_u16_sdwa v196, v196, v197 dst_sel:BYTE_1 dst_unused:UNUSED_PAD src0_sel:DWORD src1_sel:BYTE_3
	v_bitop3_b16 v198, v198, v199, s9 bitop3:0xec
	v_bitop3_b16 v120, v120, v196, s9 bitop3:0xec
	v_lshlrev_b32_e32 v120, 16, v120
	v_or_b32_sdwa v196, v198, v120 dst_sel:DWORD dst_unused:UNUSED_PAD src0_sel:WORD_0 src1_sel:DWORD
	v_add_u32_e32 v120, 0x2108, v122
	ds_read2_b32 v[198:199], v120 offset1:1
	ds_read2_b32 v[200:201], v204 offset0:2 offset1:3
	v_dot4c_i32_i8_e32 v212, v195, v36
	v_dot4c_i32_i8_e32 v138, v188, v37
	v_dot4c_i32_i8_e32 v139, v192, v33
	s_waitcnt lgkmcnt(1)
	v_ashrrev_i32_e32 v120, s21, v198
	s_waitcnt lgkmcnt(0)
	v_ashrrev_i32_e32 v198, s18, v200
	v_lshlrev_b32_e32 v198, 2, v198
	v_bfe_u32 v197, v120, 24, 2
	v_and_b32_e32 v120, 0x3030303, v120
	v_and_b32_e32 v198, 0x4040404, v198
	v_sub_u16_e32 v200, v120, v198
	v_sub_u16_sdwa v202, v120, v198 dst_sel:BYTE_1 dst_unused:UNUSED_PAD src0_sel:BYTE_1 src1_sel:BYTE_1
	v_sub_u16_sdwa v120, v120, v198 dst_sel:DWORD dst_unused:UNUSED_PAD src0_sel:WORD_1 src1_sel:WORD_1
	v_sub_u16_sdwa v197, v197, v198 dst_sel:BYTE_1 dst_unused:UNUSED_PAD src0_sel:DWORD src1_sel:BYTE_3
	v_bitop3_b16 v200, v200, v202, s9 bitop3:0xec
	v_bitop3_b16 v120, v120, v197, s9 bitop3:0xec
	v_lshlrev_b32_e32 v120, 16, v120
	v_or_b32_sdwa v197, v200, v120 dst_sel:DWORD dst_unused:UNUSED_PAD src0_sel:WORD_0 src1_sel:DWORD
	v_ashrrev_i32_e32 v120, s21, v199
	v_ashrrev_i32_e32 v199, s18, v201
	v_lshlrev_b32_e32 v199, 2, v199
	v_bfe_u32 v198, v120, 24, 2
	v_and_b32_e32 v120, 0x3030303, v120
	v_and_b32_e32 v199, 0x4040404, v199
	v_sub_u16_e32 v200, v120, v199
	v_sub_u16_sdwa v201, v120, v199 dst_sel:BYTE_1 dst_unused:UNUSED_PAD src0_sel:BYTE_1 src1_sel:BYTE_1
	v_sub_u16_sdwa v120, v120, v199 dst_sel:DWORD dst_unused:UNUSED_PAD src0_sel:WORD_1 src1_sel:WORD_1
	v_sub_u16_sdwa v198, v198, v199 dst_sel:BYTE_1 dst_unused:UNUSED_PAD src0_sel:DWORD src1_sel:BYTE_3
	v_bitop3_b16 v200, v200, v201, s9 bitop3:0xec
	v_bitop3_b16 v120, v120, v198, s9 bitop3:0xec
	v_lshlrev_b32_e32 v120, 16, v120
	v_or_b32_sdwa v198, v200, v120 dst_sel:DWORD dst_unused:UNUSED_PAD src0_sel:WORD_0 src1_sel:DWORD
	v_add_u32_e32 v120, 0x2110, v122
	ds_read2_b32 v[200:201], v120 offset1:1
	ds_read2_b32 v[202:203], v204 offset0:4 offset1:5
	v_dot4c_i32_i8_e32 v212, v196, v37
	v_dot4c_i32_i8_e32 v138, v189, v38
	v_dot4c_i32_i8_e32 v139, v193, v34
	s_waitcnt lgkmcnt(1)
	v_ashrrev_i32_e32 v120, s21, v200
	s_waitcnt lgkmcnt(0)
	v_ashrrev_i32_e32 v200, s18, v202
	v_lshlrev_b32_e32 v200, 2, v200
	v_bfe_u32 v199, v120, 24, 2
	v_and_b32_e32 v120, 0x3030303, v120
	v_and_b32_e32 v200, 0x4040404, v200
	v_sub_u16_e32 v202, v120, v200
	v_sub_u16_sdwa v205, v120, v200 dst_sel:BYTE_1 dst_unused:UNUSED_PAD src0_sel:BYTE_1 src1_sel:BYTE_1
	v_sub_u16_sdwa v120, v120, v200 dst_sel:DWORD dst_unused:UNUSED_PAD src0_sel:WORD_1 src1_sel:WORD_1
	v_sub_u16_sdwa v199, v199, v200 dst_sel:BYTE_1 dst_unused:UNUSED_PAD src0_sel:DWORD src1_sel:BYTE_3
	v_bitop3_b16 v202, v202, v205, s9 bitop3:0xec
	v_bitop3_b16 v120, v120, v199, s9 bitop3:0xec
	v_lshlrev_b32_e32 v120, 16, v120
	v_or_b32_sdwa v199, v202, v120 dst_sel:DWORD dst_unused:UNUSED_PAD src0_sel:WORD_0 src1_sel:DWORD
	v_ashrrev_i32_e32 v120, s21, v201
	v_ashrrev_i32_e32 v201, s18, v203
	v_lshlrev_b32_e32 v201, 2, v201
	v_bfe_u32 v200, v120, 24, 2
	v_and_b32_e32 v120, 0x3030303, v120
	v_and_b32_e32 v201, 0x4040404, v201
	v_sub_u16_e32 v202, v120, v201
	v_sub_u16_sdwa v203, v120, v201 dst_sel:BYTE_1 dst_unused:UNUSED_PAD src0_sel:BYTE_1 src1_sel:BYTE_1
	v_sub_u16_sdwa v120, v120, v201 dst_sel:DWORD dst_unused:UNUSED_PAD src0_sel:WORD_1 src1_sel:WORD_1
	v_sub_u16_sdwa v200, v200, v201 dst_sel:BYTE_1 dst_unused:UNUSED_PAD src0_sel:DWORD src1_sel:BYTE_3
	v_bitop3_b16 v202, v202, v203, s9 bitop3:0xec
	v_bitop3_b16 v120, v120, v200, s9 bitop3:0xec
	v_lshlrev_b32_e32 v120, 16, v120
	v_or_b32_sdwa v200, v202, v120 dst_sel:DWORD dst_unused:UNUSED_PAD src0_sel:WORD_0 src1_sel:DWORD
	v_add_u32_e32 v120, 0x2118, v122
	ds_read2_b32 v[202:203], v120 offset1:1
	ds_read2_b32 v[204:205], v204 offset0:6 offset1:7
	v_dot4c_i32_i8_e32 v217, v199, v32
	v_dot4c_i32_i8_e32 v217, v200, v33
	v_dot4c_i32_i8_e32 v212, v197, v38
	s_waitcnt lgkmcnt(1)
	v_ashrrev_i32_e32 v120, s21, v202
	s_waitcnt lgkmcnt(0)
	v_ashrrev_i32_e32 v202, s18, v204
	v_lshlrev_b32_e32 v202, 2, v202
	v_bfe_u32 v201, v120, 24, 2
	v_and_b32_e32 v120, 0x3030303, v120
	v_and_b32_e32 v202, 0x4040404, v202
	v_sub_u16_e32 v204, v120, v202
	v_sub_u16_sdwa v206, v120, v202 dst_sel:BYTE_1 dst_unused:UNUSED_PAD src0_sel:BYTE_1 src1_sel:BYTE_1
	v_sub_u16_sdwa v120, v120, v202 dst_sel:DWORD dst_unused:UNUSED_PAD src0_sel:WORD_1 src1_sel:WORD_1
	v_sub_u16_sdwa v201, v201, v202 dst_sel:BYTE_1 dst_unused:UNUSED_PAD src0_sel:DWORD src1_sel:BYTE_3
	v_bitop3_b16 v204, v204, v206, s9 bitop3:0xec
	v_bitop3_b16 v120, v120, v201, s9 bitop3:0xec
	v_lshlrev_b32_e32 v120, 16, v120
	v_or_b32_sdwa v201, v204, v120 dst_sel:DWORD dst_unused:UNUSED_PAD src0_sel:WORD_0 src1_sel:DWORD
	v_ashrrev_i32_e32 v120, s21, v203
	v_ashrrev_i32_e32 v203, s18, v205
	v_lshlrev_b32_e32 v203, 2, v203
	v_bfe_u32 v202, v120, 24, 2
	v_and_b32_e32 v120, 0x3030303, v120
	v_and_b32_e32 v203, 0x4040404, v203
	v_sub_u16_e32 v204, v120, v203
	v_sub_u16_sdwa v205, v120, v203 dst_sel:BYTE_1 dst_unused:UNUSED_PAD src0_sel:BYTE_1 src1_sel:BYTE_1
	v_sub_u16_sdwa v120, v120, v203 dst_sel:DWORD dst_unused:UNUSED_PAD src0_sel:WORD_1 src1_sel:WORD_1
	v_sub_u16_sdwa v202, v202, v203 dst_sel:BYTE_1 dst_unused:UNUSED_PAD src0_sel:DWORD src1_sel:BYTE_3
	v_bitop3_b16 v204, v204, v205, s9 bitop3:0xec
	v_bitop3_b16 v120, v120, v202, s9 bitop3:0xec
	v_lshlrev_b32_e32 v120, 16, v120
	v_add_u32_e32 v203, 0x3180, v122
	v_or_b32_sdwa v202, v204, v120 dst_sel:DWORD dst_unused:UNUSED_PAD src0_sel:WORD_0 src1_sel:DWORD
	ds_read2_b32 v[204:205], v203 offset1:1
	ds_read2_b32 v[206:207], v210 offset1:1
	v_add3_u32 v120, s24, v181, v144
	ds_read_b32 v120, v120
	v_dot4c_i32_i8_e32 v217, v201, v34
	s_waitcnt lgkmcnt(2)
	v_ashrrev_i32_e32 v203, s21, v204
	s_waitcnt lgkmcnt(1)
	v_ashrrev_i32_e32 v206, s18, v206
	v_lshlrev_b32_e32 v206, 2, v206
	v_bfe_u32 v204, v203, 24, 2
	v_and_b32_e32 v203, 0x3030303, v203
	v_and_b32_e32 v206, 0x4040404, v206
	v_sub_u16_e32 v208, v203, v206
	v_sub_u16_sdwa v209, v203, v206 dst_sel:BYTE_1 dst_unused:UNUSED_PAD src0_sel:BYTE_1 src1_sel:BYTE_1
	v_sub_u16_sdwa v203, v203, v206 dst_sel:DWORD dst_unused:UNUSED_PAD src0_sel:WORD_1 src1_sel:WORD_1
	v_sub_u16_sdwa v204, v204, v206 dst_sel:BYTE_1 dst_unused:UNUSED_PAD src0_sel:DWORD src1_sel:BYTE_3
	v_ashrrev_i32_e32 v206, s18, v207
	v_bitop3_b16 v203, v203, v204, s9 bitop3:0xec
	v_ashrrev_i32_e32 v204, s21, v205
	v_lshlrev_b32_e32 v206, 2, v206
	v_bitop3_b16 v208, v208, v209, s9 bitop3:0xec
	v_lshlrev_b32_e32 v203, 16, v203
	v_bfe_u32 v205, v204, 24, 2
	v_and_b32_e32 v204, 0x3030303, v204
	v_and_b32_e32 v206, 0x4040404, v206
	v_or_b32_sdwa v203, v208, v203 dst_sel:DWORD dst_unused:UNUSED_PAD src0_sel:WORD_0 src1_sel:DWORD
	v_sub_u16_e32 v207, v204, v206
	v_sub_u16_sdwa v208, v204, v206 dst_sel:BYTE_1 dst_unused:UNUSED_PAD src0_sel:BYTE_1 src1_sel:BYTE_1
	v_sub_u16_sdwa v204, v204, v206 dst_sel:DWORD dst_unused:UNUSED_PAD src0_sel:WORD_1 src1_sel:WORD_1
	v_sub_u16_sdwa v205, v205, v206 dst_sel:BYTE_1 dst_unused:UNUSED_PAD src0_sel:DWORD src1_sel:BYTE_3
	v_bitop3_b16 v207, v207, v208, s9 bitop3:0xec
	v_bitop3_b16 v204, v204, v205, s9 bitop3:0xec
	v_lshlrev_b32_e32 v204, 16, v204
	v_add_u32_e32 v205, 0x3188, v122
	v_or_b32_sdwa v204, v207, v204 dst_sel:DWORD dst_unused:UNUSED_PAD src0_sel:WORD_0 src1_sel:DWORD
	ds_read2_b32 v[206:207], v205 offset1:1
	ds_read2_b32 v[208:209], v210 offset0:2 offset1:3
	v_dot4c_i32_i8_e32 v136, v133, v35
	v_dot4c_i32_i8_e32 v138, v190, v39
	;; [unrolled: 1-line block ×3, first 2 shown]
	s_waitcnt lgkmcnt(1)
	v_ashrrev_i32_e32 v205, s21, v206
	s_waitcnt lgkmcnt(0)
	v_ashrrev_i32_e32 v208, s18, v208
	v_lshlrev_b32_e32 v208, 2, v208
	v_bfe_u32 v206, v205, 24, 2
	v_and_b32_e32 v205, 0x3030303, v205
	v_and_b32_e32 v208, 0x4040404, v208
	v_sub_u16_e32 v213, v205, v208
	v_sub_u16_sdwa v214, v205, v208 dst_sel:BYTE_1 dst_unused:UNUSED_PAD src0_sel:BYTE_1 src1_sel:BYTE_1
	v_sub_u16_sdwa v205, v205, v208 dst_sel:DWORD dst_unused:UNUSED_PAD src0_sel:WORD_1 src1_sel:WORD_1
	v_sub_u16_sdwa v206, v206, v208 dst_sel:BYTE_1 dst_unused:UNUSED_PAD src0_sel:DWORD src1_sel:BYTE_3
	v_ashrrev_i32_e32 v208, s18, v209
	v_bitop3_b16 v205, v205, v206, s9 bitop3:0xec
	v_ashrrev_i32_e32 v206, s21, v207
	v_lshlrev_b32_e32 v208, 2, v208
	v_bitop3_b16 v213, v213, v214, s9 bitop3:0xec
	v_lshlrev_b32_e32 v205, 16, v205
	v_bfe_u32 v207, v206, 24, 2
	v_and_b32_e32 v206, 0x3030303, v206
	v_and_b32_e32 v208, 0x4040404, v208
	v_or_b32_sdwa v205, v213, v205 dst_sel:DWORD dst_unused:UNUSED_PAD src0_sel:WORD_0 src1_sel:DWORD
	v_sub_u16_e32 v209, v206, v208
	v_sub_u16_sdwa v213, v206, v208 dst_sel:BYTE_1 dst_unused:UNUSED_PAD src0_sel:BYTE_1 src1_sel:BYTE_1
	v_sub_u16_sdwa v206, v206, v208 dst_sel:DWORD dst_unused:UNUSED_PAD src0_sel:WORD_1 src1_sel:WORD_1
	v_sub_u16_sdwa v207, v207, v208 dst_sel:BYTE_1 dst_unused:UNUSED_PAD src0_sel:DWORD src1_sel:BYTE_3
	v_bitop3_b16 v209, v209, v213, s9 bitop3:0xec
	v_bitop3_b16 v206, v206, v207, s9 bitop3:0xec
	v_lshlrev_b32_e32 v206, 16, v206
	v_add_u32_e32 v207, 0x3190, v122
	v_or_b32_sdwa v206, v209, v206 dst_sel:DWORD dst_unused:UNUSED_PAD src0_sel:WORD_0 src1_sel:DWORD
	ds_read2_b32 v[208:209], v207 offset1:1
	ds_read2_b32 v[214:215], v210 offset0:4 offset1:5
	v_add_u32_e32 v122, 0x3198, v122
	v_ashrrev_i32_e32 v210, s18, v218
	v_lshlrev_b32_e32 v210, 2, v210
	s_waitcnt lgkmcnt(1)
	v_ashrrev_i32_e32 v207, s21, v208
	s_waitcnt lgkmcnt(0)
	v_ashrrev_i32_e32 v213, s18, v214
	v_lshlrev_b32_e32 v213, 2, v213
	v_bfe_u32 v208, v207, 24, 2
	v_and_b32_e32 v207, 0x3030303, v207
	v_and_b32_e32 v213, 0x4040404, v213
	v_sub_u16_e32 v214, v207, v213
	v_sub_u16_sdwa v216, v207, v213 dst_sel:BYTE_1 dst_unused:UNUSED_PAD src0_sel:BYTE_1 src1_sel:BYTE_1
	v_sub_u16_sdwa v207, v207, v213 dst_sel:DWORD dst_unused:UNUSED_PAD src0_sel:WORD_1 src1_sel:WORD_1
	v_sub_u16_sdwa v208, v208, v213 dst_sel:BYTE_1 dst_unused:UNUSED_PAD src0_sel:DWORD src1_sel:BYTE_3
	v_ashrrev_i32_e32 v213, s18, v215
	v_bitop3_b16 v207, v207, v208, s9 bitop3:0xec
	v_ashrrev_i32_e32 v208, s21, v209
	v_lshlrev_b32_e32 v213, 2, v213
	v_bitop3_b16 v214, v214, v216, s9 bitop3:0xec
	v_lshlrev_b32_e32 v207, 16, v207
	v_bfe_u32 v209, v208, 24, 2
	v_and_b32_e32 v208, 0x3030303, v208
	v_and_b32_e32 v213, 0x4040404, v213
	v_or_b32_sdwa v207, v214, v207 dst_sel:DWORD dst_unused:UNUSED_PAD src0_sel:WORD_0 src1_sel:DWORD
	v_sub_u16_e32 v214, v208, v213
	v_sub_u16_sdwa v215, v208, v213 dst_sel:BYTE_1 dst_unused:UNUSED_PAD src0_sel:BYTE_1 src1_sel:BYTE_1
	v_sub_u16_sdwa v208, v208, v213 dst_sel:DWORD dst_unused:UNUSED_PAD src0_sel:WORD_1 src1_sel:WORD_1
	v_sub_u16_sdwa v209, v209, v213 dst_sel:BYTE_1 dst_unused:UNUSED_PAD src0_sel:DWORD src1_sel:BYTE_3
	v_bitop3_b16 v214, v214, v215, s9 bitop3:0xec
	v_bitop3_b16 v208, v208, v209, s9 bitop3:0xec
	v_lshlrev_b32_e32 v208, 16, v208
	v_or_b32_sdwa v208, v214, v208 dst_sel:DWORD dst_unused:UNUSED_PAD src0_sel:WORD_0 src1_sel:DWORD
	ds_read2_b32 v[214:215], v122 offset1:1
	v_and_b32_e32 v210, 0x4040404, v210
	v_dot4c_i32_i8_e32 v228, v207, v32
	v_dot4c_i32_i8_e32 v228, v208, v33
	;; [unrolled: 1-line block ×3, first 2 shown]
	s_waitcnt lgkmcnt(0)
	v_ashrrev_i32_e32 v122, s21, v214
	v_bfe_u32 v209, v122, 24, 2
	v_and_b32_e32 v122, 0x3030303, v122
	v_sub_u16_e32 v213, v122, v210
	v_sub_u16_sdwa v214, v122, v210 dst_sel:BYTE_1 dst_unused:UNUSED_PAD src0_sel:BYTE_1 src1_sel:BYTE_1
	v_sub_u16_sdwa v122, v122, v210 dst_sel:DWORD dst_unused:UNUSED_PAD src0_sel:WORD_1 src1_sel:WORD_1
	v_sub_u16_sdwa v209, v209, v210 dst_sel:BYTE_1 dst_unused:UNUSED_PAD src0_sel:DWORD src1_sel:BYTE_3
	v_bitop3_b16 v213, v213, v214, s9 bitop3:0xec
	v_bitop3_b16 v122, v122, v209, s9 bitop3:0xec
	v_lshlrev_b32_e32 v122, 16, v122
	v_or_b32_sdwa v209, v213, v122 dst_sel:DWORD dst_unused:UNUSED_PAD src0_sel:WORD_0 src1_sel:DWORD
	v_ashrrev_i32_e32 v213, s18, v219
	v_ashrrev_i32_e32 v122, s21, v215
	v_lshlrev_b32_e32 v213, 2, v213
	v_bfe_u32 v210, v122, 24, 2
	v_and_b32_e32 v122, 0x3030303, v122
	v_and_b32_e32 v213, 0x4040404, v213
	v_sub_u16_e32 v214, v122, v213
	v_sub_u16_sdwa v215, v122, v213 dst_sel:BYTE_1 dst_unused:UNUSED_PAD src0_sel:BYTE_1 src1_sel:BYTE_1
	v_sub_u16_sdwa v122, v122, v213 dst_sel:DWORD dst_unused:UNUSED_PAD src0_sel:WORD_1 src1_sel:WORD_1
	v_sub_u16_sdwa v210, v210, v213 dst_sel:BYTE_1 dst_unused:UNUSED_PAD src0_sel:DWORD src1_sel:BYTE_3
	v_mov_b32_e32 v219, 0
	v_bitop3_b16 v122, v122, v210, s9 bitop3:0xec
	v_dot4c_i32_i8_e32 v219, v203, v36
	v_bitop3_b16 v214, v214, v215, s9 bitop3:0xec
	v_lshlrev_b32_e32 v122, 16, v122
	v_dot4c_i32_i8_e32 v219, v204, v37
	v_or_b32_sdwa v210, v214, v122 dst_sel:DWORD dst_unused:UNUSED_PAD src0_sel:WORD_0 src1_sel:DWORD
	v_add3_u32 v122, s24, v183, v148
	v_dot4c_i32_i8_e32 v219, v205, v38
	v_dot4c_i32_i8_e32 v228, v209, v34
	;; [unrolled: 1-line block ×3, first 2 shown]
	ds_read_b32 v122, v122
	v_dot4c_i32_i8_e32 v219, v206, v39
	v_dot4c_i32_i8_e32 v228, v210, v35
	ds_read_b128 v[32:35], v185 offset:1024
	ds_read_b128 v[36:39], v185 offset:1040
	v_mov_b32_e32 v213, 0
	v_mov_b32_e32 v224, 0
	;; [unrolled: 1-line block ×8, first 2 shown]
	s_waitcnt lgkmcnt(1)
	v_dot4c_i32_i8_e32 v213, v126, v32
	s_waitcnt lgkmcnt(0)
	v_dot4c_i32_i8_e32 v224, v130, v36
	v_dot4c_i32_i8_e32 v234, v187, v32
	;; [unrolled: 1-line block ×31, first 2 shown]
	ds_read2_b32 v[214:215], v186 offset0:64 offset1:96
	ds_read_b128 v[32:35], v185 offset:2048
	ds_read_b128 v[36:39], v185 offset:2064
	v_mov_b32_e32 v221, 0
	v_mov_b32_e32 v220, 0
	;; [unrolled: 1-line block ×8, first 2 shown]
	s_waitcnt lgkmcnt(1)
	v_dot4c_i32_i8_e32 v221, v126, v32
	s_waitcnt lgkmcnt(0)
	v_dot4c_i32_i8_e32 v220, v130, v36
	v_dot4c_i32_i8_e32 v240, v187, v32
	;; [unrolled: 1-line block ×15, first 2 shown]
	v_add_u32_e32 v134, s22, v121
	v_dot4c_i32_i8_e32 v221, v128, v34
	v_dot4c_i32_i8_e32 v220, v132, v38
	;; [unrolled: 1-line block ×16, first 2 shown]
	ds_read_b128 v[32:35], v185 offset:3072
	ds_read_b128 v[36:39], v185 offset:3088
	ds_read_u16 v134, v134 offset:33538
	v_add_u32_e32 v137, s22, v123
	v_add_u32_e32 v211, s22, v140
	;; [unrolled: 1-line block ×3, first 2 shown]
	v_mov_b32_e32 v222, 0
	s_waitcnt lgkmcnt(0)
	v_lshrrev_b16_e32 v216, 8, v134
	v_bfe_i32 v134, v134, 0, 8
	v_bfe_i32 v229, v216, 0, 8
	v_mul_lo_u32 v136, v136, v229
	v_mul_lo_u32 v216, v213, v134
	v_mad_u64_u32 v[224:225], s[22:23], v224, v229, v[216:217]
	v_mad_u64_u32 v[226:227], s[22:23], v135, v134, v[136:137]
	v_dot4c_i32_i8_e32 v222, v126, v32
	v_mov_b32_e32 v223, 0
	v_cvt_f32_i32_e32 v225, v226
	v_cvt_f32_i32_e32 v224, v224
	v_dot4c_i32_i8_e32 v222, v127, v33
	v_dot4c_i32_i8_e32 v223, v130, v36
	;; [unrolled: 1-line block ×4, first 2 shown]
	v_mov_b32_e32 v230, v125
	v_mov_b32_e32 v231, v124
	v_dot4c_i32_i8_e32 v222, v129, v35
	v_dot4c_i32_i8_e32 v223, v132, v38
	v_pk_mul_f32 v[124:125], v[116:117], v[230:231] op_sel_hi:[0,1]
	v_dot4c_i32_i8_e32 v223, v133, v39
	v_mul_lo_u32 v220, v220, v229
	v_mul_lo_u32 v222, v222, v134
	v_pk_fma_f32 v[16:17], v[124:125], v[224:225], v[16:17]
	ds_read_u16 v124, v137 offset:34562
	v_mad_u64_u32 v[222:223], s[22:23], v223, v229, v[222:223]
	v_mad_u64_u32 v[220:221], s[22:23], v221, v134, v[220:221]
	v_cvt_f32_i32_e32 v221, v220
	v_cvt_f32_i32_e32 v220, v222
	v_mov_b32_e32 v125, 0
	v_dot4c_i32_i8_e32 v125, v187, v32
	v_mov_b32_e32 v232, v215
	v_mov_b32_e32 v233, v214
	v_dot4c_i32_i8_e32 v125, v188, v33
	v_pk_mul_f32 v[214:215], v[116:117], v[232:233] op_sel_hi:[0,1]
	v_dot4c_i32_i8_e32 v125, v189, v34
	s_waitcnt lgkmcnt(0)
	v_lshrrev_b16_e32 v136, 8, v124
	v_pk_fma_f32 v[18:19], v[214:215], v[220:221], v[18:19]
	v_dot4c_i32_i8_e32 v125, v190, v35
	v_bfe_i32 v215, v124, 0, 8
	v_bfe_i32 v216, v136, 0, 8
	v_mul_lo_u32 v124, v139, v216
	v_mul_lo_u32 v136, v234, v215
	;; [unrolled: 1-line block ×3, first 2 shown]
                                        ; kill: def $vgpr125 killed $sgpr0 killed $exec
	v_mov_b32_e32 v135, 0
	v_mad_u64_u32 v[136:137], s[22:23], v235, v216, v[136:137]
	v_mad_u64_u32 v[124:125], s[22:23], v138, v215, v[124:125]
	v_dot4c_i32_i8_e32 v135, v191, v36
	v_cvt_f32_i32_e32 v125, v124
	v_cvt_f32_i32_e32 v124, v136
	v_dot4c_i32_i8_e32 v135, v192, v37
	v_dot4c_i32_i8_e32 v135, v193, v38
	;; [unrolled: 1-line block ×3, first 2 shown]
	v_mul_lo_u32 v214, v241, v216
	v_pk_mul_f32 v[138:139], v[118:119], v[230:231] op_sel_hi:[0,1]
	v_mad_u64_u32 v[222:223], s[22:23], v240, v215, v[214:215]
	v_mad_u64_u32 v[220:221], s[22:23], v135, v216, v[220:221]
	v_pk_fma_f32 v[28:29], v[138:139], v[124:125], v[28:29]
	ds_read_u16 v124, v211 offset:35586
	v_cvt_f32_i32_e32 v137, v222
	v_cvt_f32_i32_e32 v136, v220
	v_mov_b32_e32 v125, 0
	v_dot4c_i32_i8_e32 v125, v195, v32
	v_pk_mul_f32 v[224:225], v[118:119], v[232:233] op_sel_hi:[0,1]
	v_dot4c_i32_i8_e32 v125, v196, v33
	v_pk_fma_f32 v[30:31], v[224:225], v[136:137], v[30:31]
	v_dot4c_i32_i8_e32 v125, v197, v34
	s_waitcnt lgkmcnt(0)
	v_lshrrev_b16_e32 v136, 8, v124
	v_dot4c_i32_i8_e32 v125, v198, v35
	v_bfe_i32 v213, v124, 0, 8
	v_bfe_i32 v214, v136, 0, 8
	v_mul_lo_u32 v124, v217, v214
	v_mul_lo_u32 v136, v236, v213
	;; [unrolled: 1-line block ×3, first 2 shown]
                                        ; kill: def $vgpr125 killed $sgpr0 killed $exec
	v_mad_u64_u32 v[136:137], s[22:23], v237, v214, v[136:137]
	v_mad_u64_u32 v[124:125], s[22:23], v212, v213, v[124:125]
	v_cvt_f32_i32_e32 v125, v124
	v_cvt_f32_i32_e32 v124, v136
	v_pk_mul_f32 v[222:223], v[120:121], v[230:231] op_sel_hi:[0,1]
	v_mov_b32_e32 v135, 0
	v_dot4c_i32_i8_e32 v135, v199, v36
	v_pk_fma_f32 v[24:25], v[222:223], v[124:125], v[24:25]
	v_mov_b32_e32 v124, 0
	v_dot4c_i32_i8_e32 v124, v203, v32
	ds_read_u16 v32, v218 offset:36610
	v_dot4c_i32_i8_e32 v124, v204, v33
	v_mov_b32_e32 v33, 0
	v_dot4c_i32_i8_e32 v33, v207, v36
	v_dot4c_i32_i8_e32 v135, v200, v37
	;; [unrolled: 1-line block ×7, first 2 shown]
	s_waitcnt lgkmcnt(0)
	v_lshrrev_b16_e32 v34, 8, v32
	v_bfe_i32 v211, v32, 0, 8
	v_dot4c_i32_i8_e32 v135, v202, v39
	v_mul_lo_u32 v138, v243, v214
	v_dot4c_i32_i8_e32 v33, v210, v39
	v_bfe_i32 v212, v34, 0, 8
	v_mul_lo_u32 v38, v124, v211
	v_mad_u64_u32 v[220:221], s[22:23], v135, v214, v[220:221]
	v_mad_u64_u32 v[138:139], s[22:23], v242, v213, v[138:139]
	v_mul_lo_u32 v32, v228, v212
	v_mul_lo_u32 v34, v238, v211
	;; [unrolled: 1-line block ×3, first 2 shown]
                                        ; kill: def $vgpr35 killed $sgpr0 killed $exec
	v_mad_u64_u32 v[38:39], s[22:23], v33, v212, v[38:39]
                                        ; kill: def $vgpr33 killed $sgpr0 killed $exec
	v_cvt_f32_i32_e32 v137, v138
	v_cvt_f32_i32_e32 v136, v220
	v_mad_u64_u32 v[36:37], s[22:23], v244, v211, v[36:37]
	v_mad_u64_u32 v[34:35], s[22:23], v239, v212, v[34:35]
	;; [unrolled: 1-line block ×3, first 2 shown]
	v_cvt_f32_i32_e32 v33, v32
	v_cvt_f32_i32_e32 v32, v34
	v_cvt_f32_i32_e32 v35, v36
	v_cvt_f32_i32_e32 v34, v38
	v_pk_mul_f32 v[224:225], v[120:121], v[232:233] op_sel_hi:[0,1]
	v_pk_fma_f32 v[26:27], v[224:225], v[136:137], v[26:27]
	v_pk_mul_f32 v[124:125], v[122:123], v[230:231] op_sel_hi:[0,1]
	v_pk_mul_f32 v[136:137], v[122:123], v[232:233] op_sel_hi:[0,1]
	v_pk_fma_f32 v[22:23], v[136:137], v[34:35], v[22:23]
	v_pk_fma_f32 v[20:21], v[124:125], v[32:33], v[20:21]
	ds_read2_b32 v[124:125], v186 offset0:128 offset1:160
	ds_read_b128 v[32:35], v185 offset:4096
	ds_read_b128 v[36:39], v185 offset:4112
	v_mov_b32_e32 v135, 0
	v_mov_b32_e32 v138, 0
	;; [unrolled: 1-line block ×8, first 2 shown]
	s_waitcnt lgkmcnt(1)
	v_dot4c_i32_i8_e32 v135, v126, v32
	s_waitcnt lgkmcnt(0)
	v_dot4c_i32_i8_e32 v138, v130, v36
	v_dot4c_i32_i8_e32 v225, v187, v32
	;; [unrolled: 1-line block ×31, first 2 shown]
	ds_read_b128 v[32:35], v185 offset:5120
	ds_read_b128 v[36:39], v185 offset:5136
	v_mov_b32_e32 v139, 0
	v_mov_b32_e32 v236, 0
	;; [unrolled: 1-line block ×8, first 2 shown]
	s_waitcnt lgkmcnt(1)
	v_dot4c_i32_i8_e32 v139, v126, v32
	s_waitcnt lgkmcnt(0)
	v_dot4c_i32_i8_e32 v236, v130, v36
	v_dot4c_i32_i8_e32 v228, v187, v32
	;; [unrolled: 1-line block ×31, first 2 shown]
	ds_read2_b32 v[136:137], v186 offset0:192 offset1:224
	ds_read_b128 v[32:35], v185 offset:6144
	ds_read_b128 v[36:39], v185 offset:6160
	v_mov_b32_e32 v237, 0
	v_mov_b32_e32 v238, 0
	;; [unrolled: 1-line block ×8, first 2 shown]
	s_waitcnt lgkmcnt(1)
	v_dot4c_i32_i8_e32 v237, v126, v32
	s_waitcnt lgkmcnt(0)
	v_dot4c_i32_i8_e32 v238, v130, v36
	v_dot4c_i32_i8_e32 v234, v187, v32
	;; [unrolled: 1-line block ×31, first 2 shown]
	ds_read_b128 v[36:39], v185 offset:7168
	ds_read_b128 v[32:35], v185 offset:7184
	v_mov_b32_e32 v239, 0
	s_add_i32 s19, s19, 2
	s_add_i32 s18, s18, 1
	s_waitcnt lgkmcnt(1)
	v_dot4c_i32_i8_e32 v239, v126, v36
	v_dot4c_i32_i8_e32 v239, v127, v37
	v_mov_b32_e32 v127, 0
	s_waitcnt lgkmcnt(0)
	v_dot4c_i32_i8_e32 v127, v130, v32
	v_dot4c_i32_i8_e32 v239, v128, v38
	;; [unrolled: 1-line block ×6, first 2 shown]
	v_mul_lo_u32 v128, v238, v229
	v_mul_lo_u32 v126, v239, v134
                                        ; kill: def $vgpr129 killed $sgpr0 killed $exec
	v_mul_lo_u32 v132, v138, v229
	v_mad_u64_u32 v[126:127], s[22:23], v127, v229, v[126:127]
	v_mad_u64_u32 v[128:129], s[22:23], v237, v134, v[128:129]
	v_cvt_f32_i32_e32 v127, v128
	v_cvt_f32_i32_e32 v126, v126
	v_mul_lo_u32 v130, v139, v134
	v_mad_u64_u32 v[132:133], s[22:23], v135, v134, v[132:133]
	v_mov_b32_e32 v134, v125
	v_mov_b32_e32 v135, v124
	v_mov_b32_e32 v124, v137
	v_mov_b32_e32 v125, v136
	v_pk_mul_f32 v[136:137], v[116:117], v[124:125] op_sel_hi:[0,1]
	v_mad_u64_u32 v[130:131], s[22:23], v236, v229, v[130:131]
	v_pk_fma_f32 v[14:15], v[136:137], v[126:127], v[14:15]
	v_mov_b32_e32 v127, 0
	v_cvt_f32_i32_e32 v131, v132
	v_cvt_f32_i32_e32 v130, v130
	v_dot4c_i32_i8_e32 v127, v187, v36
	v_dot4c_i32_i8_e32 v127, v188, v37
	v_mov_b32_e32 v129, 0
	v_dot4c_i32_i8_e32 v127, v189, v38
	v_dot4c_i32_i8_e32 v129, v191, v32
	v_pk_mul_f32 v[138:139], v[116:117], v[134:135] op_sel_hi:[0,1]
	v_dot4c_i32_i8_e32 v127, v190, v39
	v_dot4c_i32_i8_e32 v129, v192, v33
	v_pk_fma_f32 v[12:13], v[138:139], v[130:131], v[12:13]
	v_dot4c_i32_i8_e32 v129, v193, v34
	v_mul_lo_u32 v116, v226, v216
	v_mul_lo_u32 v126, v228, v215
	;; [unrolled: 1-line block ×3, first 2 shown]
                                        ; kill: def $vgpr127 killed $sgpr0 killed $exec
	v_dot4c_i32_i8_e32 v129, v194, v35
	v_mul_lo_u32 v128, v235, v216
	v_mad_u64_u32 v[126:127], s[22:23], v227, v216, v[126:127]
	v_mad_u64_u32 v[132:133], s[22:23], v225, v215, v[116:117]
	v_mad_u64_u32 v[130:131], s[22:23], v129, v216, v[130:131]
	v_mad_u64_u32 v[128:129], s[22:23], v234, v215, v[128:129]
	v_cvt_f32_i32_e32 v127, v132
	v_cvt_f32_i32_e32 v126, v126
	;; [unrolled: 1-line block ×4, first 2 shown]
	v_pk_mul_f32 v[136:137], v[118:119], v[134:135] op_sel_hi:[0,1]
	v_mul_lo_u32 v116, v222, v214
	v_pk_mul_f32 v[138:139], v[118:119], v[124:125] op_sel_hi:[0,1]
	v_pk_fma_f32 v[8:9], v[136:137], v[126:127], v[8:9]
	v_mov_b32_e32 v127, 0
	v_mad_u64_u32 v[132:133], s[22:23], v221, v213, v[116:117]
	v_mov_b32_e32 v116, 0
	v_pk_fma_f32 v[10:11], v[138:139], v[128:129], v[10:11]
	v_dot4c_i32_i8_e32 v127, v195, v36
	v_mov_b32_e32 v129, 0
	v_dot4c_i32_i8_e32 v116, v203, v36
	v_dot4c_i32_i8_e32 v127, v196, v37
	;; [unrolled: 1-line block ×4, first 2 shown]
	v_mov_b32_e32 v37, 0
	v_dot4c_i32_i8_e32 v127, v197, v38
	v_dot4c_i32_i8_e32 v129, v200, v33
	;; [unrolled: 1-line block ×8, first 2 shown]
	v_mul_lo_u32 v126, v233, v214
	v_mul_lo_u32 v128, v127, v213
                                        ; kill: def $vgpr127 killed $sgpr0 killed $exec
	v_dot4c_i32_i8_e32 v116, v206, v39
	v_dot4c_i32_i8_e32 v37, v209, v34
	v_mul_lo_u32 v118, v224, v213
	v_mad_u64_u32 v[128:129], s[22:23], v129, v214, v[128:129]
	v_mad_u64_u32 v[126:127], s[22:23], v232, v213, v[126:127]
	v_dot4c_i32_i8_e32 v37, v210, v35
	v_mul_lo_u32 v32, v218, v212
	v_mul_lo_u32 v34, v220, v211
	;; [unrolled: 1-line block ×4, first 2 shown]
                                        ; kill: def $vgpr33 killed $sgpr0 killed $exec
	v_mad_u64_u32 v[130:131], s[22:23], v223, v214, v[118:119]
	v_cvt_f32_i32_e32 v127, v126
	v_cvt_f32_i32_e32 v126, v128
	v_mad_u64_u32 v[38:39], s[22:23], v37, v212, v[38:39]
	v_mad_u64_u32 v[36:37], s[22:23], v230, v211, v[36:37]
	;; [unrolled: 1-line block ×4, first 2 shown]
	v_cvt_f32_i32_e32 v131, v132
	v_cvt_f32_i32_e32 v130, v130
	;; [unrolled: 1-line block ×6, first 2 shown]
	v_pk_mul_f32 v[138:139], v[120:121], v[124:125] op_sel_hi:[0,1]
	v_pk_mul_f32 v[136:137], v[120:121], v[134:135] op_sel_hi:[0,1]
	v_pk_fma_f32 v[6:7], v[138:139], v[126:127], v[6:7]
	v_pk_mul_f32 v[126:127], v[122:123], v[134:135] op_sel_hi:[0,1]
	v_pk_mul_f32 v[124:125], v[122:123], v[124:125] op_sel_hi:[0,1]
	v_pk_fma_f32 v[4:5], v[136:137], v[130:131], v[4:5]
	v_pk_fma_f32 v[2:3], v[124:125], v[34:35], v[2:3]
	;; [unrolled: 1-line block ×3, first 2 shown]
	v_add_u32_e32 v186, 4, v186
	v_add_u32_e32 v185, 32, v185
	s_cmp_lt_u32 s20, 14
	s_mov_b32 s22, s20
	s_cbranch_scc1 .LBB129_9
; %bb.10:                               ;   in Loop: Header=BB129_6 Depth=1
	s_or_b32 s18, s4, 1
	s_cmp_ge_i32 s18, s5
	s_barrier
	s_cbranch_scc1 .LBB129_5
; %bb.11:                               ;   in Loop: Header=BB129_6 Depth=1
	v_add_u32_e32 v116, s17, v150
	v_add_u32_e32 v118, v116, v105
	v_mad_i64_i32 v[124:125], s[18:19], v118, 36, v[76:77]
	v_add_u32_e32 v118, v116, v107
	v_add_u32_e32 v32, v116, v97
	;; [unrolled: 1-line block ×5, first 2 shown]
	v_mad_i64_i32 v[126:127], s[18:19], v118, 36, v[76:77]
	v_add_u32_e32 v118, v116, v109
	v_add_u32_e32 v116, v116, v111
	v_mad_i64_i32 v[130:131], s[18:19], v116, 36, v[76:77]
	v_add_u32_e32 v116, 8, v184
	v_mad_i64_i32 v[32:33], s[18:19], v32, 36, v[76:77]
	v_mad_i64_i32 v[34:35], s[18:19], v34, 36, v[76:77]
	;; [unrolled: 1-line block ×4, first 2 shown]
	v_mad_u64_u32 v[132:133], s[18:19], v116, 36, s[2:3]
	v_mad_i64_i32 v[128:129], s[18:19], v118, 36, v[76:77]
	global_load_dword v116, v[132:133], off
	s_nop 0
	global_load_dword v32, v[32:33], off offset:4
	s_nop 0
	global_load_dword v33, v[34:35], off offset:4
	;; [unrolled: 2-line block ×3, first 2 shown]
	global_load_dword v35, v[38:39], off offset:4
	s_nop 0
	global_load_dword v36, v[124:125], off offset:4
	global_load_dword v37, v[126:127], off offset:4
	global_load_dword v38, v[128:129], off offset:4
	global_load_dword v39, v[130:131], off offset:4
	s_mov_b32 s18, 16
	s_mov_b32 s22, 14
	;; [unrolled: 1-line block ×3, first 2 shown]
	v_mov_b32_e32 v185, v162
	v_mov_b32_e32 v186, v160
	s_waitcnt vmcnt(8)
	v_cvt_f32_f16_e32 v116, v116
	s_waitcnt vmcnt(7)
	ds_write_b32 v167, v32
	s_waitcnt vmcnt(6)
	ds_write_b32 v168, v33
	;; [unrolled: 2-line block ×8, first 2 shown]
	ds_write_b32 v75, v116
	s_waitcnt lgkmcnt(0)
	s_barrier
.LBB129_12:                             ;   Parent Loop BB129_6 Depth=1
                                        ; =>  This Inner Loop Header: Depth=2
	s_add_i32 s20, s22, 2
	s_lshr_b32 s25, s20, 4
	s_and_b32 s23, s20, 0x3ffffff8
	v_lshl_add_u32 v122, s23, 2, v113
	s_lshl_b32 s23, s25, 5
	s_addk_i32 s23, 0x4200
	v_add3_u32 v120, s23, v175, v115
	v_add3_u32 v210, s23, v182, v146
	ds_read2_b32 v[124:125], v186 offset1:32
	ds_read_b128 v[36:39], v185
	ds_read_b128 v[32:35], v185 offset:16
	ds_read2_b32 v[126:127], v122 offset1:1
	ds_read2_b32 v[218:219], v210 offset0:6 offset1:7
	ds_read2_b32 v[128:129], v120 offset1:1
	s_add_i32 s21, s22, -14
	s_and_b32 s24, s18, -16
	s_waitcnt lgkmcnt(2)
	v_ashrrev_i32_e32 v116, s21, v126
	v_bfe_u32 v118, v116, 24, 2
	s_waitcnt lgkmcnt(0)
	v_ashrrev_i32_e32 v126, s19, v128
	v_lshlrev_b32_e32 v126, 2, v126
	v_and_b32_e32 v116, 0x3030303, v116
	v_and_b32_e32 v126, 0x4040404, v126
	v_sub_u16_e32 v128, v116, v126
	v_sub_u16_sdwa v130, v116, v126 dst_sel:BYTE_1 dst_unused:UNUSED_PAD src0_sel:BYTE_1 src1_sel:BYTE_1
	v_sub_u16_sdwa v116, v116, v126 dst_sel:DWORD dst_unused:UNUSED_PAD src0_sel:WORD_1 src1_sel:WORD_1
	v_sub_u16_sdwa v118, v118, v126 dst_sel:BYTE_1 dst_unused:UNUSED_PAD src0_sel:DWORD src1_sel:BYTE_3
	v_bitop3_b16 v128, v128, v130, s9 bitop3:0xec
	v_bitop3_b16 v116, v116, v118, s9 bitop3:0xec
	v_lshlrev_b32_e32 v116, 16, v116
	v_or_b32_sdwa v126, v128, v116 dst_sel:DWORD dst_unused:UNUSED_PAD src0_sel:WORD_0 src1_sel:DWORD
	v_ashrrev_i32_e32 v116, s21, v127
	v_ashrrev_i32_e32 v127, s19, v129
	v_lshlrev_b32_e32 v127, 2, v127
	v_bfe_u32 v118, v116, 24, 2
	v_and_b32_e32 v116, 0x3030303, v116
	v_and_b32_e32 v127, 0x4040404, v127
	v_sub_u16_e32 v128, v116, v127
	v_sub_u16_sdwa v129, v116, v127 dst_sel:BYTE_1 dst_unused:UNUSED_PAD src0_sel:BYTE_1 src1_sel:BYTE_1
	v_sub_u16_sdwa v116, v116, v127 dst_sel:DWORD dst_unused:UNUSED_PAD src0_sel:WORD_1 src1_sel:WORD_1
	v_sub_u16_sdwa v118, v118, v127 dst_sel:BYTE_1 dst_unused:UNUSED_PAD src0_sel:DWORD src1_sel:BYTE_3
	v_bitop3_b16 v128, v128, v129, s9 bitop3:0xec
	v_bitop3_b16 v116, v116, v118, s9 bitop3:0xec
	v_lshlrev_b32_e32 v116, 16, v116
	v_or_b32_sdwa v127, v128, v116 dst_sel:DWORD dst_unused:UNUSED_PAD src0_sel:WORD_0 src1_sel:DWORD
	ds_read2_b32 v[128:129], v122 offset0:2 offset1:3
	ds_read2_b32 v[130:131], v120 offset0:2 offset1:3
	s_add_i32 s22, s22, s24
	s_lshl_b32 s24, s25, 2
	s_add_i32 s24, s24, 0x9380
	s_waitcnt lgkmcnt(1)
	v_ashrrev_i32_e32 v116, s21, v128
	s_waitcnt lgkmcnt(0)
	v_ashrrev_i32_e32 v128, s19, v130
	v_lshlrev_b32_e32 v128, 2, v128
	v_bfe_u32 v118, v116, 24, 2
	v_and_b32_e32 v116, 0x3030303, v116
	v_and_b32_e32 v128, 0x4040404, v128
	v_sub_u16_e32 v130, v116, v128
	v_sub_u16_sdwa v132, v116, v128 dst_sel:BYTE_1 dst_unused:UNUSED_PAD src0_sel:BYTE_1 src1_sel:BYTE_1
	v_sub_u16_sdwa v116, v116, v128 dst_sel:DWORD dst_unused:UNUSED_PAD src0_sel:WORD_1 src1_sel:WORD_1
	v_sub_u16_sdwa v118, v118, v128 dst_sel:BYTE_1 dst_unused:UNUSED_PAD src0_sel:DWORD src1_sel:BYTE_3
	v_bitop3_b16 v130, v130, v132, s9 bitop3:0xec
	v_bitop3_b16 v116, v116, v118, s9 bitop3:0xec
	v_lshlrev_b32_e32 v116, 16, v116
	v_or_b32_sdwa v128, v130, v116 dst_sel:DWORD dst_unused:UNUSED_PAD src0_sel:WORD_0 src1_sel:DWORD
	v_ashrrev_i32_e32 v116, s21, v129
	v_ashrrev_i32_e32 v129, s19, v131
	v_lshlrev_b32_e32 v129, 2, v129
	v_bfe_u32 v118, v116, 24, 2
	v_and_b32_e32 v116, 0x3030303, v116
	v_and_b32_e32 v129, 0x4040404, v129
	v_sub_u16_e32 v130, v116, v129
	v_sub_u16_sdwa v131, v116, v129 dst_sel:BYTE_1 dst_unused:UNUSED_PAD src0_sel:BYTE_1 src1_sel:BYTE_1
	v_sub_u16_sdwa v116, v116, v129 dst_sel:DWORD dst_unused:UNUSED_PAD src0_sel:WORD_1 src1_sel:WORD_1
	v_sub_u16_sdwa v118, v118, v129 dst_sel:BYTE_1 dst_unused:UNUSED_PAD src0_sel:DWORD src1_sel:BYTE_3
	v_bitop3_b16 v130, v130, v131, s9 bitop3:0xec
	v_bitop3_b16 v116, v116, v118, s9 bitop3:0xec
	v_lshlrev_b32_e32 v116, 16, v116
	v_or_b32_sdwa v129, v130, v116 dst_sel:DWORD dst_unused:UNUSED_PAD src0_sel:WORD_0 src1_sel:DWORD
	ds_read2_b32 v[130:131], v122 offset0:4 offset1:5
	ds_read2_b32 v[132:133], v120 offset0:4 offset1:5
	v_add3_u32 v137, s23, v178, v117
	ds_read2_b32 v[188:189], v137 offset1:1
	v_add3_u32 v204, s23, v180, v142
	s_waitcnt lgkmcnt(2)
	v_ashrrev_i32_e32 v116, s21, v130
	s_waitcnt lgkmcnt(1)
	v_ashrrev_i32_e32 v130, s19, v132
	v_lshlrev_b32_e32 v130, 2, v130
	v_bfe_u32 v118, v116, 24, 2
	v_and_b32_e32 v116, 0x3030303, v116
	v_and_b32_e32 v130, 0x4040404, v130
	v_sub_u16_e32 v132, v116, v130
	v_sub_u16_sdwa v134, v116, v130 dst_sel:BYTE_1 dst_unused:UNUSED_PAD src0_sel:BYTE_1 src1_sel:BYTE_1
	v_sub_u16_sdwa v116, v116, v130 dst_sel:DWORD dst_unused:UNUSED_PAD src0_sel:WORD_1 src1_sel:WORD_1
	v_sub_u16_sdwa v118, v118, v130 dst_sel:BYTE_1 dst_unused:UNUSED_PAD src0_sel:DWORD src1_sel:BYTE_3
	v_bitop3_b16 v132, v132, v134, s9 bitop3:0xec
	v_bitop3_b16 v116, v116, v118, s9 bitop3:0xec
	v_lshlrev_b32_e32 v116, 16, v116
	v_or_b32_sdwa v130, v132, v116 dst_sel:DWORD dst_unused:UNUSED_PAD src0_sel:WORD_0 src1_sel:DWORD
	v_ashrrev_i32_e32 v116, s21, v131
	v_ashrrev_i32_e32 v131, s19, v133
	v_lshlrev_b32_e32 v131, 2, v131
	v_bfe_u32 v118, v116, 24, 2
	v_and_b32_e32 v116, 0x3030303, v116
	v_and_b32_e32 v131, 0x4040404, v131
	v_sub_u16_e32 v132, v116, v131
	v_sub_u16_sdwa v133, v116, v131 dst_sel:BYTE_1 dst_unused:UNUSED_PAD src0_sel:BYTE_1 src1_sel:BYTE_1
	v_sub_u16_sdwa v116, v116, v131 dst_sel:DWORD dst_unused:UNUSED_PAD src0_sel:WORD_1 src1_sel:WORD_1
	v_sub_u16_sdwa v118, v118, v131 dst_sel:BYTE_1 dst_unused:UNUSED_PAD src0_sel:DWORD src1_sel:BYTE_3
	v_bitop3_b16 v132, v132, v133, s9 bitop3:0xec
	v_bitop3_b16 v116, v116, v118, s9 bitop3:0xec
	v_lshlrev_b32_e32 v116, 16, v116
	v_or_b32_sdwa v131, v132, v116 dst_sel:DWORD dst_unused:UNUSED_PAD src0_sel:WORD_0 src1_sel:DWORD
	ds_read2_b32 v[132:133], v122 offset0:6 offset1:7
	ds_read2_b32 v[134:135], v120 offset0:6 offset1:7
	;; [unrolled: 1-line block ×4, first 2 shown]
	v_mov_b32_e32 v136, 0
	s_waitcnt lgkmcnt(3)
	v_ashrrev_i32_e32 v116, s21, v132
	s_waitcnt lgkmcnt(2)
	v_ashrrev_i32_e32 v120, s19, v134
	v_lshlrev_b32_e32 v120, 2, v120
	v_bfe_u32 v118, v116, 24, 2
	v_and_b32_e32 v116, 0x3030303, v116
	v_and_b32_e32 v120, 0x4040404, v120
	v_sub_u16_e32 v132, v116, v120
	v_sub_u16_sdwa v134, v116, v120 dst_sel:BYTE_1 dst_unused:UNUSED_PAD src0_sel:BYTE_1 src1_sel:BYTE_1
	v_sub_u16_sdwa v116, v116, v120 dst_sel:DWORD dst_unused:UNUSED_PAD src0_sel:WORD_1 src1_sel:WORD_1
	v_sub_u16_sdwa v118, v118, v120 dst_sel:BYTE_1 dst_unused:UNUSED_PAD src0_sel:DWORD src1_sel:BYTE_3
	v_bitop3_b16 v132, v132, v134, s9 bitop3:0xec
	v_bitop3_b16 v116, v116, v118, s9 bitop3:0xec
	v_lshlrev_b32_e32 v116, 16, v116
	v_ashrrev_i32_e32 v120, s19, v135
	v_or_b32_sdwa v132, v132, v116 dst_sel:DWORD dst_unused:UNUSED_PAD src0_sel:WORD_0 src1_sel:DWORD
	v_ashrrev_i32_e32 v116, s21, v133
	v_lshlrev_b32_e32 v120, 2, v120
	v_bfe_u32 v118, v116, 24, 2
	v_and_b32_e32 v116, 0x3030303, v116
	v_and_b32_e32 v120, 0x4040404, v120
	v_sub_u16_e32 v133, v116, v120
	v_sub_u16_sdwa v134, v116, v120 dst_sel:BYTE_1 dst_unused:UNUSED_PAD src0_sel:BYTE_1 src1_sel:BYTE_1
	v_sub_u16_sdwa v116, v116, v120 dst_sel:DWORD dst_unused:UNUSED_PAD src0_sel:WORD_1 src1_sel:WORD_1
	v_sub_u16_sdwa v118, v118, v120 dst_sel:BYTE_1 dst_unused:UNUSED_PAD src0_sel:DWORD src1_sel:BYTE_3
	v_bitop3_b16 v133, v133, v134, s9 bitop3:0xec
	v_bitop3_b16 v116, v116, v118, s9 bitop3:0xec
	v_lshlrev_b32_e32 v116, 16, v116
	v_or_b32_sdwa v133, v133, v116 dst_sel:DWORD dst_unused:UNUSED_PAD src0_sel:WORD_0 src1_sel:DWORD
	v_add3_u32 v116, s24, v176, v177
	v_add_u32_e32 v118, 0x1080, v122
	ds_read_b32 v116, v116
	ds_read2_b32 v[138:139], v118 offset1:1
	ds_read2_b32 v[194:195], v137 offset0:6 offset1:7
	ds_read2_b32 v[198:199], v204 offset1:1
	v_mov_b32_e32 v135, 0
	v_mov_b32_e32 v212, 0
	s_waitcnt lgkmcnt(2)
	v_ashrrev_i32_e32 v118, s21, v138
	v_ashrrev_i32_e32 v138, s19, v188
	v_lshlrev_b32_e32 v138, 2, v138
	v_bfe_u32 v120, v118, 24, 2
	v_and_b32_e32 v118, 0x3030303, v118
	v_and_b32_e32 v138, 0x4040404, v138
	v_sub_u16_e32 v187, v118, v138
	v_sub_u16_sdwa v188, v118, v138 dst_sel:BYTE_1 dst_unused:UNUSED_PAD src0_sel:BYTE_1 src1_sel:BYTE_1
	v_sub_u16_sdwa v118, v118, v138 dst_sel:DWORD dst_unused:UNUSED_PAD src0_sel:WORD_1 src1_sel:WORD_1
	v_sub_u16_sdwa v120, v120, v138 dst_sel:BYTE_1 dst_unused:UNUSED_PAD src0_sel:DWORD src1_sel:BYTE_3
	v_bitop3_b16 v187, v187, v188, s9 bitop3:0xec
	v_bitop3_b16 v118, v118, v120, s9 bitop3:0xec
	v_lshlrev_b32_e32 v118, 16, v118
	v_ashrrev_i32_e32 v138, s19, v189
	v_or_b32_sdwa v187, v187, v118 dst_sel:DWORD dst_unused:UNUSED_PAD src0_sel:WORD_0 src1_sel:DWORD
	v_ashrrev_i32_e32 v118, s21, v139
	v_lshlrev_b32_e32 v138, 2, v138
	v_bfe_u32 v120, v118, 24, 2
	v_and_b32_e32 v118, 0x3030303, v118
	v_and_b32_e32 v138, 0x4040404, v138
	v_sub_u16_e32 v139, v118, v138
	v_sub_u16_sdwa v188, v118, v138 dst_sel:BYTE_1 dst_unused:UNUSED_PAD src0_sel:BYTE_1 src1_sel:BYTE_1
	v_sub_u16_sdwa v118, v118, v138 dst_sel:DWORD dst_unused:UNUSED_PAD src0_sel:WORD_1 src1_sel:WORD_1
	v_sub_u16_sdwa v120, v120, v138 dst_sel:BYTE_1 dst_unused:UNUSED_PAD src0_sel:DWORD src1_sel:BYTE_3
	v_bitop3_b16 v139, v139, v188, s9 bitop3:0xec
	v_bitop3_b16 v118, v118, v120, s9 bitop3:0xec
	v_lshlrev_b32_e32 v118, 16, v118
	v_or_b32_sdwa v188, v139, v118 dst_sel:DWORD dst_unused:UNUSED_PAD src0_sel:WORD_0 src1_sel:DWORD
	v_add_u32_e32 v118, 0x1088, v122
	ds_read2_b32 v[138:139], v118 offset1:1
	s_waitcnt lgkmcnt(2)
	v_ashrrev_i32_e32 v137, s19, v194
	v_lshlrev_b32_e32 v137, 2, v137
	v_and_b32_e32 v137, 0x4040404, v137
	v_mov_b32_e32 v217, 0
	s_waitcnt lgkmcnt(0)
	v_ashrrev_i32_e32 v118, s21, v138
	v_ashrrev_i32_e32 v138, s19, v190
	v_lshlrev_b32_e32 v138, 2, v138
	v_bfe_u32 v120, v118, 24, 2
	v_and_b32_e32 v118, 0x3030303, v118
	v_and_b32_e32 v138, 0x4040404, v138
	v_sub_u16_e32 v189, v118, v138
	v_sub_u16_sdwa v190, v118, v138 dst_sel:BYTE_1 dst_unused:UNUSED_PAD src0_sel:BYTE_1 src1_sel:BYTE_1
	v_sub_u16_sdwa v118, v118, v138 dst_sel:DWORD dst_unused:UNUSED_PAD src0_sel:WORD_1 src1_sel:WORD_1
	v_sub_u16_sdwa v120, v120, v138 dst_sel:BYTE_1 dst_unused:UNUSED_PAD src0_sel:DWORD src1_sel:BYTE_3
	v_bitop3_b16 v189, v189, v190, s9 bitop3:0xec
	v_bitop3_b16 v118, v118, v120, s9 bitop3:0xec
	v_lshlrev_b32_e32 v118, 16, v118
	v_ashrrev_i32_e32 v138, s19, v191
	v_or_b32_sdwa v189, v189, v118 dst_sel:DWORD dst_unused:UNUSED_PAD src0_sel:WORD_0 src1_sel:DWORD
	v_ashrrev_i32_e32 v118, s21, v139
	v_lshlrev_b32_e32 v138, 2, v138
	v_bfe_u32 v120, v118, 24, 2
	v_and_b32_e32 v118, 0x3030303, v118
	v_and_b32_e32 v138, 0x4040404, v138
	v_sub_u16_e32 v139, v118, v138
	v_sub_u16_sdwa v190, v118, v138 dst_sel:BYTE_1 dst_unused:UNUSED_PAD src0_sel:BYTE_1 src1_sel:BYTE_1
	v_sub_u16_sdwa v118, v118, v138 dst_sel:DWORD dst_unused:UNUSED_PAD src0_sel:WORD_1 src1_sel:WORD_1
	v_sub_u16_sdwa v120, v120, v138 dst_sel:BYTE_1 dst_unused:UNUSED_PAD src0_sel:DWORD src1_sel:BYTE_3
	v_bitop3_b16 v139, v139, v190, s9 bitop3:0xec
	v_bitop3_b16 v118, v118, v120, s9 bitop3:0xec
	v_lshlrev_b32_e32 v118, 16, v118
	v_or_b32_sdwa v190, v139, v118 dst_sel:DWORD dst_unused:UNUSED_PAD src0_sel:WORD_0 src1_sel:DWORD
	v_add_u32_e32 v118, 0x1090, v122
	ds_read2_b32 v[138:139], v118 offset1:1
	v_mov_b32_e32 v228, 0
	v_dot4c_i32_i8_e32 v135, v126, v36
	v_dot4c_i32_i8_e32 v136, v130, v32
	;; [unrolled: 1-line block ×3, first 2 shown]
	s_waitcnt lgkmcnt(0)
	v_ashrrev_i32_e32 v118, s21, v138
	v_ashrrev_i32_e32 v138, s19, v192
	v_lshlrev_b32_e32 v138, 2, v138
	v_bfe_u32 v120, v118, 24, 2
	v_and_b32_e32 v118, 0x3030303, v118
	v_and_b32_e32 v138, 0x4040404, v138
	v_sub_u16_e32 v191, v118, v138
	v_sub_u16_sdwa v192, v118, v138 dst_sel:BYTE_1 dst_unused:UNUSED_PAD src0_sel:BYTE_1 src1_sel:BYTE_1
	v_sub_u16_sdwa v118, v118, v138 dst_sel:DWORD dst_unused:UNUSED_PAD src0_sel:WORD_1 src1_sel:WORD_1
	v_sub_u16_sdwa v120, v120, v138 dst_sel:BYTE_1 dst_unused:UNUSED_PAD src0_sel:DWORD src1_sel:BYTE_3
	v_bitop3_b16 v191, v191, v192, s9 bitop3:0xec
	v_bitop3_b16 v118, v118, v120, s9 bitop3:0xec
	v_lshlrev_b32_e32 v118, 16, v118
	v_ashrrev_i32_e32 v138, s19, v193
	v_or_b32_sdwa v191, v191, v118 dst_sel:DWORD dst_unused:UNUSED_PAD src0_sel:WORD_0 src1_sel:DWORD
	v_ashrrev_i32_e32 v118, s21, v139
	v_lshlrev_b32_e32 v138, 2, v138
	v_bfe_u32 v120, v118, 24, 2
	v_and_b32_e32 v118, 0x3030303, v118
	v_and_b32_e32 v138, 0x4040404, v138
	v_sub_u16_e32 v139, v118, v138
	v_sub_u16_sdwa v192, v118, v138 dst_sel:BYTE_1 dst_unused:UNUSED_PAD src0_sel:BYTE_1 src1_sel:BYTE_1
	v_sub_u16_sdwa v118, v118, v138 dst_sel:DWORD dst_unused:UNUSED_PAD src0_sel:WORD_1 src1_sel:WORD_1
	v_sub_u16_sdwa v120, v120, v138 dst_sel:BYTE_1 dst_unused:UNUSED_PAD src0_sel:DWORD src1_sel:BYTE_3
	v_bitop3_b16 v139, v139, v192, s9 bitop3:0xec
	v_bitop3_b16 v118, v118, v120, s9 bitop3:0xec
	v_lshlrev_b32_e32 v118, 16, v118
	v_or_b32_sdwa v192, v139, v118 dst_sel:DWORD dst_unused:UNUSED_PAD src0_sel:WORD_0 src1_sel:DWORD
	v_add_u32_e32 v118, 0x1098, v122
	ds_read2_b32 v[138:139], v118 offset1:1
	v_dot4c_i32_i8_e32 v136, v131, v33
	v_dot4c_i32_i8_e32 v135, v128, v38
	;; [unrolled: 1-line block ×4, first 2 shown]
	s_waitcnt lgkmcnt(0)
	v_ashrrev_i32_e32 v118, s21, v138
	v_bfe_u32 v120, v118, 24, 2
	v_and_b32_e32 v118, 0x3030303, v118
	v_sub_u16_e32 v138, v118, v137
	v_sub_u16_sdwa v193, v118, v137 dst_sel:BYTE_1 dst_unused:UNUSED_PAD src0_sel:BYTE_1 src1_sel:BYTE_1
	v_sub_u16_sdwa v118, v118, v137 dst_sel:DWORD dst_unused:UNUSED_PAD src0_sel:WORD_1 src1_sel:WORD_1
	v_sub_u16_sdwa v120, v120, v137 dst_sel:BYTE_1 dst_unused:UNUSED_PAD src0_sel:DWORD src1_sel:BYTE_3
	v_bitop3_b16 v138, v138, v193, s9 bitop3:0xec
	v_bitop3_b16 v118, v118, v120, s9 bitop3:0xec
	v_lshlrev_b32_e32 v118, 16, v118
	v_ashrrev_i32_e32 v137, s19, v195
	v_or_b32_sdwa v193, v138, v118 dst_sel:DWORD dst_unused:UNUSED_PAD src0_sel:WORD_0 src1_sel:DWORD
	v_ashrrev_i32_e32 v118, s21, v139
	v_lshlrev_b32_e32 v137, 2, v137
	v_bfe_u32 v120, v118, 24, 2
	v_and_b32_e32 v118, 0x3030303, v118
	v_and_b32_e32 v137, 0x4040404, v137
	v_sub_u16_e32 v138, v118, v137
	v_sub_u16_sdwa v139, v118, v137 dst_sel:BYTE_1 dst_unused:UNUSED_PAD src0_sel:BYTE_1 src1_sel:BYTE_1
	v_sub_u16_sdwa v118, v118, v137 dst_sel:DWORD dst_unused:UNUSED_PAD src0_sel:WORD_1 src1_sel:WORD_1
	v_sub_u16_sdwa v120, v120, v137 dst_sel:BYTE_1 dst_unused:UNUSED_PAD src0_sel:DWORD src1_sel:BYTE_3
	v_bitop3_b16 v138, v138, v139, s9 bitop3:0xec
	v_bitop3_b16 v118, v118, v120, s9 bitop3:0xec
	v_lshlrev_b32_e32 v118, 16, v118
	v_or_b32_sdwa v194, v138, v118 dst_sel:DWORD dst_unused:UNUSED_PAD src0_sel:WORD_0 src1_sel:DWORD
	v_add3_u32 v118, s24, v179, v119
	v_add_u32_e32 v120, 0x2100, v122
	ds_read_b32 v118, v118
	ds_read2_b32 v[196:197], v120 offset1:1
	v_mov_b32_e32 v138, 0
	v_mov_b32_e32 v139, 0
	v_dot4c_i32_i8_e32 v138, v187, v36
	v_dot4c_i32_i8_e32 v139, v191, v32
	s_waitcnt lgkmcnt(0)
	v_ashrrev_i32_e32 v120, s21, v196
	v_ashrrev_i32_e32 v196, s19, v198
	v_lshlrev_b32_e32 v196, 2, v196
	v_bfe_u32 v195, v120, 24, 2
	v_and_b32_e32 v120, 0x3030303, v120
	v_and_b32_e32 v196, 0x4040404, v196
	v_sub_u16_e32 v198, v120, v196
	v_sub_u16_sdwa v200, v120, v196 dst_sel:BYTE_1 dst_unused:UNUSED_PAD src0_sel:BYTE_1 src1_sel:BYTE_1
	v_sub_u16_sdwa v120, v120, v196 dst_sel:DWORD dst_unused:UNUSED_PAD src0_sel:WORD_1 src1_sel:WORD_1
	v_sub_u16_sdwa v195, v195, v196 dst_sel:BYTE_1 dst_unused:UNUSED_PAD src0_sel:DWORD src1_sel:BYTE_3
	v_bitop3_b16 v198, v198, v200, s9 bitop3:0xec
	v_bitop3_b16 v120, v120, v195, s9 bitop3:0xec
	v_lshlrev_b32_e32 v120, 16, v120
	v_or_b32_sdwa v195, v198, v120 dst_sel:DWORD dst_unused:UNUSED_PAD src0_sel:WORD_0 src1_sel:DWORD
	v_ashrrev_i32_e32 v120, s21, v197
	v_ashrrev_i32_e32 v197, s19, v199
	v_lshlrev_b32_e32 v197, 2, v197
	v_bfe_u32 v196, v120, 24, 2
	v_and_b32_e32 v120, 0x3030303, v120
	v_and_b32_e32 v197, 0x4040404, v197
	v_sub_u16_e32 v198, v120, v197
	v_sub_u16_sdwa v199, v120, v197 dst_sel:BYTE_1 dst_unused:UNUSED_PAD src0_sel:BYTE_1 src1_sel:BYTE_1
	v_sub_u16_sdwa v120, v120, v197 dst_sel:DWORD dst_unused:UNUSED_PAD src0_sel:WORD_1 src1_sel:WORD_1
	v_sub_u16_sdwa v196, v196, v197 dst_sel:BYTE_1 dst_unused:UNUSED_PAD src0_sel:DWORD src1_sel:BYTE_3
	v_bitop3_b16 v198, v198, v199, s9 bitop3:0xec
	v_bitop3_b16 v120, v120, v196, s9 bitop3:0xec
	v_lshlrev_b32_e32 v120, 16, v120
	v_or_b32_sdwa v196, v198, v120 dst_sel:DWORD dst_unused:UNUSED_PAD src0_sel:WORD_0 src1_sel:DWORD
	v_add_u32_e32 v120, 0x2108, v122
	ds_read2_b32 v[198:199], v120 offset1:1
	ds_read2_b32 v[200:201], v204 offset0:2 offset1:3
	v_dot4c_i32_i8_e32 v212, v195, v36
	v_dot4c_i32_i8_e32 v138, v188, v37
	v_dot4c_i32_i8_e32 v139, v192, v33
	s_waitcnt lgkmcnt(1)
	v_ashrrev_i32_e32 v120, s21, v198
	s_waitcnt lgkmcnt(0)
	v_ashrrev_i32_e32 v198, s19, v200
	v_lshlrev_b32_e32 v198, 2, v198
	v_bfe_u32 v197, v120, 24, 2
	v_and_b32_e32 v120, 0x3030303, v120
	v_and_b32_e32 v198, 0x4040404, v198
	v_sub_u16_e32 v200, v120, v198
	v_sub_u16_sdwa v202, v120, v198 dst_sel:BYTE_1 dst_unused:UNUSED_PAD src0_sel:BYTE_1 src1_sel:BYTE_1
	v_sub_u16_sdwa v120, v120, v198 dst_sel:DWORD dst_unused:UNUSED_PAD src0_sel:WORD_1 src1_sel:WORD_1
	v_sub_u16_sdwa v197, v197, v198 dst_sel:BYTE_1 dst_unused:UNUSED_PAD src0_sel:DWORD src1_sel:BYTE_3
	v_bitop3_b16 v200, v200, v202, s9 bitop3:0xec
	v_bitop3_b16 v120, v120, v197, s9 bitop3:0xec
	v_lshlrev_b32_e32 v120, 16, v120
	v_or_b32_sdwa v197, v200, v120 dst_sel:DWORD dst_unused:UNUSED_PAD src0_sel:WORD_0 src1_sel:DWORD
	v_ashrrev_i32_e32 v120, s21, v199
	v_ashrrev_i32_e32 v199, s19, v201
	v_lshlrev_b32_e32 v199, 2, v199
	v_bfe_u32 v198, v120, 24, 2
	v_and_b32_e32 v120, 0x3030303, v120
	v_and_b32_e32 v199, 0x4040404, v199
	v_sub_u16_e32 v200, v120, v199
	v_sub_u16_sdwa v201, v120, v199 dst_sel:BYTE_1 dst_unused:UNUSED_PAD src0_sel:BYTE_1 src1_sel:BYTE_1
	v_sub_u16_sdwa v120, v120, v199 dst_sel:DWORD dst_unused:UNUSED_PAD src0_sel:WORD_1 src1_sel:WORD_1
	v_sub_u16_sdwa v198, v198, v199 dst_sel:BYTE_1 dst_unused:UNUSED_PAD src0_sel:DWORD src1_sel:BYTE_3
	v_bitop3_b16 v200, v200, v201, s9 bitop3:0xec
	v_bitop3_b16 v120, v120, v198, s9 bitop3:0xec
	v_lshlrev_b32_e32 v120, 16, v120
	v_or_b32_sdwa v198, v200, v120 dst_sel:DWORD dst_unused:UNUSED_PAD src0_sel:WORD_0 src1_sel:DWORD
	v_add_u32_e32 v120, 0x2110, v122
	ds_read2_b32 v[200:201], v120 offset1:1
	ds_read2_b32 v[202:203], v204 offset0:4 offset1:5
	v_dot4c_i32_i8_e32 v212, v196, v37
	v_dot4c_i32_i8_e32 v138, v189, v38
	v_dot4c_i32_i8_e32 v139, v193, v34
	s_waitcnt lgkmcnt(1)
	v_ashrrev_i32_e32 v120, s21, v200
	s_waitcnt lgkmcnt(0)
	;; [unrolled: 36-line block ×3, first 2 shown]
	v_ashrrev_i32_e32 v202, s19, v204
	v_lshlrev_b32_e32 v202, 2, v202
	v_bfe_u32 v201, v120, 24, 2
	v_and_b32_e32 v120, 0x3030303, v120
	v_and_b32_e32 v202, 0x4040404, v202
	v_sub_u16_e32 v204, v120, v202
	v_sub_u16_sdwa v206, v120, v202 dst_sel:BYTE_1 dst_unused:UNUSED_PAD src0_sel:BYTE_1 src1_sel:BYTE_1
	v_sub_u16_sdwa v120, v120, v202 dst_sel:DWORD dst_unused:UNUSED_PAD src0_sel:WORD_1 src1_sel:WORD_1
	v_sub_u16_sdwa v201, v201, v202 dst_sel:BYTE_1 dst_unused:UNUSED_PAD src0_sel:DWORD src1_sel:BYTE_3
	v_bitop3_b16 v204, v204, v206, s9 bitop3:0xec
	v_bitop3_b16 v120, v120, v201, s9 bitop3:0xec
	v_lshlrev_b32_e32 v120, 16, v120
	v_or_b32_sdwa v201, v204, v120 dst_sel:DWORD dst_unused:UNUSED_PAD src0_sel:WORD_0 src1_sel:DWORD
	v_ashrrev_i32_e32 v120, s21, v203
	v_ashrrev_i32_e32 v203, s19, v205
	v_lshlrev_b32_e32 v203, 2, v203
	v_bfe_u32 v202, v120, 24, 2
	v_and_b32_e32 v120, 0x3030303, v120
	v_and_b32_e32 v203, 0x4040404, v203
	v_sub_u16_e32 v204, v120, v203
	v_sub_u16_sdwa v205, v120, v203 dst_sel:BYTE_1 dst_unused:UNUSED_PAD src0_sel:BYTE_1 src1_sel:BYTE_1
	v_sub_u16_sdwa v120, v120, v203 dst_sel:DWORD dst_unused:UNUSED_PAD src0_sel:WORD_1 src1_sel:WORD_1
	v_sub_u16_sdwa v202, v202, v203 dst_sel:BYTE_1 dst_unused:UNUSED_PAD src0_sel:DWORD src1_sel:BYTE_3
	v_bitop3_b16 v204, v204, v205, s9 bitop3:0xec
	v_bitop3_b16 v120, v120, v202, s9 bitop3:0xec
	v_lshlrev_b32_e32 v120, 16, v120
	v_add_u32_e32 v203, 0x3180, v122
	v_or_b32_sdwa v202, v204, v120 dst_sel:DWORD dst_unused:UNUSED_PAD src0_sel:WORD_0 src1_sel:DWORD
	ds_read2_b32 v[204:205], v203 offset1:1
	ds_read2_b32 v[206:207], v210 offset1:1
	v_add3_u32 v120, s24, v181, v144
	ds_read_b32 v120, v120
	v_dot4c_i32_i8_e32 v217, v201, v34
	s_waitcnt lgkmcnt(2)
	v_ashrrev_i32_e32 v203, s21, v204
	s_waitcnt lgkmcnt(1)
	v_ashrrev_i32_e32 v206, s19, v206
	v_lshlrev_b32_e32 v206, 2, v206
	v_bfe_u32 v204, v203, 24, 2
	v_and_b32_e32 v203, 0x3030303, v203
	v_and_b32_e32 v206, 0x4040404, v206
	v_sub_u16_e32 v208, v203, v206
	v_sub_u16_sdwa v209, v203, v206 dst_sel:BYTE_1 dst_unused:UNUSED_PAD src0_sel:BYTE_1 src1_sel:BYTE_1
	v_sub_u16_sdwa v203, v203, v206 dst_sel:DWORD dst_unused:UNUSED_PAD src0_sel:WORD_1 src1_sel:WORD_1
	v_sub_u16_sdwa v204, v204, v206 dst_sel:BYTE_1 dst_unused:UNUSED_PAD src0_sel:DWORD src1_sel:BYTE_3
	v_ashrrev_i32_e32 v206, s19, v207
	v_bitop3_b16 v203, v203, v204, s9 bitop3:0xec
	v_ashrrev_i32_e32 v204, s21, v205
	v_lshlrev_b32_e32 v206, 2, v206
	v_bitop3_b16 v208, v208, v209, s9 bitop3:0xec
	v_lshlrev_b32_e32 v203, 16, v203
	v_bfe_u32 v205, v204, 24, 2
	v_and_b32_e32 v204, 0x3030303, v204
	v_and_b32_e32 v206, 0x4040404, v206
	v_or_b32_sdwa v203, v208, v203 dst_sel:DWORD dst_unused:UNUSED_PAD src0_sel:WORD_0 src1_sel:DWORD
	v_sub_u16_e32 v207, v204, v206
	v_sub_u16_sdwa v208, v204, v206 dst_sel:BYTE_1 dst_unused:UNUSED_PAD src0_sel:BYTE_1 src1_sel:BYTE_1
	v_sub_u16_sdwa v204, v204, v206 dst_sel:DWORD dst_unused:UNUSED_PAD src0_sel:WORD_1 src1_sel:WORD_1
	v_sub_u16_sdwa v205, v205, v206 dst_sel:BYTE_1 dst_unused:UNUSED_PAD src0_sel:DWORD src1_sel:BYTE_3
	v_bitop3_b16 v207, v207, v208, s9 bitop3:0xec
	v_bitop3_b16 v204, v204, v205, s9 bitop3:0xec
	v_lshlrev_b32_e32 v204, 16, v204
	v_add_u32_e32 v205, 0x3188, v122
	v_or_b32_sdwa v204, v207, v204 dst_sel:DWORD dst_unused:UNUSED_PAD src0_sel:WORD_0 src1_sel:DWORD
	ds_read2_b32 v[206:207], v205 offset1:1
	ds_read2_b32 v[208:209], v210 offset0:2 offset1:3
	v_dot4c_i32_i8_e32 v136, v133, v35
	v_dot4c_i32_i8_e32 v138, v190, v39
	v_dot4c_i32_i8_e32 v139, v194, v35
	s_waitcnt lgkmcnt(1)
	v_ashrrev_i32_e32 v205, s21, v206
	s_waitcnt lgkmcnt(0)
	v_ashrrev_i32_e32 v208, s19, v208
	v_lshlrev_b32_e32 v208, 2, v208
	v_bfe_u32 v206, v205, 24, 2
	v_and_b32_e32 v205, 0x3030303, v205
	v_and_b32_e32 v208, 0x4040404, v208
	v_sub_u16_e32 v213, v205, v208
	v_sub_u16_sdwa v214, v205, v208 dst_sel:BYTE_1 dst_unused:UNUSED_PAD src0_sel:BYTE_1 src1_sel:BYTE_1
	v_sub_u16_sdwa v205, v205, v208 dst_sel:DWORD dst_unused:UNUSED_PAD src0_sel:WORD_1 src1_sel:WORD_1
	v_sub_u16_sdwa v206, v206, v208 dst_sel:BYTE_1 dst_unused:UNUSED_PAD src0_sel:DWORD src1_sel:BYTE_3
	v_ashrrev_i32_e32 v208, s19, v209
	v_bitop3_b16 v205, v205, v206, s9 bitop3:0xec
	v_ashrrev_i32_e32 v206, s21, v207
	v_lshlrev_b32_e32 v208, 2, v208
	v_bitop3_b16 v213, v213, v214, s9 bitop3:0xec
	v_lshlrev_b32_e32 v205, 16, v205
	v_bfe_u32 v207, v206, 24, 2
	v_and_b32_e32 v206, 0x3030303, v206
	v_and_b32_e32 v208, 0x4040404, v208
	v_or_b32_sdwa v205, v213, v205 dst_sel:DWORD dst_unused:UNUSED_PAD src0_sel:WORD_0 src1_sel:DWORD
	v_sub_u16_e32 v209, v206, v208
	v_sub_u16_sdwa v213, v206, v208 dst_sel:BYTE_1 dst_unused:UNUSED_PAD src0_sel:BYTE_1 src1_sel:BYTE_1
	v_sub_u16_sdwa v206, v206, v208 dst_sel:DWORD dst_unused:UNUSED_PAD src0_sel:WORD_1 src1_sel:WORD_1
	v_sub_u16_sdwa v207, v207, v208 dst_sel:BYTE_1 dst_unused:UNUSED_PAD src0_sel:DWORD src1_sel:BYTE_3
	v_bitop3_b16 v209, v209, v213, s9 bitop3:0xec
	v_bitop3_b16 v206, v206, v207, s9 bitop3:0xec
	v_lshlrev_b32_e32 v206, 16, v206
	v_add_u32_e32 v207, 0x3190, v122
	v_or_b32_sdwa v206, v209, v206 dst_sel:DWORD dst_unused:UNUSED_PAD src0_sel:WORD_0 src1_sel:DWORD
	ds_read2_b32 v[208:209], v207 offset1:1
	ds_read2_b32 v[214:215], v210 offset0:4 offset1:5
	v_add_u32_e32 v122, 0x3198, v122
	v_ashrrev_i32_e32 v210, s19, v218
	v_lshlrev_b32_e32 v210, 2, v210
	s_waitcnt lgkmcnt(1)
	v_ashrrev_i32_e32 v207, s21, v208
	s_waitcnt lgkmcnt(0)
	v_ashrrev_i32_e32 v213, s19, v214
	v_lshlrev_b32_e32 v213, 2, v213
	v_bfe_u32 v208, v207, 24, 2
	v_and_b32_e32 v207, 0x3030303, v207
	v_and_b32_e32 v213, 0x4040404, v213
	v_sub_u16_e32 v214, v207, v213
	v_sub_u16_sdwa v216, v207, v213 dst_sel:BYTE_1 dst_unused:UNUSED_PAD src0_sel:BYTE_1 src1_sel:BYTE_1
	v_sub_u16_sdwa v207, v207, v213 dst_sel:DWORD dst_unused:UNUSED_PAD src0_sel:WORD_1 src1_sel:WORD_1
	v_sub_u16_sdwa v208, v208, v213 dst_sel:BYTE_1 dst_unused:UNUSED_PAD src0_sel:DWORD src1_sel:BYTE_3
	v_ashrrev_i32_e32 v213, s19, v215
	v_bitop3_b16 v207, v207, v208, s9 bitop3:0xec
	v_ashrrev_i32_e32 v208, s21, v209
	v_lshlrev_b32_e32 v213, 2, v213
	v_bitop3_b16 v214, v214, v216, s9 bitop3:0xec
	v_lshlrev_b32_e32 v207, 16, v207
	v_bfe_u32 v209, v208, 24, 2
	v_and_b32_e32 v208, 0x3030303, v208
	v_and_b32_e32 v213, 0x4040404, v213
	v_or_b32_sdwa v207, v214, v207 dst_sel:DWORD dst_unused:UNUSED_PAD src0_sel:WORD_0 src1_sel:DWORD
	v_sub_u16_e32 v214, v208, v213
	v_sub_u16_sdwa v215, v208, v213 dst_sel:BYTE_1 dst_unused:UNUSED_PAD src0_sel:BYTE_1 src1_sel:BYTE_1
	v_sub_u16_sdwa v208, v208, v213 dst_sel:DWORD dst_unused:UNUSED_PAD src0_sel:WORD_1 src1_sel:WORD_1
	v_sub_u16_sdwa v209, v209, v213 dst_sel:BYTE_1 dst_unused:UNUSED_PAD src0_sel:DWORD src1_sel:BYTE_3
	v_bitop3_b16 v214, v214, v215, s9 bitop3:0xec
	v_bitop3_b16 v208, v208, v209, s9 bitop3:0xec
	v_lshlrev_b32_e32 v208, 16, v208
	v_or_b32_sdwa v208, v214, v208 dst_sel:DWORD dst_unused:UNUSED_PAD src0_sel:WORD_0 src1_sel:DWORD
	ds_read2_b32 v[214:215], v122 offset1:1
	v_and_b32_e32 v210, 0x4040404, v210
	v_dot4c_i32_i8_e32 v228, v207, v32
	v_dot4c_i32_i8_e32 v228, v208, v33
	;; [unrolled: 1-line block ×3, first 2 shown]
	s_waitcnt lgkmcnt(0)
	v_ashrrev_i32_e32 v122, s21, v214
	v_bfe_u32 v209, v122, 24, 2
	v_and_b32_e32 v122, 0x3030303, v122
	v_sub_u16_e32 v213, v122, v210
	v_sub_u16_sdwa v214, v122, v210 dst_sel:BYTE_1 dst_unused:UNUSED_PAD src0_sel:BYTE_1 src1_sel:BYTE_1
	v_sub_u16_sdwa v122, v122, v210 dst_sel:DWORD dst_unused:UNUSED_PAD src0_sel:WORD_1 src1_sel:WORD_1
	v_sub_u16_sdwa v209, v209, v210 dst_sel:BYTE_1 dst_unused:UNUSED_PAD src0_sel:DWORD src1_sel:BYTE_3
	v_bitop3_b16 v213, v213, v214, s9 bitop3:0xec
	v_bitop3_b16 v122, v122, v209, s9 bitop3:0xec
	v_lshlrev_b32_e32 v122, 16, v122
	v_or_b32_sdwa v209, v213, v122 dst_sel:DWORD dst_unused:UNUSED_PAD src0_sel:WORD_0 src1_sel:DWORD
	v_ashrrev_i32_e32 v213, s19, v219
	v_ashrrev_i32_e32 v122, s21, v215
	v_lshlrev_b32_e32 v213, 2, v213
	v_bfe_u32 v210, v122, 24, 2
	v_and_b32_e32 v122, 0x3030303, v122
	v_and_b32_e32 v213, 0x4040404, v213
	v_sub_u16_e32 v214, v122, v213
	v_sub_u16_sdwa v215, v122, v213 dst_sel:BYTE_1 dst_unused:UNUSED_PAD src0_sel:BYTE_1 src1_sel:BYTE_1
	v_sub_u16_sdwa v122, v122, v213 dst_sel:DWORD dst_unused:UNUSED_PAD src0_sel:WORD_1 src1_sel:WORD_1
	v_sub_u16_sdwa v210, v210, v213 dst_sel:BYTE_1 dst_unused:UNUSED_PAD src0_sel:DWORD src1_sel:BYTE_3
	v_mov_b32_e32 v219, 0
	v_bitop3_b16 v122, v122, v210, s9 bitop3:0xec
	v_dot4c_i32_i8_e32 v219, v203, v36
	v_bitop3_b16 v214, v214, v215, s9 bitop3:0xec
	v_lshlrev_b32_e32 v122, 16, v122
	v_dot4c_i32_i8_e32 v219, v204, v37
	v_or_b32_sdwa v210, v214, v122 dst_sel:DWORD dst_unused:UNUSED_PAD src0_sel:WORD_0 src1_sel:DWORD
	v_add3_u32 v122, s24, v183, v148
	v_dot4c_i32_i8_e32 v219, v205, v38
	v_dot4c_i32_i8_e32 v228, v209, v34
	;; [unrolled: 1-line block ×3, first 2 shown]
	ds_read_b32 v122, v122
	v_dot4c_i32_i8_e32 v219, v206, v39
	v_dot4c_i32_i8_e32 v228, v210, v35
	ds_read_b128 v[32:35], v185 offset:1024
	ds_read_b128 v[36:39], v185 offset:1040
	v_mov_b32_e32 v213, 0
	v_mov_b32_e32 v224, 0
	;; [unrolled: 1-line block ×8, first 2 shown]
	s_waitcnt lgkmcnt(1)
	v_dot4c_i32_i8_e32 v213, v126, v32
	s_waitcnt lgkmcnt(0)
	v_dot4c_i32_i8_e32 v224, v130, v36
	v_dot4c_i32_i8_e32 v234, v187, v32
	;; [unrolled: 1-line block ×31, first 2 shown]
	ds_read2_b32 v[214:215], v186 offset0:64 offset1:96
	ds_read_b128 v[32:35], v185 offset:2048
	ds_read_b128 v[36:39], v185 offset:2064
	v_mov_b32_e32 v221, 0
	v_mov_b32_e32 v220, 0
	;; [unrolled: 1-line block ×8, first 2 shown]
	s_waitcnt lgkmcnt(1)
	v_dot4c_i32_i8_e32 v221, v126, v32
	s_waitcnt lgkmcnt(0)
	v_dot4c_i32_i8_e32 v220, v130, v36
	v_dot4c_i32_i8_e32 v240, v187, v32
	;; [unrolled: 1-line block ×15, first 2 shown]
	v_add_u32_e32 v134, s22, v121
	v_dot4c_i32_i8_e32 v221, v128, v34
	v_dot4c_i32_i8_e32 v220, v132, v38
	;; [unrolled: 1-line block ×16, first 2 shown]
	ds_read_b128 v[32:35], v185 offset:3072
	ds_read_b128 v[36:39], v185 offset:3088
	ds_read_u16 v134, v134 offset:33522
	v_add_u32_e32 v137, s22, v123
	v_add_u32_e32 v211, s22, v140
	;; [unrolled: 1-line block ×3, first 2 shown]
	v_mov_b32_e32 v222, 0
	s_waitcnt lgkmcnt(0)
	v_lshrrev_b16_e32 v216, 8, v134
	v_bfe_i32 v134, v134, 0, 8
	v_bfe_i32 v229, v216, 0, 8
	v_mul_lo_u32 v136, v136, v229
	v_mul_lo_u32 v216, v213, v134
	v_mad_u64_u32 v[224:225], s[22:23], v224, v229, v[216:217]
	v_mad_u64_u32 v[226:227], s[22:23], v135, v134, v[136:137]
	v_dot4c_i32_i8_e32 v222, v126, v32
	v_mov_b32_e32 v223, 0
	v_cvt_f32_i32_e32 v225, v226
	v_cvt_f32_i32_e32 v224, v224
	v_dot4c_i32_i8_e32 v222, v127, v33
	v_dot4c_i32_i8_e32 v223, v130, v36
	;; [unrolled: 1-line block ×4, first 2 shown]
	v_mov_b32_e32 v230, v125
	v_mov_b32_e32 v231, v124
	v_dot4c_i32_i8_e32 v222, v129, v35
	v_dot4c_i32_i8_e32 v223, v132, v38
	v_pk_mul_f32 v[124:125], v[116:117], v[230:231] op_sel_hi:[0,1]
	v_dot4c_i32_i8_e32 v223, v133, v39
	v_mul_lo_u32 v220, v220, v229
	v_mul_lo_u32 v222, v222, v134
	v_pk_fma_f32 v[16:17], v[124:125], v[224:225], v[16:17]
	ds_read_u16 v124, v137 offset:34546
	v_mad_u64_u32 v[222:223], s[22:23], v223, v229, v[222:223]
	v_mad_u64_u32 v[220:221], s[22:23], v221, v134, v[220:221]
	v_cvt_f32_i32_e32 v221, v220
	v_cvt_f32_i32_e32 v220, v222
	v_mov_b32_e32 v125, 0
	v_dot4c_i32_i8_e32 v125, v187, v32
	v_mov_b32_e32 v232, v215
	v_mov_b32_e32 v233, v214
	v_dot4c_i32_i8_e32 v125, v188, v33
	v_pk_mul_f32 v[214:215], v[116:117], v[232:233] op_sel_hi:[0,1]
	v_dot4c_i32_i8_e32 v125, v189, v34
	s_waitcnt lgkmcnt(0)
	v_lshrrev_b16_e32 v136, 8, v124
	v_pk_fma_f32 v[18:19], v[214:215], v[220:221], v[18:19]
	v_dot4c_i32_i8_e32 v125, v190, v35
	v_bfe_i32 v215, v124, 0, 8
	v_bfe_i32 v216, v136, 0, 8
	v_mul_lo_u32 v124, v139, v216
	v_mul_lo_u32 v136, v234, v215
	;; [unrolled: 1-line block ×3, first 2 shown]
                                        ; kill: def $vgpr125 killed $sgpr0 killed $exec
	v_mov_b32_e32 v135, 0
	v_mad_u64_u32 v[136:137], s[22:23], v235, v216, v[136:137]
	v_mad_u64_u32 v[124:125], s[22:23], v138, v215, v[124:125]
	v_dot4c_i32_i8_e32 v135, v191, v36
	v_cvt_f32_i32_e32 v125, v124
	v_cvt_f32_i32_e32 v124, v136
	v_dot4c_i32_i8_e32 v135, v192, v37
	v_dot4c_i32_i8_e32 v135, v193, v38
	v_dot4c_i32_i8_e32 v135, v194, v39
	v_mul_lo_u32 v214, v241, v216
	v_pk_mul_f32 v[138:139], v[118:119], v[230:231] op_sel_hi:[0,1]
	v_mad_u64_u32 v[222:223], s[22:23], v240, v215, v[214:215]
	v_mad_u64_u32 v[220:221], s[22:23], v135, v216, v[220:221]
	v_pk_fma_f32 v[28:29], v[138:139], v[124:125], v[28:29]
	ds_read_u16 v124, v211 offset:35570
	v_cvt_f32_i32_e32 v137, v222
	v_cvt_f32_i32_e32 v136, v220
	v_mov_b32_e32 v125, 0
	v_dot4c_i32_i8_e32 v125, v195, v32
	v_pk_mul_f32 v[224:225], v[118:119], v[232:233] op_sel_hi:[0,1]
	v_dot4c_i32_i8_e32 v125, v196, v33
	v_pk_fma_f32 v[30:31], v[224:225], v[136:137], v[30:31]
	v_dot4c_i32_i8_e32 v125, v197, v34
	s_waitcnt lgkmcnt(0)
	v_lshrrev_b16_e32 v136, 8, v124
	v_dot4c_i32_i8_e32 v125, v198, v35
	v_bfe_i32 v213, v124, 0, 8
	v_bfe_i32 v214, v136, 0, 8
	v_mul_lo_u32 v124, v217, v214
	v_mul_lo_u32 v136, v236, v213
	;; [unrolled: 1-line block ×3, first 2 shown]
                                        ; kill: def $vgpr125 killed $sgpr0 killed $exec
	v_mad_u64_u32 v[136:137], s[22:23], v237, v214, v[136:137]
	v_mad_u64_u32 v[124:125], s[22:23], v212, v213, v[124:125]
	v_cvt_f32_i32_e32 v125, v124
	v_cvt_f32_i32_e32 v124, v136
	v_pk_mul_f32 v[222:223], v[120:121], v[230:231] op_sel_hi:[0,1]
	v_mov_b32_e32 v135, 0
	v_dot4c_i32_i8_e32 v135, v199, v36
	v_pk_fma_f32 v[24:25], v[222:223], v[124:125], v[24:25]
	v_mov_b32_e32 v124, 0
	v_dot4c_i32_i8_e32 v124, v203, v32
	ds_read_u16 v32, v218 offset:36594
	v_dot4c_i32_i8_e32 v124, v204, v33
	v_mov_b32_e32 v33, 0
	v_dot4c_i32_i8_e32 v33, v207, v36
	v_dot4c_i32_i8_e32 v135, v200, v37
	;; [unrolled: 1-line block ×7, first 2 shown]
	s_waitcnt lgkmcnt(0)
	v_lshrrev_b16_e32 v34, 8, v32
	v_bfe_i32 v211, v32, 0, 8
	v_dot4c_i32_i8_e32 v135, v202, v39
	v_mul_lo_u32 v138, v243, v214
	v_dot4c_i32_i8_e32 v33, v210, v39
	v_bfe_i32 v212, v34, 0, 8
	v_mul_lo_u32 v38, v124, v211
	v_mad_u64_u32 v[220:221], s[22:23], v135, v214, v[220:221]
	v_mad_u64_u32 v[138:139], s[22:23], v242, v213, v[138:139]
	v_mul_lo_u32 v32, v228, v212
	v_mul_lo_u32 v34, v238, v211
	;; [unrolled: 1-line block ×3, first 2 shown]
                                        ; kill: def $vgpr35 killed $sgpr0 killed $exec
	v_mad_u64_u32 v[38:39], s[22:23], v33, v212, v[38:39]
                                        ; kill: def $vgpr33 killed $sgpr0 killed $exec
	v_cvt_f32_i32_e32 v137, v138
	v_cvt_f32_i32_e32 v136, v220
	v_mad_u64_u32 v[36:37], s[22:23], v244, v211, v[36:37]
	v_mad_u64_u32 v[34:35], s[22:23], v239, v212, v[34:35]
	;; [unrolled: 1-line block ×3, first 2 shown]
	v_cvt_f32_i32_e32 v33, v32
	v_cvt_f32_i32_e32 v32, v34
	;; [unrolled: 1-line block ×4, first 2 shown]
	v_pk_mul_f32 v[224:225], v[120:121], v[232:233] op_sel_hi:[0,1]
	v_pk_fma_f32 v[26:27], v[224:225], v[136:137], v[26:27]
	v_pk_mul_f32 v[124:125], v[122:123], v[230:231] op_sel_hi:[0,1]
	v_pk_mul_f32 v[136:137], v[122:123], v[232:233] op_sel_hi:[0,1]
	v_pk_fma_f32 v[22:23], v[136:137], v[34:35], v[22:23]
	v_pk_fma_f32 v[20:21], v[124:125], v[32:33], v[20:21]
	ds_read2_b32 v[124:125], v186 offset0:128 offset1:160
	ds_read_b128 v[32:35], v185 offset:4096
	ds_read_b128 v[36:39], v185 offset:4112
	v_mov_b32_e32 v135, 0
	v_mov_b32_e32 v138, 0
	;; [unrolled: 1-line block ×8, first 2 shown]
	s_waitcnt lgkmcnt(1)
	v_dot4c_i32_i8_e32 v135, v126, v32
	s_waitcnt lgkmcnt(0)
	v_dot4c_i32_i8_e32 v138, v130, v36
	v_dot4c_i32_i8_e32 v225, v187, v32
	;; [unrolled: 1-line block ×31, first 2 shown]
	ds_read_b128 v[32:35], v185 offset:5120
	ds_read_b128 v[36:39], v185 offset:5136
	v_mov_b32_e32 v139, 0
	v_mov_b32_e32 v236, 0
	v_mov_b32_e32 v228, 0
	v_mov_b32_e32 v227, 0
	v_mov_b32_e32 v224, 0
	v_mov_b32_e32 v223, 0
	v_mov_b32_e32 v220, 0
	v_mov_b32_e32 v219, 0
	s_waitcnt lgkmcnt(1)
	v_dot4c_i32_i8_e32 v139, v126, v32
	s_waitcnt lgkmcnt(0)
	v_dot4c_i32_i8_e32 v236, v130, v36
	v_dot4c_i32_i8_e32 v228, v187, v32
	;; [unrolled: 1-line block ×31, first 2 shown]
	ds_read2_b32 v[136:137], v186 offset0:192 offset1:224
	ds_read_b128 v[32:35], v185 offset:6144
	ds_read_b128 v[36:39], v185 offset:6160
	v_mov_b32_e32 v237, 0
	v_mov_b32_e32 v238, 0
	;; [unrolled: 1-line block ×8, first 2 shown]
	s_waitcnt lgkmcnt(1)
	v_dot4c_i32_i8_e32 v237, v126, v32
	s_waitcnt lgkmcnt(0)
	v_dot4c_i32_i8_e32 v238, v130, v36
	v_dot4c_i32_i8_e32 v234, v187, v32
	;; [unrolled: 1-line block ×31, first 2 shown]
	ds_read_b128 v[36:39], v185 offset:7168
	ds_read_b128 v[32:35], v185 offset:7184
	v_mov_b32_e32 v239, 0
	s_add_i32 s18, s18, 2
	s_add_i32 s19, s19, 1
	s_waitcnt lgkmcnt(1)
	v_dot4c_i32_i8_e32 v239, v126, v36
	v_dot4c_i32_i8_e32 v239, v127, v37
	v_mov_b32_e32 v127, 0
	s_waitcnt lgkmcnt(0)
	v_dot4c_i32_i8_e32 v127, v130, v32
	v_dot4c_i32_i8_e32 v239, v128, v38
	;; [unrolled: 1-line block ×6, first 2 shown]
	v_mul_lo_u32 v128, v238, v229
	v_mul_lo_u32 v126, v239, v134
                                        ; kill: def $vgpr129 killed $sgpr0 killed $exec
	v_mul_lo_u32 v132, v138, v229
	v_mad_u64_u32 v[126:127], s[22:23], v127, v229, v[126:127]
	v_mad_u64_u32 v[128:129], s[22:23], v237, v134, v[128:129]
	v_cvt_f32_i32_e32 v127, v128
	v_cvt_f32_i32_e32 v126, v126
	v_mul_lo_u32 v130, v139, v134
	v_mad_u64_u32 v[132:133], s[22:23], v135, v134, v[132:133]
	v_mov_b32_e32 v134, v125
	v_mov_b32_e32 v135, v124
	;; [unrolled: 1-line block ×4, first 2 shown]
	v_pk_mul_f32 v[136:137], v[116:117], v[124:125] op_sel_hi:[0,1]
	v_mad_u64_u32 v[130:131], s[22:23], v236, v229, v[130:131]
	v_pk_fma_f32 v[14:15], v[136:137], v[126:127], v[14:15]
	v_mov_b32_e32 v127, 0
	v_cvt_f32_i32_e32 v131, v132
	v_cvt_f32_i32_e32 v130, v130
	v_dot4c_i32_i8_e32 v127, v187, v36
	v_dot4c_i32_i8_e32 v127, v188, v37
	v_mov_b32_e32 v129, 0
	v_dot4c_i32_i8_e32 v127, v189, v38
	v_dot4c_i32_i8_e32 v129, v191, v32
	v_pk_mul_f32 v[138:139], v[116:117], v[134:135] op_sel_hi:[0,1]
	v_dot4c_i32_i8_e32 v127, v190, v39
	v_dot4c_i32_i8_e32 v129, v192, v33
	v_pk_fma_f32 v[12:13], v[138:139], v[130:131], v[12:13]
	v_dot4c_i32_i8_e32 v129, v193, v34
	v_mul_lo_u32 v116, v226, v216
	v_mul_lo_u32 v126, v228, v215
	;; [unrolled: 1-line block ×3, first 2 shown]
                                        ; kill: def $vgpr127 killed $sgpr0 killed $exec
	v_dot4c_i32_i8_e32 v129, v194, v35
	v_mul_lo_u32 v128, v235, v216
	v_mad_u64_u32 v[126:127], s[22:23], v227, v216, v[126:127]
	v_mad_u64_u32 v[132:133], s[22:23], v225, v215, v[116:117]
	;; [unrolled: 1-line block ×4, first 2 shown]
	v_cvt_f32_i32_e32 v127, v132
	v_cvt_f32_i32_e32 v126, v126
	;; [unrolled: 1-line block ×4, first 2 shown]
	v_pk_mul_f32 v[136:137], v[118:119], v[134:135] op_sel_hi:[0,1]
	v_mul_lo_u32 v116, v222, v214
	v_pk_mul_f32 v[138:139], v[118:119], v[124:125] op_sel_hi:[0,1]
	v_pk_fma_f32 v[8:9], v[136:137], v[126:127], v[8:9]
	v_mov_b32_e32 v127, 0
	v_mad_u64_u32 v[132:133], s[22:23], v221, v213, v[116:117]
	v_mov_b32_e32 v116, 0
	v_pk_fma_f32 v[10:11], v[138:139], v[128:129], v[10:11]
	v_dot4c_i32_i8_e32 v127, v195, v36
	v_mov_b32_e32 v129, 0
	v_dot4c_i32_i8_e32 v116, v203, v36
	v_dot4c_i32_i8_e32 v127, v196, v37
	;; [unrolled: 1-line block ×4, first 2 shown]
	v_mov_b32_e32 v37, 0
	v_dot4c_i32_i8_e32 v127, v197, v38
	v_dot4c_i32_i8_e32 v129, v200, v33
	;; [unrolled: 1-line block ×8, first 2 shown]
	v_mul_lo_u32 v126, v233, v214
	v_mul_lo_u32 v128, v127, v213
                                        ; kill: def $vgpr127 killed $sgpr0 killed $exec
	v_dot4c_i32_i8_e32 v116, v206, v39
	v_dot4c_i32_i8_e32 v37, v209, v34
	v_mul_lo_u32 v118, v224, v213
	v_mad_u64_u32 v[128:129], s[22:23], v129, v214, v[128:129]
	v_mad_u64_u32 v[126:127], s[22:23], v232, v213, v[126:127]
	v_dot4c_i32_i8_e32 v37, v210, v35
	v_mul_lo_u32 v32, v218, v212
	v_mul_lo_u32 v34, v220, v211
	;; [unrolled: 1-line block ×4, first 2 shown]
                                        ; kill: def $vgpr33 killed $sgpr0 killed $exec
	v_mad_u64_u32 v[130:131], s[22:23], v223, v214, v[118:119]
	v_cvt_f32_i32_e32 v127, v126
	v_cvt_f32_i32_e32 v126, v128
	v_mad_u64_u32 v[38:39], s[22:23], v37, v212, v[38:39]
	v_mad_u64_u32 v[36:37], s[22:23], v230, v211, v[36:37]
	;; [unrolled: 1-line block ×4, first 2 shown]
	v_cvt_f32_i32_e32 v131, v132
	v_cvt_f32_i32_e32 v130, v130
	v_cvt_f32_i32_e32 v33, v32
	v_cvt_f32_i32_e32 v32, v34
	v_cvt_f32_i32_e32 v35, v36
	v_cvt_f32_i32_e32 v34, v38
	v_pk_mul_f32 v[138:139], v[120:121], v[124:125] op_sel_hi:[0,1]
	v_pk_mul_f32 v[136:137], v[120:121], v[134:135] op_sel_hi:[0,1]
	v_pk_fma_f32 v[6:7], v[138:139], v[126:127], v[6:7]
	v_pk_mul_f32 v[126:127], v[122:123], v[134:135] op_sel_hi:[0,1]
	v_pk_mul_f32 v[124:125], v[122:123], v[124:125] op_sel_hi:[0,1]
	v_pk_fma_f32 v[4:5], v[136:137], v[130:131], v[4:5]
	v_pk_fma_f32 v[2:3], v[124:125], v[34:35], v[2:3]
	;; [unrolled: 1-line block ×3, first 2 shown]
	v_add_u32_e32 v186, 4, v186
	v_add_u32_e32 v185, 32, v185
	s_cmp_lt_u32 s20, 22
	s_mov_b32 s22, s20
	s_cbranch_scc1 .LBB129_12
; %bb.13:                               ;   in Loop: Header=BB129_6 Depth=1
	v_add_u32_e32 v116, s17, v151
	v_add_u32_e32 v118, v116, v105
	v_mad_i64_i32 v[124:125], s[18:19], v118, 36, v[76:77]
	v_add_u32_e32 v118, v116, v107
	v_add_u32_e32 v32, v116, v97
	;; [unrolled: 1-line block ×5, first 2 shown]
	v_mad_i64_i32 v[126:127], s[18:19], v118, 36, v[76:77]
	v_add_u32_e32 v118, v116, v109
	v_add_u32_e32 v116, v116, v111
	v_mad_i64_i32 v[130:131], s[18:19], v116, 36, v[76:77]
	v_add_u32_e32 v116, 12, v184
	v_mad_i64_i32 v[32:33], s[18:19], v32, 36, v[76:77]
	v_mad_i64_i32 v[34:35], s[18:19], v34, 36, v[76:77]
	;; [unrolled: 1-line block ×4, first 2 shown]
	v_mad_u64_u32 v[132:133], s[18:19], v116, 36, s[2:3]
	s_barrier
	v_mad_i64_i32 v[128:129], s[18:19], v118, 36, v[76:77]
	global_load_dword v116, v[132:133], off
	s_nop 0
	global_load_dword v32, v[32:33], off offset:4
	s_nop 0
	global_load_dword v33, v[34:35], off offset:4
	;; [unrolled: 2-line block ×3, first 2 shown]
	global_load_dword v35, v[38:39], off offset:4
	s_nop 0
	global_load_dword v36, v[124:125], off offset:4
	global_load_dword v37, v[126:127], off offset:4
	global_load_dword v38, v[128:129], off offset:4
	global_load_dword v39, v[130:131], off offset:4
	s_mov_b32 s17, 24
	s_mov_b32 s21, 22
	;; [unrolled: 1-line block ×3, first 2 shown]
	v_mov_b32_e32 v184, v162
	v_mov_b32_e32 v185, v160
	s_waitcnt vmcnt(8)
	v_cvt_f32_f16_e32 v116, v116
	s_waitcnt vmcnt(7)
	ds_write_b32 v167, v32
	s_waitcnt vmcnt(6)
	ds_write_b32 v168, v33
	;; [unrolled: 2-line block ×8, first 2 shown]
	ds_write_b32 v75, v116
	s_waitcnt lgkmcnt(0)
	s_barrier
.LBB129_14:                             ;   Parent Loop BB129_6 Depth=1
                                        ; =>  This Inner Loop Header: Depth=2
	s_add_i32 s19, s21, 2
	s_lshr_b32 s24, s19, 4
	s_and_b32 s22, s19, 0x3ffffff8
	v_lshl_add_u32 v122, s22, 2, v113
	s_lshl_b32 s22, s24, 5
	s_addk_i32 s22, 0x4200
	v_add3_u32 v120, s22, v175, v115
	ds_read2_b32 v[124:125], v185 offset1:32
	ds_read_b128 v[36:39], v184
	ds_read_b128 v[32:35], v184 offset:16
	ds_read2_b32 v[126:127], v122 offset1:1
	ds_read2_b32 v[128:129], v120 offset1:1
	s_sub_i32 s20, s21, 22
	s_and_b32 s23, s17, -16
	s_add_i32 s21, s21, s23
	s_waitcnt lgkmcnt(1)
	v_ashrrev_i32_e32 v116, s20, v126
	s_waitcnt lgkmcnt(0)
	v_ashrrev_i32_e32 v126, s18, v128
	v_lshlrev_b32_e32 v126, 2, v126
	v_bfe_u32 v118, v116, 24, 2
	v_and_b32_e32 v116, 0x3030303, v116
	v_and_b32_e32 v126, 0x4040404, v126
	v_sub_u16_e32 v128, v116, v126
	v_sub_u16_sdwa v130, v116, v126 dst_sel:BYTE_1 dst_unused:UNUSED_PAD src0_sel:BYTE_1 src1_sel:BYTE_1
	v_sub_u16_sdwa v116, v116, v126 dst_sel:DWORD dst_unused:UNUSED_PAD src0_sel:WORD_1 src1_sel:WORD_1
	v_sub_u16_sdwa v118, v118, v126 dst_sel:BYTE_1 dst_unused:UNUSED_PAD src0_sel:DWORD src1_sel:BYTE_3
	v_bitop3_b16 v128, v128, v130, s9 bitop3:0xec
	v_bitop3_b16 v116, v116, v118, s9 bitop3:0xec
	v_lshlrev_b32_e32 v116, 16, v116
	v_or_b32_sdwa v126, v128, v116 dst_sel:DWORD dst_unused:UNUSED_PAD src0_sel:WORD_0 src1_sel:DWORD
	v_ashrrev_i32_e32 v116, s20, v127
	v_ashrrev_i32_e32 v127, s18, v129
	v_lshlrev_b32_e32 v127, 2, v127
	v_bfe_u32 v118, v116, 24, 2
	v_and_b32_e32 v116, 0x3030303, v116
	v_and_b32_e32 v127, 0x4040404, v127
	v_sub_u16_e32 v128, v116, v127
	v_sub_u16_sdwa v129, v116, v127 dst_sel:BYTE_1 dst_unused:UNUSED_PAD src0_sel:BYTE_1 src1_sel:BYTE_1
	v_sub_u16_sdwa v116, v116, v127 dst_sel:DWORD dst_unused:UNUSED_PAD src0_sel:WORD_1 src1_sel:WORD_1
	v_sub_u16_sdwa v118, v118, v127 dst_sel:BYTE_1 dst_unused:UNUSED_PAD src0_sel:DWORD src1_sel:BYTE_3
	v_bitop3_b16 v128, v128, v129, s9 bitop3:0xec
	v_bitop3_b16 v116, v116, v118, s9 bitop3:0xec
	v_lshlrev_b32_e32 v116, 16, v116
	v_or_b32_sdwa v127, v128, v116 dst_sel:DWORD dst_unused:UNUSED_PAD src0_sel:WORD_0 src1_sel:DWORD
	ds_read2_b32 v[128:129], v122 offset0:2 offset1:3
	ds_read2_b32 v[130:131], v120 offset0:2 offset1:3
	s_lshl_b32 s23, s24, 2
	s_add_i32 s23, s23, 0x9380
	v_add3_u32 v137, s22, v178, v117
	s_waitcnt lgkmcnt(1)
	v_ashrrev_i32_e32 v116, s20, v128
	s_waitcnt lgkmcnt(0)
	v_ashrrev_i32_e32 v128, s18, v130
	v_lshlrev_b32_e32 v128, 2, v128
	v_bfe_u32 v118, v116, 24, 2
	v_and_b32_e32 v116, 0x3030303, v116
	v_and_b32_e32 v128, 0x4040404, v128
	v_sub_u16_e32 v130, v116, v128
	v_sub_u16_sdwa v132, v116, v128 dst_sel:BYTE_1 dst_unused:UNUSED_PAD src0_sel:BYTE_1 src1_sel:BYTE_1
	v_sub_u16_sdwa v116, v116, v128 dst_sel:DWORD dst_unused:UNUSED_PAD src0_sel:WORD_1 src1_sel:WORD_1
	v_sub_u16_sdwa v118, v118, v128 dst_sel:BYTE_1 dst_unused:UNUSED_PAD src0_sel:DWORD src1_sel:BYTE_3
	v_bitop3_b16 v130, v130, v132, s9 bitop3:0xec
	v_bitop3_b16 v116, v116, v118, s9 bitop3:0xec
	v_lshlrev_b32_e32 v116, 16, v116
	v_or_b32_sdwa v128, v130, v116 dst_sel:DWORD dst_unused:UNUSED_PAD src0_sel:WORD_0 src1_sel:DWORD
	v_ashrrev_i32_e32 v116, s20, v129
	v_ashrrev_i32_e32 v129, s18, v131
	v_lshlrev_b32_e32 v129, 2, v129
	v_bfe_u32 v118, v116, 24, 2
	v_and_b32_e32 v116, 0x3030303, v116
	v_and_b32_e32 v129, 0x4040404, v129
	v_sub_u16_e32 v130, v116, v129
	v_sub_u16_sdwa v131, v116, v129 dst_sel:BYTE_1 dst_unused:UNUSED_PAD src0_sel:BYTE_1 src1_sel:BYTE_1
	v_sub_u16_sdwa v116, v116, v129 dst_sel:DWORD dst_unused:UNUSED_PAD src0_sel:WORD_1 src1_sel:WORD_1
	v_sub_u16_sdwa v118, v118, v129 dst_sel:BYTE_1 dst_unused:UNUSED_PAD src0_sel:DWORD src1_sel:BYTE_3
	v_bitop3_b16 v130, v130, v131, s9 bitop3:0xec
	v_bitop3_b16 v116, v116, v118, s9 bitop3:0xec
	v_lshlrev_b32_e32 v116, 16, v116
	v_or_b32_sdwa v129, v130, v116 dst_sel:DWORD dst_unused:UNUSED_PAD src0_sel:WORD_0 src1_sel:DWORD
	ds_read2_b32 v[130:131], v122 offset0:4 offset1:5
	ds_read2_b32 v[132:133], v120 offset0:4 offset1:5
	ds_read2_b32 v[186:187], v137 offset1:1
	v_add3_u32 v202, s22, v180, v142
	v_add3_u32 v212, s22, v182, v146
	s_waitcnt lgkmcnt(2)
	v_ashrrev_i32_e32 v116, s20, v130
	s_waitcnt lgkmcnt(1)
	v_ashrrev_i32_e32 v130, s18, v132
	v_lshlrev_b32_e32 v130, 2, v130
	v_bfe_u32 v118, v116, 24, 2
	v_and_b32_e32 v116, 0x3030303, v116
	v_and_b32_e32 v130, 0x4040404, v130
	v_sub_u16_e32 v132, v116, v130
	v_sub_u16_sdwa v134, v116, v130 dst_sel:BYTE_1 dst_unused:UNUSED_PAD src0_sel:BYTE_1 src1_sel:BYTE_1
	v_sub_u16_sdwa v116, v116, v130 dst_sel:DWORD dst_unused:UNUSED_PAD src0_sel:WORD_1 src1_sel:WORD_1
	v_sub_u16_sdwa v118, v118, v130 dst_sel:BYTE_1 dst_unused:UNUSED_PAD src0_sel:DWORD src1_sel:BYTE_3
	v_bitop3_b16 v132, v132, v134, s9 bitop3:0xec
	v_bitop3_b16 v116, v116, v118, s9 bitop3:0xec
	v_lshlrev_b32_e32 v116, 16, v116
	v_or_b32_sdwa v130, v132, v116 dst_sel:DWORD dst_unused:UNUSED_PAD src0_sel:WORD_0 src1_sel:DWORD
	v_ashrrev_i32_e32 v116, s20, v131
	v_ashrrev_i32_e32 v131, s18, v133
	v_lshlrev_b32_e32 v131, 2, v131
	v_bfe_u32 v118, v116, 24, 2
	v_and_b32_e32 v116, 0x3030303, v116
	v_and_b32_e32 v131, 0x4040404, v131
	v_sub_u16_e32 v132, v116, v131
	v_sub_u16_sdwa v133, v116, v131 dst_sel:BYTE_1 dst_unused:UNUSED_PAD src0_sel:BYTE_1 src1_sel:BYTE_1
	v_sub_u16_sdwa v116, v116, v131 dst_sel:DWORD dst_unused:UNUSED_PAD src0_sel:WORD_1 src1_sel:WORD_1
	v_sub_u16_sdwa v118, v118, v131 dst_sel:BYTE_1 dst_unused:UNUSED_PAD src0_sel:DWORD src1_sel:BYTE_3
	v_bitop3_b16 v132, v132, v133, s9 bitop3:0xec
	v_bitop3_b16 v116, v116, v118, s9 bitop3:0xec
	v_lshlrev_b32_e32 v116, 16, v116
	v_or_b32_sdwa v131, v132, v116 dst_sel:DWORD dst_unused:UNUSED_PAD src0_sel:WORD_0 src1_sel:DWORD
	ds_read2_b32 v[132:133], v122 offset0:6 offset1:7
	ds_read2_b32 v[134:135], v120 offset0:6 offset1:7
	v_mov_b32_e32 v136, 0
	v_mov_b32_e32 v211, 0
	;; [unrolled: 1-line block ×3, first 2 shown]
	s_waitcnt lgkmcnt(1)
	v_ashrrev_i32_e32 v116, s20, v132
	s_waitcnt lgkmcnt(0)
	v_ashrrev_i32_e32 v120, s18, v134
	v_lshlrev_b32_e32 v120, 2, v120
	v_bfe_u32 v118, v116, 24, 2
	v_and_b32_e32 v116, 0x3030303, v116
	v_and_b32_e32 v120, 0x4040404, v120
	v_sub_u16_e32 v132, v116, v120
	v_sub_u16_sdwa v134, v116, v120 dst_sel:BYTE_1 dst_unused:UNUSED_PAD src0_sel:BYTE_1 src1_sel:BYTE_1
	v_sub_u16_sdwa v116, v116, v120 dst_sel:DWORD dst_unused:UNUSED_PAD src0_sel:WORD_1 src1_sel:WORD_1
	v_sub_u16_sdwa v118, v118, v120 dst_sel:BYTE_1 dst_unused:UNUSED_PAD src0_sel:DWORD src1_sel:BYTE_3
	v_bitop3_b16 v132, v132, v134, s9 bitop3:0xec
	v_bitop3_b16 v116, v116, v118, s9 bitop3:0xec
	v_lshlrev_b32_e32 v116, 16, v116
	v_ashrrev_i32_e32 v120, s18, v135
	v_or_b32_sdwa v132, v132, v116 dst_sel:DWORD dst_unused:UNUSED_PAD src0_sel:WORD_0 src1_sel:DWORD
	v_ashrrev_i32_e32 v116, s20, v133
	v_lshlrev_b32_e32 v120, 2, v120
	v_bfe_u32 v118, v116, 24, 2
	v_and_b32_e32 v116, 0x3030303, v116
	v_and_b32_e32 v120, 0x4040404, v120
	v_sub_u16_e32 v133, v116, v120
	v_sub_u16_sdwa v134, v116, v120 dst_sel:BYTE_1 dst_unused:UNUSED_PAD src0_sel:BYTE_1 src1_sel:BYTE_1
	v_sub_u16_sdwa v116, v116, v120 dst_sel:DWORD dst_unused:UNUSED_PAD src0_sel:WORD_1 src1_sel:WORD_1
	v_sub_u16_sdwa v118, v118, v120 dst_sel:BYTE_1 dst_unused:UNUSED_PAD src0_sel:DWORD src1_sel:BYTE_3
	v_bitop3_b16 v133, v133, v134, s9 bitop3:0xec
	v_bitop3_b16 v116, v116, v118, s9 bitop3:0xec
	v_lshlrev_b32_e32 v116, 16, v116
	v_or_b32_sdwa v133, v133, v116 dst_sel:DWORD dst_unused:UNUSED_PAD src0_sel:WORD_0 src1_sel:DWORD
	v_add3_u32 v116, s23, v176, v177
	v_add_u32_e32 v118, 0x1080, v122
	ds_read_b32 v116, v116
	ds_read2_b32 v[138:139], v118 offset1:1
	ds_read2_b32 v[196:197], v202 offset1:1
	v_mov_b32_e32 v135, 0
	v_mov_b32_e32 v229, 0
	;; [unrolled: 1-line block ×3, first 2 shown]
	s_waitcnt lgkmcnt(1)
	v_ashrrev_i32_e32 v118, s20, v138
	v_ashrrev_i32_e32 v138, s18, v186
	v_lshlrev_b32_e32 v138, 2, v138
	v_bfe_u32 v120, v118, 24, 2
	v_and_b32_e32 v118, 0x3030303, v118
	v_and_b32_e32 v138, 0x4040404, v138
	v_sub_u16_e32 v186, v118, v138
	v_sub_u16_sdwa v188, v118, v138 dst_sel:BYTE_1 dst_unused:UNUSED_PAD src0_sel:BYTE_1 src1_sel:BYTE_1
	v_sub_u16_sdwa v118, v118, v138 dst_sel:DWORD dst_unused:UNUSED_PAD src0_sel:WORD_1 src1_sel:WORD_1
	v_sub_u16_sdwa v120, v120, v138 dst_sel:BYTE_1 dst_unused:UNUSED_PAD src0_sel:DWORD src1_sel:BYTE_3
	v_bitop3_b16 v186, v186, v188, s9 bitop3:0xec
	v_bitop3_b16 v118, v118, v120, s9 bitop3:0xec
	v_lshlrev_b32_e32 v118, 16, v118
	v_ashrrev_i32_e32 v138, s18, v187
	v_or_b32_sdwa v186, v186, v118 dst_sel:DWORD dst_unused:UNUSED_PAD src0_sel:WORD_0 src1_sel:DWORD
	v_ashrrev_i32_e32 v118, s20, v139
	v_lshlrev_b32_e32 v138, 2, v138
	v_bfe_u32 v120, v118, 24, 2
	v_and_b32_e32 v118, 0x3030303, v118
	v_and_b32_e32 v138, 0x4040404, v138
	v_sub_u16_e32 v139, v118, v138
	v_sub_u16_sdwa v187, v118, v138 dst_sel:BYTE_1 dst_unused:UNUSED_PAD src0_sel:BYTE_1 src1_sel:BYTE_1
	v_sub_u16_sdwa v118, v118, v138 dst_sel:DWORD dst_unused:UNUSED_PAD src0_sel:WORD_1 src1_sel:WORD_1
	v_sub_u16_sdwa v120, v120, v138 dst_sel:BYTE_1 dst_unused:UNUSED_PAD src0_sel:DWORD src1_sel:BYTE_3
	v_bitop3_b16 v139, v139, v187, s9 bitop3:0xec
	v_bitop3_b16 v118, v118, v120, s9 bitop3:0xec
	v_lshlrev_b32_e32 v118, 16, v118
	v_or_b32_sdwa v187, v139, v118 dst_sel:DWORD dst_unused:UNUSED_PAD src0_sel:WORD_0 src1_sel:DWORD
	v_add_u32_e32 v118, 0x1088, v122
	ds_read2_b32 v[138:139], v118 offset1:1
	ds_read2_b32 v[188:189], v137 offset0:2 offset1:3
	s_waitcnt lgkmcnt(2)
	v_ashrrev_i32_e32 v196, s18, v196
	v_lshlrev_b32_e32 v196, 2, v196
	v_and_b32_e32 v196, 0x4040404, v196
	s_waitcnt lgkmcnt(1)
	v_ashrrev_i32_e32 v118, s20, v138
	s_waitcnt lgkmcnt(0)
	v_ashrrev_i32_e32 v138, s18, v188
	v_lshlrev_b32_e32 v138, 2, v138
	v_bfe_u32 v120, v118, 24, 2
	v_and_b32_e32 v118, 0x3030303, v118
	v_and_b32_e32 v138, 0x4040404, v138
	v_sub_u16_e32 v188, v118, v138
	v_sub_u16_sdwa v190, v118, v138 dst_sel:BYTE_1 dst_unused:UNUSED_PAD src0_sel:BYTE_1 src1_sel:BYTE_1
	v_sub_u16_sdwa v118, v118, v138 dst_sel:DWORD dst_unused:UNUSED_PAD src0_sel:WORD_1 src1_sel:WORD_1
	v_sub_u16_sdwa v120, v120, v138 dst_sel:BYTE_1 dst_unused:UNUSED_PAD src0_sel:DWORD src1_sel:BYTE_3
	v_bitop3_b16 v188, v188, v190, s9 bitop3:0xec
	v_bitop3_b16 v118, v118, v120, s9 bitop3:0xec
	v_lshlrev_b32_e32 v118, 16, v118
	v_ashrrev_i32_e32 v138, s18, v189
	v_or_b32_sdwa v188, v188, v118 dst_sel:DWORD dst_unused:UNUSED_PAD src0_sel:WORD_0 src1_sel:DWORD
	v_ashrrev_i32_e32 v118, s20, v139
	v_lshlrev_b32_e32 v138, 2, v138
	v_bfe_u32 v120, v118, 24, 2
	v_and_b32_e32 v118, 0x3030303, v118
	v_and_b32_e32 v138, 0x4040404, v138
	v_sub_u16_e32 v139, v118, v138
	v_sub_u16_sdwa v189, v118, v138 dst_sel:BYTE_1 dst_unused:UNUSED_PAD src0_sel:BYTE_1 src1_sel:BYTE_1
	v_sub_u16_sdwa v118, v118, v138 dst_sel:DWORD dst_unused:UNUSED_PAD src0_sel:WORD_1 src1_sel:WORD_1
	v_sub_u16_sdwa v120, v120, v138 dst_sel:BYTE_1 dst_unused:UNUSED_PAD src0_sel:DWORD src1_sel:BYTE_3
	v_bitop3_b16 v139, v139, v189, s9 bitop3:0xec
	v_bitop3_b16 v118, v118, v120, s9 bitop3:0xec
	v_lshlrev_b32_e32 v118, 16, v118
	v_or_b32_sdwa v189, v139, v118 dst_sel:DWORD dst_unused:UNUSED_PAD src0_sel:WORD_0 src1_sel:DWORD
	v_add_u32_e32 v118, 0x1090, v122
	ds_read2_b32 v[138:139], v118 offset1:1
	ds_read2_b32 v[190:191], v137 offset0:4 offset1:5
	v_dot4c_i32_i8_e32 v135, v126, v36
	v_dot4c_i32_i8_e32 v136, v130, v32
	;; [unrolled: 1-line block ×3, first 2 shown]
	s_waitcnt lgkmcnt(1)
	v_ashrrev_i32_e32 v118, s20, v138
	s_waitcnt lgkmcnt(0)
	v_ashrrev_i32_e32 v138, s18, v190
	v_lshlrev_b32_e32 v138, 2, v138
	v_bfe_u32 v120, v118, 24, 2
	v_and_b32_e32 v118, 0x3030303, v118
	v_and_b32_e32 v138, 0x4040404, v138
	v_sub_u16_e32 v190, v118, v138
	v_sub_u16_sdwa v192, v118, v138 dst_sel:BYTE_1 dst_unused:UNUSED_PAD src0_sel:BYTE_1 src1_sel:BYTE_1
	v_sub_u16_sdwa v118, v118, v138 dst_sel:DWORD dst_unused:UNUSED_PAD src0_sel:WORD_1 src1_sel:WORD_1
	v_sub_u16_sdwa v120, v120, v138 dst_sel:BYTE_1 dst_unused:UNUSED_PAD src0_sel:DWORD src1_sel:BYTE_3
	v_bitop3_b16 v190, v190, v192, s9 bitop3:0xec
	v_bitop3_b16 v118, v118, v120, s9 bitop3:0xec
	v_lshlrev_b32_e32 v118, 16, v118
	v_ashrrev_i32_e32 v138, s18, v191
	v_or_b32_sdwa v190, v190, v118 dst_sel:DWORD dst_unused:UNUSED_PAD src0_sel:WORD_0 src1_sel:DWORD
	v_ashrrev_i32_e32 v118, s20, v139
	v_lshlrev_b32_e32 v138, 2, v138
	v_bfe_u32 v120, v118, 24, 2
	v_and_b32_e32 v118, 0x3030303, v118
	v_and_b32_e32 v138, 0x4040404, v138
	v_sub_u16_e32 v139, v118, v138
	v_sub_u16_sdwa v191, v118, v138 dst_sel:BYTE_1 dst_unused:UNUSED_PAD src0_sel:BYTE_1 src1_sel:BYTE_1
	v_sub_u16_sdwa v118, v118, v138 dst_sel:DWORD dst_unused:UNUSED_PAD src0_sel:WORD_1 src1_sel:WORD_1
	v_sub_u16_sdwa v120, v120, v138 dst_sel:BYTE_1 dst_unused:UNUSED_PAD src0_sel:DWORD src1_sel:BYTE_3
	v_bitop3_b16 v139, v139, v191, s9 bitop3:0xec
	v_bitop3_b16 v118, v118, v120, s9 bitop3:0xec
	v_lshlrev_b32_e32 v118, 16, v118
	v_or_b32_sdwa v191, v139, v118 dst_sel:DWORD dst_unused:UNUSED_PAD src0_sel:WORD_0 src1_sel:DWORD
	v_add_u32_e32 v118, 0x1098, v122
	ds_read2_b32 v[138:139], v118 offset1:1
	ds_read2_b32 v[192:193], v137 offset0:6 offset1:7
	v_dot4c_i32_i8_e32 v136, v131, v33
	v_dot4c_i32_i8_e32 v135, v128, v38
	;; [unrolled: 1-line block ×3, first 2 shown]
	s_waitcnt lgkmcnt(1)
	v_ashrrev_i32_e32 v118, s20, v138
	s_waitcnt lgkmcnt(0)
	v_ashrrev_i32_e32 v137, s18, v192
	v_lshlrev_b32_e32 v137, 2, v137
	v_bfe_u32 v120, v118, 24, 2
	v_and_b32_e32 v118, 0x3030303, v118
	v_and_b32_e32 v137, 0x4040404, v137
	v_sub_u16_e32 v138, v118, v137
	v_sub_u16_sdwa v192, v118, v137 dst_sel:BYTE_1 dst_unused:UNUSED_PAD src0_sel:BYTE_1 src1_sel:BYTE_1
	v_sub_u16_sdwa v118, v118, v137 dst_sel:DWORD dst_unused:UNUSED_PAD src0_sel:WORD_1 src1_sel:WORD_1
	v_sub_u16_sdwa v120, v120, v137 dst_sel:BYTE_1 dst_unused:UNUSED_PAD src0_sel:DWORD src1_sel:BYTE_3
	v_bitop3_b16 v138, v138, v192, s9 bitop3:0xec
	v_bitop3_b16 v118, v118, v120, s9 bitop3:0xec
	v_lshlrev_b32_e32 v118, 16, v118
	v_ashrrev_i32_e32 v137, s18, v193
	v_or_b32_sdwa v192, v138, v118 dst_sel:DWORD dst_unused:UNUSED_PAD src0_sel:WORD_0 src1_sel:DWORD
	v_ashrrev_i32_e32 v118, s20, v139
	v_lshlrev_b32_e32 v137, 2, v137
	v_bfe_u32 v120, v118, 24, 2
	v_and_b32_e32 v118, 0x3030303, v118
	v_and_b32_e32 v137, 0x4040404, v137
	v_sub_u16_e32 v138, v118, v137
	v_sub_u16_sdwa v139, v118, v137 dst_sel:BYTE_1 dst_unused:UNUSED_PAD src0_sel:BYTE_1 src1_sel:BYTE_1
	v_sub_u16_sdwa v118, v118, v137 dst_sel:DWORD dst_unused:UNUSED_PAD src0_sel:WORD_1 src1_sel:WORD_1
	v_sub_u16_sdwa v120, v120, v137 dst_sel:BYTE_1 dst_unused:UNUSED_PAD src0_sel:DWORD src1_sel:BYTE_3
	v_bitop3_b16 v138, v138, v139, s9 bitop3:0xec
	v_bitop3_b16 v118, v118, v120, s9 bitop3:0xec
	v_lshlrev_b32_e32 v118, 16, v118
	v_or_b32_sdwa v193, v138, v118 dst_sel:DWORD dst_unused:UNUSED_PAD src0_sel:WORD_0 src1_sel:DWORD
	v_add3_u32 v118, s23, v179, v119
	v_add_u32_e32 v120, 0x2100, v122
	ds_read_b32 v118, v118
	ds_read2_b32 v[194:195], v120 offset1:1
	v_mov_b32_e32 v138, 0
	v_mov_b32_e32 v139, 0
	v_dot4c_i32_i8_e32 v138, v186, v36
	v_dot4c_i32_i8_e32 v139, v190, v32
	s_waitcnt lgkmcnt(0)
	v_ashrrev_i32_e32 v120, s20, v194
	v_bfe_u32 v194, v120, 24, 2
	v_and_b32_e32 v120, 0x3030303, v120
	v_sub_u16_e32 v198, v120, v196
	v_sub_u16_sdwa v199, v120, v196 dst_sel:BYTE_1 dst_unused:UNUSED_PAD src0_sel:BYTE_1 src1_sel:BYTE_1
	v_sub_u16_sdwa v120, v120, v196 dst_sel:DWORD dst_unused:UNUSED_PAD src0_sel:WORD_1 src1_sel:WORD_1
	v_sub_u16_sdwa v194, v194, v196 dst_sel:BYTE_1 dst_unused:UNUSED_PAD src0_sel:DWORD src1_sel:BYTE_3
	v_bitop3_b16 v198, v198, v199, s9 bitop3:0xec
	v_bitop3_b16 v120, v120, v194, s9 bitop3:0xec
	v_lshlrev_b32_e32 v120, 16, v120
	v_ashrrev_i32_e32 v196, s18, v197
	v_or_b32_sdwa v194, v198, v120 dst_sel:DWORD dst_unused:UNUSED_PAD src0_sel:WORD_0 src1_sel:DWORD
	v_ashrrev_i32_e32 v120, s20, v195
	v_lshlrev_b32_e32 v196, 2, v196
	v_bfe_u32 v195, v120, 24, 2
	v_and_b32_e32 v120, 0x3030303, v120
	v_and_b32_e32 v196, 0x4040404, v196
	v_sub_u16_e32 v197, v120, v196
	v_sub_u16_sdwa v198, v120, v196 dst_sel:BYTE_1 dst_unused:UNUSED_PAD src0_sel:BYTE_1 src1_sel:BYTE_1
	v_sub_u16_sdwa v120, v120, v196 dst_sel:DWORD dst_unused:UNUSED_PAD src0_sel:WORD_1 src1_sel:WORD_1
	v_sub_u16_sdwa v195, v195, v196 dst_sel:BYTE_1 dst_unused:UNUSED_PAD src0_sel:DWORD src1_sel:BYTE_3
	v_bitop3_b16 v197, v197, v198, s9 bitop3:0xec
	v_bitop3_b16 v120, v120, v195, s9 bitop3:0xec
	v_lshlrev_b32_e32 v120, 16, v120
	v_or_b32_sdwa v195, v197, v120 dst_sel:DWORD dst_unused:UNUSED_PAD src0_sel:WORD_0 src1_sel:DWORD
	v_add_u32_e32 v120, 0x2108, v122
	ds_read2_b32 v[196:197], v120 offset1:1
	ds_read2_b32 v[198:199], v202 offset0:2 offset1:3
	v_dot4c_i32_i8_e32 v211, v194, v36
	v_dot4c_i32_i8_e32 v138, v187, v37
	v_dot4c_i32_i8_e32 v139, v191, v33
	s_waitcnt lgkmcnt(1)
	v_ashrrev_i32_e32 v120, s20, v196
	s_waitcnt lgkmcnt(0)
	v_ashrrev_i32_e32 v198, s18, v198
	v_lshlrev_b32_e32 v198, 2, v198
	v_bfe_u32 v196, v120, 24, 2
	v_and_b32_e32 v120, 0x3030303, v120
	v_and_b32_e32 v198, 0x4040404, v198
	v_sub_u16_e32 v200, v120, v198
	v_sub_u16_sdwa v201, v120, v198 dst_sel:BYTE_1 dst_unused:UNUSED_PAD src0_sel:BYTE_1 src1_sel:BYTE_1
	v_sub_u16_sdwa v120, v120, v198 dst_sel:DWORD dst_unused:UNUSED_PAD src0_sel:WORD_1 src1_sel:WORD_1
	v_sub_u16_sdwa v196, v196, v198 dst_sel:BYTE_1 dst_unused:UNUSED_PAD src0_sel:DWORD src1_sel:BYTE_3
	v_bitop3_b16 v200, v200, v201, s9 bitop3:0xec
	v_bitop3_b16 v120, v120, v196, s9 bitop3:0xec
	v_lshlrev_b32_e32 v120, 16, v120
	v_ashrrev_i32_e32 v198, s18, v199
	v_or_b32_sdwa v196, v200, v120 dst_sel:DWORD dst_unused:UNUSED_PAD src0_sel:WORD_0 src1_sel:DWORD
	v_ashrrev_i32_e32 v120, s20, v197
	v_lshlrev_b32_e32 v198, 2, v198
	v_bfe_u32 v197, v120, 24, 2
	v_and_b32_e32 v120, 0x3030303, v120
	v_and_b32_e32 v198, 0x4040404, v198
	v_sub_u16_e32 v199, v120, v198
	v_sub_u16_sdwa v200, v120, v198 dst_sel:BYTE_1 dst_unused:UNUSED_PAD src0_sel:BYTE_1 src1_sel:BYTE_1
	v_sub_u16_sdwa v120, v120, v198 dst_sel:DWORD dst_unused:UNUSED_PAD src0_sel:WORD_1 src1_sel:WORD_1
	v_sub_u16_sdwa v197, v197, v198 dst_sel:BYTE_1 dst_unused:UNUSED_PAD src0_sel:DWORD src1_sel:BYTE_3
	v_bitop3_b16 v199, v199, v200, s9 bitop3:0xec
	v_bitop3_b16 v120, v120, v197, s9 bitop3:0xec
	v_lshlrev_b32_e32 v120, 16, v120
	v_or_b32_sdwa v197, v199, v120 dst_sel:DWORD dst_unused:UNUSED_PAD src0_sel:WORD_0 src1_sel:DWORD
	v_add_u32_e32 v120, 0x2110, v122
	ds_read2_b32 v[198:199], v120 offset1:1
	ds_read2_b32 v[200:201], v202 offset0:4 offset1:5
	v_dot4c_i32_i8_e32 v211, v195, v37
	v_dot4c_i32_i8_e32 v138, v188, v38
	v_dot4c_i32_i8_e32 v139, v192, v34
	s_waitcnt lgkmcnt(1)
	v_ashrrev_i32_e32 v120, s20, v198
	s_waitcnt lgkmcnt(0)
	v_ashrrev_i32_e32 v200, s18, v200
	v_lshlrev_b32_e32 v200, 2, v200
	v_bfe_u32 v198, v120, 24, 2
	v_and_b32_e32 v120, 0x3030303, v120
	;; [unrolled: 36-line block ×3, first 2 shown]
	v_and_b32_e32 v202, 0x4040404, v202
	v_sub_u16_e32 v204, v120, v202
	v_sub_u16_sdwa v205, v120, v202 dst_sel:BYTE_1 dst_unused:UNUSED_PAD src0_sel:BYTE_1 src1_sel:BYTE_1
	v_sub_u16_sdwa v120, v120, v202 dst_sel:DWORD dst_unused:UNUSED_PAD src0_sel:WORD_1 src1_sel:WORD_1
	v_sub_u16_sdwa v200, v200, v202 dst_sel:BYTE_1 dst_unused:UNUSED_PAD src0_sel:DWORD src1_sel:BYTE_3
	v_bitop3_b16 v204, v204, v205, s9 bitop3:0xec
	v_bitop3_b16 v120, v120, v200, s9 bitop3:0xec
	v_lshlrev_b32_e32 v120, 16, v120
	v_ashrrev_i32_e32 v202, s18, v203
	v_or_b32_sdwa v200, v204, v120 dst_sel:DWORD dst_unused:UNUSED_PAD src0_sel:WORD_0 src1_sel:DWORD
	v_ashrrev_i32_e32 v120, s20, v201
	v_lshlrev_b32_e32 v202, 2, v202
	v_bfe_u32 v201, v120, 24, 2
	v_and_b32_e32 v120, 0x3030303, v120
	v_and_b32_e32 v202, 0x4040404, v202
	v_sub_u16_e32 v203, v120, v202
	v_sub_u16_sdwa v204, v120, v202 dst_sel:BYTE_1 dst_unused:UNUSED_PAD src0_sel:BYTE_1 src1_sel:BYTE_1
	v_sub_u16_sdwa v120, v120, v202 dst_sel:DWORD dst_unused:UNUSED_PAD src0_sel:WORD_1 src1_sel:WORD_1
	v_sub_u16_sdwa v201, v201, v202 dst_sel:BYTE_1 dst_unused:UNUSED_PAD src0_sel:DWORD src1_sel:BYTE_3
	v_bitop3_b16 v203, v203, v204, s9 bitop3:0xec
	v_bitop3_b16 v120, v120, v201, s9 bitop3:0xec
	v_lshlrev_b32_e32 v120, 16, v120
	v_add_u32_e32 v202, 0x3180, v122
	v_or_b32_sdwa v201, v203, v120 dst_sel:DWORD dst_unused:UNUSED_PAD src0_sel:WORD_0 src1_sel:DWORD
	ds_read2_b32 v[202:203], v202 offset1:1
	ds_read2_b32 v[204:205], v212 offset1:1
	v_add3_u32 v120, s23, v181, v144
	ds_read_b32 v120, v120
	v_dot4c_i32_i8_e32 v216, v200, v34
	s_waitcnt lgkmcnt(2)
	v_ashrrev_i32_e32 v202, s20, v202
	s_waitcnt lgkmcnt(1)
	v_ashrrev_i32_e32 v204, s18, v204
	v_lshlrev_b32_e32 v204, 2, v204
	v_bfe_u32 v206, v202, 24, 2
	v_and_b32_e32 v202, 0x3030303, v202
	v_and_b32_e32 v204, 0x4040404, v204
	v_sub_u16_e32 v207, v202, v204
	v_sub_u16_sdwa v208, v202, v204 dst_sel:BYTE_1 dst_unused:UNUSED_PAD src0_sel:BYTE_1 src1_sel:BYTE_1
	v_sub_u16_sdwa v202, v202, v204 dst_sel:DWORD dst_unused:UNUSED_PAD src0_sel:WORD_1 src1_sel:WORD_1
	v_sub_u16_sdwa v204, v206, v204 dst_sel:BYTE_1 dst_unused:UNUSED_PAD src0_sel:DWORD src1_sel:BYTE_3
	v_ashrrev_i32_e32 v205, s18, v205
	v_bitop3_b16 v202, v202, v204, s9 bitop3:0xec
	v_ashrrev_i32_e32 v203, s20, v203
	v_lshlrev_b32_e32 v205, 2, v205
	v_bitop3_b16 v207, v207, v208, s9 bitop3:0xec
	v_lshlrev_b32_e32 v202, 16, v202
	v_bfe_u32 v204, v203, 24, 2
	v_and_b32_e32 v203, 0x3030303, v203
	v_and_b32_e32 v205, 0x4040404, v205
	v_or_b32_sdwa v202, v207, v202 dst_sel:DWORD dst_unused:UNUSED_PAD src0_sel:WORD_0 src1_sel:DWORD
	v_sub_u16_e32 v206, v203, v205
	v_sub_u16_sdwa v207, v203, v205 dst_sel:BYTE_1 dst_unused:UNUSED_PAD src0_sel:BYTE_1 src1_sel:BYTE_1
	v_sub_u16_sdwa v203, v203, v205 dst_sel:DWORD dst_unused:UNUSED_PAD src0_sel:WORD_1 src1_sel:WORD_1
	v_sub_u16_sdwa v204, v204, v205 dst_sel:BYTE_1 dst_unused:UNUSED_PAD src0_sel:DWORD src1_sel:BYTE_3
	v_bitop3_b16 v206, v206, v207, s9 bitop3:0xec
	v_bitop3_b16 v203, v203, v204, s9 bitop3:0xec
	v_lshlrev_b32_e32 v203, 16, v203
	v_add_u32_e32 v204, 0x3188, v122
	v_or_b32_sdwa v203, v206, v203 dst_sel:DWORD dst_unused:UNUSED_PAD src0_sel:WORD_0 src1_sel:DWORD
	ds_read2_b32 v[204:205], v204 offset1:1
	ds_read2_b32 v[206:207], v212 offset0:2 offset1:3
	v_dot4c_i32_i8_e32 v229, v202, v36
	v_dot4c_i32_i8_e32 v229, v203, v37
	;; [unrolled: 1-line block ×3, first 2 shown]
	s_waitcnt lgkmcnt(1)
	v_ashrrev_i32_e32 v204, s20, v204
	s_waitcnt lgkmcnt(0)
	v_ashrrev_i32_e32 v206, s18, v206
	v_lshlrev_b32_e32 v206, 2, v206
	v_bfe_u32 v208, v204, 24, 2
	v_and_b32_e32 v204, 0x3030303, v204
	v_and_b32_e32 v206, 0x4040404, v206
	v_sub_u16_e32 v209, v204, v206
	v_sub_u16_sdwa v213, v204, v206 dst_sel:BYTE_1 dst_unused:UNUSED_PAD src0_sel:BYTE_1 src1_sel:BYTE_1
	v_sub_u16_sdwa v204, v204, v206 dst_sel:DWORD dst_unused:UNUSED_PAD src0_sel:WORD_1 src1_sel:WORD_1
	v_sub_u16_sdwa v206, v208, v206 dst_sel:BYTE_1 dst_unused:UNUSED_PAD src0_sel:DWORD src1_sel:BYTE_3
	v_ashrrev_i32_e32 v207, s18, v207
	v_bitop3_b16 v204, v204, v206, s9 bitop3:0xec
	v_ashrrev_i32_e32 v205, s20, v205
	v_lshlrev_b32_e32 v207, 2, v207
	v_bitop3_b16 v209, v209, v213, s9 bitop3:0xec
	v_lshlrev_b32_e32 v204, 16, v204
	v_bfe_u32 v206, v205, 24, 2
	v_and_b32_e32 v205, 0x3030303, v205
	v_and_b32_e32 v207, 0x4040404, v207
	v_or_b32_sdwa v204, v209, v204 dst_sel:DWORD dst_unused:UNUSED_PAD src0_sel:WORD_0 src1_sel:DWORD
	v_sub_u16_e32 v208, v205, v207
	v_sub_u16_sdwa v209, v205, v207 dst_sel:BYTE_1 dst_unused:UNUSED_PAD src0_sel:BYTE_1 src1_sel:BYTE_1
	v_sub_u16_sdwa v205, v205, v207 dst_sel:DWORD dst_unused:UNUSED_PAD src0_sel:WORD_1 src1_sel:WORD_1
	v_sub_u16_sdwa v206, v206, v207 dst_sel:BYTE_1 dst_unused:UNUSED_PAD src0_sel:DWORD src1_sel:BYTE_3
	v_bitop3_b16 v208, v208, v209, s9 bitop3:0xec
	v_bitop3_b16 v205, v205, v206, s9 bitop3:0xec
	v_lshlrev_b32_e32 v205, 16, v205
	v_add_u32_e32 v206, 0x3190, v122
	v_or_b32_sdwa v205, v208, v205 dst_sel:DWORD dst_unused:UNUSED_PAD src0_sel:WORD_0 src1_sel:DWORD
	ds_read2_b32 v[206:207], v206 offset1:1
	ds_read2_b32 v[208:209], v212 offset0:4 offset1:5
	v_add_u32_e32 v122, 0x3198, v122
	v_dot4c_i32_i8_e32 v229, v204, v38
	v_dot4c_i32_i8_e32 v136, v133, v35
	s_waitcnt lgkmcnt(1)
	v_ashrrev_i32_e32 v206, s20, v206
	s_waitcnt lgkmcnt(0)
	v_ashrrev_i32_e32 v208, s18, v208
	v_lshlrev_b32_e32 v208, 2, v208
	v_bfe_u32 v213, v206, 24, 2
	v_and_b32_e32 v206, 0x3030303, v206
	v_and_b32_e32 v208, 0x4040404, v208
	v_sub_u16_e32 v214, v206, v208
	v_sub_u16_sdwa v215, v206, v208 dst_sel:BYTE_1 dst_unused:UNUSED_PAD src0_sel:BYTE_1 src1_sel:BYTE_1
	v_sub_u16_sdwa v206, v206, v208 dst_sel:DWORD dst_unused:UNUSED_PAD src0_sel:WORD_1 src1_sel:WORD_1
	v_sub_u16_sdwa v208, v213, v208 dst_sel:BYTE_1 dst_unused:UNUSED_PAD src0_sel:DWORD src1_sel:BYTE_3
	v_ashrrev_i32_e32 v209, s18, v209
	v_bitop3_b16 v206, v206, v208, s9 bitop3:0xec
	v_ashrrev_i32_e32 v207, s20, v207
	v_lshlrev_b32_e32 v209, 2, v209
	v_bitop3_b16 v214, v214, v215, s9 bitop3:0xec
	v_lshlrev_b32_e32 v206, 16, v206
	v_bfe_u32 v208, v207, 24, 2
	v_and_b32_e32 v207, 0x3030303, v207
	v_and_b32_e32 v209, 0x4040404, v209
	v_or_b32_sdwa v206, v214, v206 dst_sel:DWORD dst_unused:UNUSED_PAD src0_sel:WORD_0 src1_sel:DWORD
	v_sub_u16_e32 v213, v207, v209
	v_sub_u16_sdwa v214, v207, v209 dst_sel:BYTE_1 dst_unused:UNUSED_PAD src0_sel:BYTE_1 src1_sel:BYTE_1
	v_sub_u16_sdwa v207, v207, v209 dst_sel:DWORD dst_unused:UNUSED_PAD src0_sel:WORD_1 src1_sel:WORD_1
	v_sub_u16_sdwa v208, v208, v209 dst_sel:BYTE_1 dst_unused:UNUSED_PAD src0_sel:DWORD src1_sel:BYTE_3
	v_bitop3_b16 v213, v213, v214, s9 bitop3:0xec
	v_bitop3_b16 v207, v207, v208, s9 bitop3:0xec
	v_lshlrev_b32_e32 v207, 16, v207
	v_or_b32_sdwa v207, v213, v207 dst_sel:DWORD dst_unused:UNUSED_PAD src0_sel:WORD_0 src1_sel:DWORD
	ds_read2_b32 v[208:209], v122 offset1:1
	ds_read2_b32 v[212:213], v212 offset0:6 offset1:7
	v_dot4c_i32_i8_e32 v230, v206, v32
	v_dot4c_i32_i8_e32 v230, v207, v33
	;; [unrolled: 1-line block ×3, first 2 shown]
	s_waitcnt lgkmcnt(1)
	v_ashrrev_i32_e32 v122, s20, v208
	s_waitcnt lgkmcnt(0)
	v_ashrrev_i32_e32 v212, s18, v212
	v_lshlrev_b32_e32 v212, 2, v212
	v_bfe_u32 v208, v122, 24, 2
	v_and_b32_e32 v122, 0x3030303, v122
	v_and_b32_e32 v212, 0x4040404, v212
	v_sub_u16_e32 v214, v122, v212
	v_sub_u16_sdwa v215, v122, v212 dst_sel:BYTE_1 dst_unused:UNUSED_PAD src0_sel:BYTE_1 src1_sel:BYTE_1
	v_sub_u16_sdwa v122, v122, v212 dst_sel:DWORD dst_unused:UNUSED_PAD src0_sel:WORD_1 src1_sel:WORD_1
	v_sub_u16_sdwa v208, v208, v212 dst_sel:BYTE_1 dst_unused:UNUSED_PAD src0_sel:DWORD src1_sel:BYTE_3
	v_bitop3_b16 v214, v214, v215, s9 bitop3:0xec
	v_bitop3_b16 v122, v122, v208, s9 bitop3:0xec
	v_lshlrev_b32_e32 v122, 16, v122
	v_ashrrev_i32_e32 v212, s18, v213
	v_or_b32_sdwa v208, v214, v122 dst_sel:DWORD dst_unused:UNUSED_PAD src0_sel:WORD_0 src1_sel:DWORD
	v_ashrrev_i32_e32 v122, s20, v209
	v_lshlrev_b32_e32 v212, 2, v212
	v_bfe_u32 v209, v122, 24, 2
	v_and_b32_e32 v122, 0x3030303, v122
	v_and_b32_e32 v212, 0x4040404, v212
	v_sub_u16_e32 v213, v122, v212
	v_sub_u16_sdwa v214, v122, v212 dst_sel:BYTE_1 dst_unused:UNUSED_PAD src0_sel:BYTE_1 src1_sel:BYTE_1
	v_sub_u16_sdwa v122, v122, v212 dst_sel:DWORD dst_unused:UNUSED_PAD src0_sel:WORD_1 src1_sel:WORD_1
	v_sub_u16_sdwa v209, v209, v212 dst_sel:BYTE_1 dst_unused:UNUSED_PAD src0_sel:DWORD src1_sel:BYTE_3
	v_bitop3_b16 v213, v213, v214, s9 bitop3:0xec
	v_bitop3_b16 v122, v122, v209, s9 bitop3:0xec
	v_lshlrev_b32_e32 v122, 16, v122
	v_or_b32_sdwa v209, v213, v122 dst_sel:DWORD dst_unused:UNUSED_PAD src0_sel:WORD_0 src1_sel:DWORD
	v_add3_u32 v122, s23, v183, v148
	v_dot4c_i32_i8_e32 v230, v208, v34
	v_dot4c_i32_i8_e32 v139, v193, v35
	;; [unrolled: 1-line block ×4, first 2 shown]
	ds_read_b32 v122, v122
	v_dot4c_i32_i8_e32 v229, v205, v39
	v_dot4c_i32_i8_e32 v230, v209, v35
	ds_read_b128 v[32:35], v184 offset:1024
	ds_read_b128 v[36:39], v184 offset:1040
	v_mov_b32_e32 v214, 0
	v_mov_b32_e32 v215, 0
	;; [unrolled: 1-line block ×8, first 2 shown]
	s_waitcnt lgkmcnt(1)
	v_dot4c_i32_i8_e32 v214, v126, v32
	s_waitcnt lgkmcnt(0)
	v_dot4c_i32_i8_e32 v215, v130, v36
	v_dot4c_i32_i8_e32 v231, v186, v32
	;; [unrolled: 1-line block ×31, first 2 shown]
	ds_read2_b32 v[212:213], v185 offset0:64 offset1:96
	ds_read_b128 v[32:35], v184 offset:2048
	ds_read_b128 v[36:39], v184 offset:2064
	v_mov_b32_e32 v219, 0
	v_mov_b32_e32 v218, 0
	;; [unrolled: 1-line block ×8, first 2 shown]
	s_waitcnt lgkmcnt(1)
	v_dot4c_i32_i8_e32 v219, v126, v32
	s_waitcnt lgkmcnt(0)
	v_dot4c_i32_i8_e32 v218, v130, v36
	v_dot4c_i32_i8_e32 v237, v186, v32
	;; [unrolled: 1-line block ×15, first 2 shown]
	v_add_u32_e32 v134, s21, v121
	v_dot4c_i32_i8_e32 v219, v128, v34
	v_dot4c_i32_i8_e32 v218, v132, v38
	;; [unrolled: 1-line block ×16, first 2 shown]
	ds_read_b128 v[32:35], v184 offset:3072
	ds_read_b128 v[36:39], v184 offset:3088
	ds_read_u16 v134, v134 offset:33522
	v_add_u32_e32 v137, s21, v123
	v_add_u32_e32 v210, s21, v140
	;; [unrolled: 1-line block ×3, first 2 shown]
	v_mov_b32_e32 v220, 0
	s_waitcnt lgkmcnt(0)
	v_lshrrev_b16_e32 v222, 8, v134
	v_bfe_i32 v134, v134, 0, 8
	v_bfe_i32 v228, v222, 0, 8
	v_mul_lo_u32 v136, v136, v228
	v_mul_lo_u32 v214, v214, v134
	v_mad_u64_u32 v[214:215], s[20:21], v215, v228, v[214:215]
	v_mad_u64_u32 v[222:223], s[20:21], v135, v134, v[136:137]
	v_cvt_f32_i32_e32 v215, v222
	v_cvt_f32_i32_e32 v214, v214
	v_dot4c_i32_i8_e32 v220, v126, v32
	v_mov_b32_e32 v221, 0
	v_dot4c_i32_i8_e32 v220, v127, v33
	v_dot4c_i32_i8_e32 v221, v130, v36
	v_mov_b32_e32 v224, v125
	v_mov_b32_e32 v225, v124
	v_dot4c_i32_i8_e32 v220, v128, v34
	v_dot4c_i32_i8_e32 v221, v131, v37
	v_pk_mul_f32 v[124:125], v[116:117], v[224:225] op_sel_hi:[0,1]
	v_dot4c_i32_i8_e32 v220, v129, v35
	v_dot4c_i32_i8_e32 v221, v132, v38
	v_pk_fma_f32 v[16:17], v[124:125], v[214:215], v[16:17]
	ds_read_u16 v124, v137 offset:34546
	v_dot4c_i32_i8_e32 v221, v133, v39
	v_mul_lo_u32 v218, v218, v228
	v_mul_lo_u32 v220, v220, v134
	v_mad_u64_u32 v[218:219], s[20:21], v219, v134, v[218:219]
	v_mad_u64_u32 v[220:221], s[20:21], v221, v228, v[220:221]
	v_mov_b32_e32 v125, 0
	v_cvt_f32_i32_e32 v219, v218
	v_cvt_f32_i32_e32 v218, v220
	v_dot4c_i32_i8_e32 v125, v186, v32
	v_dot4c_i32_i8_e32 v125, v187, v33
	v_mov_b32_e32 v226, v213
	v_mov_b32_e32 v227, v212
	v_dot4c_i32_i8_e32 v125, v188, v34
	s_waitcnt lgkmcnt(0)
	v_lshrrev_b16_e32 v136, 8, v124
	v_pk_mul_f32 v[212:213], v[116:117], v[226:227] op_sel_hi:[0,1]
	v_dot4c_i32_i8_e32 v125, v189, v35
	v_bfe_i32 v214, v124, 0, 8
	v_bfe_i32 v215, v136, 0, 8
	v_pk_fma_f32 v[18:19], v[212:213], v[218:219], v[18:19]
	v_mul_lo_u32 v124, v139, v215
	v_mul_lo_u32 v136, v231, v214
	;; [unrolled: 1-line block ×3, first 2 shown]
                                        ; kill: def $vgpr125 killed $sgpr0 killed $exec
	v_mov_b32_e32 v135, 0
	v_mad_u64_u32 v[136:137], s[20:21], v232, v215, v[136:137]
	v_mad_u64_u32 v[124:125], s[20:21], v138, v214, v[124:125]
	v_dot4c_i32_i8_e32 v135, v190, v36
	v_cvt_f32_i32_e32 v125, v124
	v_cvt_f32_i32_e32 v124, v136
	v_dot4c_i32_i8_e32 v135, v191, v37
	v_dot4c_i32_i8_e32 v135, v192, v38
	;; [unrolled: 1-line block ×3, first 2 shown]
	v_mul_lo_u32 v212, v238, v215
	v_pk_mul_f32 v[138:139], v[118:119], v[224:225] op_sel_hi:[0,1]
	v_mad_u64_u32 v[212:213], s[20:21], v237, v214, v[212:213]
	v_mad_u64_u32 v[218:219], s[20:21], v135, v215, v[218:219]
	v_pk_fma_f32 v[28:29], v[138:139], v[124:125], v[28:29]
	ds_read_u16 v124, v210 offset:35570
	v_cvt_f32_i32_e32 v137, v212
	v_cvt_f32_i32_e32 v136, v218
	v_mov_b32_e32 v125, 0
	v_dot4c_i32_i8_e32 v125, v194, v32
	v_pk_mul_f32 v[220:221], v[118:119], v[226:227] op_sel_hi:[0,1]
	v_dot4c_i32_i8_e32 v125, v195, v33
	v_pk_fma_f32 v[30:31], v[220:221], v[136:137], v[30:31]
	v_dot4c_i32_i8_e32 v125, v196, v34
	s_waitcnt lgkmcnt(0)
	v_lshrrev_b16_e32 v136, 8, v124
	v_dot4c_i32_i8_e32 v125, v197, v35
	v_bfe_i32 v212, v124, 0, 8
	v_bfe_i32 v213, v136, 0, 8
	v_mov_b32_e32 v135, 0
	v_mul_lo_u32 v124, v216, v213
	v_mul_lo_u32 v136, v233, v212
	;; [unrolled: 1-line block ×3, first 2 shown]
                                        ; kill: def $vgpr125 killed $sgpr0 killed $exec
	v_dot4c_i32_i8_e32 v135, v198, v36
	v_mad_u64_u32 v[136:137], s[20:21], v234, v213, v[136:137]
	v_mad_u64_u32 v[124:125], s[20:21], v211, v212, v[124:125]
	v_dot4c_i32_i8_e32 v135, v199, v37
	v_cvt_f32_i32_e32 v125, v124
	v_cvt_f32_i32_e32 v124, v136
	v_dot4c_i32_i8_e32 v135, v200, v38
	v_dot4c_i32_i8_e32 v135, v201, v39
	v_mul_lo_u32 v138, v240, v213
	v_mad_u64_u32 v[138:139], s[20:21], v239, v212, v[138:139]
	s_nop 0
	v_mad_u64_u32 v[218:219], s[20:21], v135, v213, v[210:211]
	v_pk_mul_f32 v[210:211], v[120:121], v[224:225] op_sel_hi:[0,1]
	v_pk_fma_f32 v[24:25], v[210:211], v[124:125], v[24:25]
	v_mov_b32_e32 v124, 0
	v_dot4c_i32_i8_e32 v124, v202, v32
	ds_read_u16 v32, v217 offset:36594
	v_dot4c_i32_i8_e32 v124, v203, v33
	v_mov_b32_e32 v33, 0
	v_dot4c_i32_i8_e32 v33, v206, v36
	v_dot4c_i32_i8_e32 v124, v204, v34
	;; [unrolled: 1-line block ×5, first 2 shown]
	s_waitcnt lgkmcnt(0)
	v_lshrrev_b16_e32 v34, 8, v32
	v_bfe_i32 v210, v32, 0, 8
	v_dot4c_i32_i8_e32 v33, v209, v39
	v_bfe_i32 v211, v34, 0, 8
	v_mul_lo_u32 v38, v124, v210
	v_mul_lo_u32 v32, v230, v211
	;; [unrolled: 1-line block ×4, first 2 shown]
                                        ; kill: def $vgpr35 killed $sgpr0 killed $exec
	v_mad_u64_u32 v[38:39], s[20:21], v33, v211, v[38:39]
                                        ; kill: def $vgpr33 killed $sgpr0 killed $exec
	v_cvt_f32_i32_e32 v137, v138
	v_cvt_f32_i32_e32 v136, v218
	v_mad_u64_u32 v[36:37], s[20:21], v241, v210, v[36:37]
	v_mad_u64_u32 v[34:35], s[20:21], v236, v211, v[34:35]
	;; [unrolled: 1-line block ×3, first 2 shown]
	v_cvt_f32_i32_e32 v33, v32
	v_cvt_f32_i32_e32 v32, v34
	;; [unrolled: 1-line block ×4, first 2 shown]
	v_pk_mul_f32 v[220:221], v[120:121], v[226:227] op_sel_hi:[0,1]
	v_pk_fma_f32 v[26:27], v[220:221], v[136:137], v[26:27]
	v_pk_mul_f32 v[124:125], v[122:123], v[224:225] op_sel_hi:[0,1]
	v_pk_mul_f32 v[136:137], v[122:123], v[226:227] op_sel_hi:[0,1]
	v_pk_fma_f32 v[22:23], v[136:137], v[34:35], v[22:23]
	v_pk_fma_f32 v[20:21], v[124:125], v[32:33], v[20:21]
	ds_read2_b32 v[124:125], v185 offset0:128 offset1:160
	ds_read_b128 v[32:35], v184 offset:4096
	ds_read_b128 v[36:39], v184 offset:4112
	v_mov_b32_e32 v135, 0
	v_mov_b32_e32 v138, 0
	;; [unrolled: 1-line block ×8, first 2 shown]
	s_waitcnt lgkmcnt(1)
	v_dot4c_i32_i8_e32 v135, v126, v32
	s_waitcnt lgkmcnt(0)
	v_dot4c_i32_i8_e32 v138, v130, v36
	v_dot4c_i32_i8_e32 v224, v186, v32
	;; [unrolled: 1-line block ×31, first 2 shown]
	ds_read_b128 v[32:35], v184 offset:5120
	ds_read_b128 v[36:39], v184 offset:5136
	v_mov_b32_e32 v139, 0
	v_mov_b32_e32 v235, 0
	;; [unrolled: 1-line block ×8, first 2 shown]
	s_waitcnt lgkmcnt(1)
	v_dot4c_i32_i8_e32 v139, v126, v32
	s_waitcnt lgkmcnt(0)
	v_dot4c_i32_i8_e32 v235, v130, v36
	v_dot4c_i32_i8_e32 v227, v186, v32
	;; [unrolled: 1-line block ×31, first 2 shown]
	ds_read2_b32 v[136:137], v185 offset0:192 offset1:224
	ds_read_b128 v[32:35], v184 offset:6144
	ds_read_b128 v[36:39], v184 offset:6160
	v_mov_b32_e32 v236, 0
	v_mov_b32_e32 v237, 0
	;; [unrolled: 1-line block ×8, first 2 shown]
	s_waitcnt lgkmcnt(1)
	v_dot4c_i32_i8_e32 v236, v126, v32
	s_waitcnt lgkmcnt(0)
	v_dot4c_i32_i8_e32 v237, v130, v36
	v_dot4c_i32_i8_e32 v233, v186, v32
	v_dot4c_i32_i8_e32 v234, v190, v36
	v_dot4c_i32_i8_e32 v231, v194, v32
	v_dot4c_i32_i8_e32 v232, v198, v36
	v_dot4c_i32_i8_e32 v229, v202, v32
	v_dot4c_i32_i8_e32 v230, v206, v36
	v_dot4c_i32_i8_e32 v236, v127, v33
	v_dot4c_i32_i8_e32 v237, v131, v37
	v_dot4c_i32_i8_e32 v233, v187, v33
	v_dot4c_i32_i8_e32 v234, v191, v37
	v_dot4c_i32_i8_e32 v231, v195, v33
	v_dot4c_i32_i8_e32 v232, v199, v37
	v_dot4c_i32_i8_e32 v229, v203, v33
	v_dot4c_i32_i8_e32 v230, v207, v37
	v_dot4c_i32_i8_e32 v236, v128, v34
	v_dot4c_i32_i8_e32 v237, v132, v38
	v_dot4c_i32_i8_e32 v233, v188, v34
	v_dot4c_i32_i8_e32 v234, v192, v38
	v_dot4c_i32_i8_e32 v231, v196, v34
	v_dot4c_i32_i8_e32 v232, v200, v38
	v_dot4c_i32_i8_e32 v229, v204, v34
	v_dot4c_i32_i8_e32 v230, v208, v38
	v_dot4c_i32_i8_e32 v236, v129, v35
	v_dot4c_i32_i8_e32 v237, v133, v39
	v_dot4c_i32_i8_e32 v233, v189, v35
	v_dot4c_i32_i8_e32 v234, v193, v39
	v_dot4c_i32_i8_e32 v231, v197, v35
	v_dot4c_i32_i8_e32 v232, v201, v39
	v_dot4c_i32_i8_e32 v229, v205, v35
	v_dot4c_i32_i8_e32 v230, v209, v39
	ds_read_b128 v[36:39], v184 offset:7168
	ds_read_b128 v[32:35], v184 offset:7184
	v_mov_b32_e32 v238, 0
	s_add_i32 s17, s17, 2
	s_add_i32 s18, s18, 1
	s_waitcnt lgkmcnt(1)
	v_dot4c_i32_i8_e32 v238, v126, v36
	v_dot4c_i32_i8_e32 v238, v127, v37
	v_mov_b32_e32 v127, 0
	s_waitcnt lgkmcnt(0)
	v_dot4c_i32_i8_e32 v127, v130, v32
	v_dot4c_i32_i8_e32 v238, v128, v38
	;; [unrolled: 1-line block ×6, first 2 shown]
	v_mul_lo_u32 v128, v237, v228
	v_mul_lo_u32 v126, v238, v134
                                        ; kill: def $vgpr129 killed $sgpr0 killed $exec
	v_mul_lo_u32 v132, v138, v228
	v_mad_u64_u32 v[126:127], s[20:21], v127, v228, v[126:127]
	v_mad_u64_u32 v[128:129], s[20:21], v236, v134, v[128:129]
	v_cvt_f32_i32_e32 v127, v128
	v_cvt_f32_i32_e32 v126, v126
	v_mul_lo_u32 v130, v139, v134
	v_mad_u64_u32 v[132:133], s[20:21], v135, v134, v[132:133]
	v_mov_b32_e32 v134, v125
	v_mov_b32_e32 v135, v124
	;; [unrolled: 1-line block ×4, first 2 shown]
	v_pk_mul_f32 v[136:137], v[116:117], v[124:125] op_sel_hi:[0,1]
	v_mad_u64_u32 v[130:131], s[20:21], v235, v228, v[130:131]
	v_pk_fma_f32 v[14:15], v[136:137], v[126:127], v[14:15]
	v_mov_b32_e32 v127, 0
	v_cvt_f32_i32_e32 v131, v132
	v_cvt_f32_i32_e32 v130, v130
	v_dot4c_i32_i8_e32 v127, v186, v36
	v_dot4c_i32_i8_e32 v127, v187, v37
	v_mov_b32_e32 v129, 0
	v_dot4c_i32_i8_e32 v127, v188, v38
	v_dot4c_i32_i8_e32 v129, v190, v32
	v_pk_mul_f32 v[138:139], v[116:117], v[134:135] op_sel_hi:[0,1]
	v_dot4c_i32_i8_e32 v127, v189, v39
	v_dot4c_i32_i8_e32 v129, v191, v33
	v_pk_fma_f32 v[12:13], v[138:139], v[130:131], v[12:13]
	v_dot4c_i32_i8_e32 v129, v192, v34
	v_mul_lo_u32 v116, v225, v215
	v_mul_lo_u32 v126, v227, v214
	;; [unrolled: 1-line block ×3, first 2 shown]
                                        ; kill: def $vgpr127 killed $sgpr0 killed $exec
	v_dot4c_i32_i8_e32 v129, v193, v35
	v_mul_lo_u32 v128, v234, v215
	v_mad_u64_u32 v[126:127], s[20:21], v226, v215, v[126:127]
	v_mad_u64_u32 v[132:133], s[20:21], v224, v214, v[116:117]
	;; [unrolled: 1-line block ×4, first 2 shown]
	v_cvt_f32_i32_e32 v127, v132
	v_cvt_f32_i32_e32 v126, v126
	;; [unrolled: 1-line block ×4, first 2 shown]
	v_pk_mul_f32 v[136:137], v[118:119], v[134:135] op_sel_hi:[0,1]
	v_mul_lo_u32 v116, v221, v213
	v_pk_mul_f32 v[138:139], v[118:119], v[124:125] op_sel_hi:[0,1]
	v_pk_fma_f32 v[8:9], v[136:137], v[126:127], v[8:9]
	v_mov_b32_e32 v127, 0
	v_mad_u64_u32 v[132:133], s[20:21], v220, v212, v[116:117]
	v_mov_b32_e32 v116, 0
	v_pk_fma_f32 v[10:11], v[138:139], v[128:129], v[10:11]
	v_dot4c_i32_i8_e32 v127, v194, v36
	v_mov_b32_e32 v129, 0
	v_dot4c_i32_i8_e32 v116, v202, v36
	v_dot4c_i32_i8_e32 v127, v195, v37
	;; [unrolled: 1-line block ×4, first 2 shown]
	v_mov_b32_e32 v37, 0
	v_dot4c_i32_i8_e32 v127, v196, v38
	v_dot4c_i32_i8_e32 v129, v199, v33
	;; [unrolled: 1-line block ×8, first 2 shown]
	v_mul_lo_u32 v126, v232, v213
	v_mul_lo_u32 v128, v127, v212
                                        ; kill: def $vgpr127 killed $sgpr0 killed $exec
	v_dot4c_i32_i8_e32 v116, v205, v39
	v_dot4c_i32_i8_e32 v37, v208, v34
	v_mul_lo_u32 v118, v223, v212
	v_mad_u64_u32 v[128:129], s[20:21], v129, v213, v[128:129]
	v_mad_u64_u32 v[126:127], s[20:21], v231, v212, v[126:127]
	v_dot4c_i32_i8_e32 v37, v209, v35
	v_mul_lo_u32 v32, v217, v211
	v_mul_lo_u32 v34, v219, v210
	;; [unrolled: 1-line block ×4, first 2 shown]
                                        ; kill: def $vgpr33 killed $sgpr0 killed $exec
	v_mad_u64_u32 v[130:131], s[20:21], v222, v213, v[118:119]
	v_cvt_f32_i32_e32 v127, v126
	v_cvt_f32_i32_e32 v126, v128
	v_mad_u64_u32 v[38:39], s[20:21], v37, v211, v[38:39]
	v_mad_u64_u32 v[36:37], s[20:21], v229, v210, v[36:37]
	;; [unrolled: 1-line block ×4, first 2 shown]
	v_cvt_f32_i32_e32 v131, v132
	v_cvt_f32_i32_e32 v130, v130
	;; [unrolled: 1-line block ×6, first 2 shown]
	v_pk_mul_f32 v[138:139], v[120:121], v[124:125] op_sel_hi:[0,1]
	v_pk_mul_f32 v[136:137], v[120:121], v[134:135] op_sel_hi:[0,1]
	v_pk_fma_f32 v[6:7], v[138:139], v[126:127], v[6:7]
	v_pk_mul_f32 v[126:127], v[122:123], v[134:135] op_sel_hi:[0,1]
	v_pk_mul_f32 v[124:125], v[122:123], v[124:125] op_sel_hi:[0,1]
	v_pk_fma_f32 v[4:5], v[136:137], v[130:131], v[4:5]
	v_pk_fma_f32 v[2:3], v[124:125], v[34:35], v[2:3]
	;; [unrolled: 1-line block ×3, first 2 shown]
	v_add_u32_e32 v185, 4, v185
	v_add_u32_e32 v184, 32, v184
	s_cmp_lt_u32 s19, 30
	s_mov_b32 s21, s19
	s_cbranch_scc1 .LBB129_14
; %bb.15:                               ;   in Loop: Header=BB129_6 Depth=1
	s_barrier
	s_branch .LBB129_5
.LBB129_16:
	v_mov_b32_e32 v0, 0
	v_mov_b32_e32 v2, v0
	;; [unrolled: 1-line block ×4, first 2 shown]
	v_mov_b64_e32 v[22:23], v[2:3]
	v_mov_b64_e32 v[6:7], v[2:3]
	;; [unrolled: 1-line block ×14, first 2 shown]
	v_cmp_gt_u32_e32 vcc, s8, v89
	s_and_saveexec_b64 s[0:1], vcc
	s_cbranch_execnz .LBB129_19
.LBB129_17:
	s_endpgm
.LBB129_18:
	v_mov_b32_e32 v32, v45
	v_cmp_gt_u32_e32 vcc, s8, v89
	s_and_saveexec_b64 s[0:1], vcc
	s_cbranch_execz .LBB129_17
.LBB129_19:
	v_add_u32_e32 v33, s6, v41
	v_mul_lo_u32 v34, v89, s10
	v_cmp_gt_u32_e32 vcc, s10, v33
	s_and_saveexec_b64 s[0:1], vcc
	s_cbranch_execz .LBB129_21
; %bb.20:
	v_add_u32_e32 v36, v33, v34
	v_mov_b32_e32 v37, 0
	s_waitcnt lgkmcnt(0)
	v_lshl_add_u64 v[36:37], v[36:37], 2, s[12:13]
	global_store_dword v[36:37], v17, off
.LBB129_21:
	s_or_b64 exec, exec, s[0:1]
	v_add_u32_e32 v17, 32, v33
	v_cmp_gt_u32_e64 s[0:1], s10, v17
	s_and_saveexec_b64 s[2:3], s[0:1]
	s_cbranch_execz .LBB129_23
; %bb.22:
	v_add_u32_e32 v36, v17, v34
	v_mov_b32_e32 v37, 0
	s_waitcnt lgkmcnt(0)
	v_lshl_add_u64 v[36:37], v[36:37], 2, s[12:13]
	global_store_dword v[36:37], v29, off
.LBB129_23:
	s_or_b64 exec, exec, s[2:3]
	v_add_u32_e32 v29, 64, v33
	v_cmp_gt_u32_e64 s[2:3], s10, v29
	s_and_saveexec_b64 s[4:5], s[2:3]
	;; [unrolled: 12-line block ×3, first 2 shown]
	s_cbranch_execz .LBB129_27
; %bb.26:
	v_add_u32_e32 v34, v25, v34
	v_mov_b32_e32 v35, 0
	s_waitcnt lgkmcnt(0)
	v_lshl_add_u64 v[34:35], v[34:35], 2, s[12:13]
	global_store_dword v[34:35], v21, off
.LBB129_27:
	s_or_b64 exec, exec, s[6:7]
	v_add3_u32 v21, v32, s11, 8
	v_cmp_gt_u32_e64 s[6:7], s8, v21
	s_and_b64 exec, exec, s[6:7]
	s_cbranch_execz .LBB129_17
; %bb.28:
	v_mul_lo_u32 v21, v21, s10
	s_and_saveexec_b64 s[6:7], vcc
	s_cbranch_execnz .LBB129_68
; %bb.29:
	s_or_b64 exec, exec, s[6:7]
	s_and_saveexec_b64 s[6:7], s[0:1]
	s_cbranch_execnz .LBB129_69
.LBB129_30:
	s_or_b64 exec, exec, s[6:7]
	s_and_saveexec_b64 s[6:7], s[2:3]
	s_cbranch_execnz .LBB129_70
.LBB129_31:
	s_or_b64 exec, exec, s[6:7]
	s_and_saveexec_b64 s[6:7], s[4:5]
	s_cbranch_execz .LBB129_33
.LBB129_32:
	v_add_u32_e32 v34, v21, v25
	v_mov_b32_e32 v35, 0
	s_waitcnt lgkmcnt(0)
	v_lshl_add_u64 v[34:35], v[34:35], 2, s[12:13]
	global_store_dword v[34:35], v20, off
.LBB129_33:
	s_or_b64 exec, exec, s[6:7]
	v_add3_u32 v16, v32, s11, 16
	v_cmp_gt_u32_e64 s[6:7], s8, v16
	s_and_b64 exec, exec, s[6:7]
	s_cbranch_execz .LBB129_17
; %bb.34:
	v_mul_lo_u32 v16, v16, s10
	s_and_saveexec_b64 s[6:7], vcc
	s_cbranch_execnz .LBB129_71
; %bb.35:
	s_or_b64 exec, exec, s[6:7]
	s_and_saveexec_b64 s[6:7], s[0:1]
	s_cbranch_execnz .LBB129_72
.LBB129_36:
	s_or_b64 exec, exec, s[6:7]
	s_and_saveexec_b64 s[6:7], s[2:3]
	s_cbranch_execnz .LBB129_73
.LBB129_37:
	s_or_b64 exec, exec, s[6:7]
	s_and_saveexec_b64 s[6:7], s[4:5]
	s_cbranch_execz .LBB129_39
.LBB129_38:
	v_add_u32_e32 v20, v16, v25
	v_mov_b32_e32 v21, 0
	s_waitcnt lgkmcnt(0)
	v_lshl_add_u64 v[20:21], v[20:21], 2, s[12:13]
	global_store_dword v[20:21], v23, off
.LBB129_39:
	s_or_b64 exec, exec, s[6:7]
	v_add3_u32 v16, v32, s11, 24
	v_cmp_gt_u32_e64 s[6:7], s8, v16
	s_and_b64 exec, exec, s[6:7]
	s_cbranch_execz .LBB129_17
; %bb.40:
	v_mul_lo_u32 v16, v16, s10
	s_and_saveexec_b64 s[6:7], vcc
	s_cbranch_execnz .LBB129_74
; %bb.41:
	s_or_b64 exec, exec, s[6:7]
	s_and_saveexec_b64 s[6:7], s[0:1]
	s_cbranch_execnz .LBB129_75
.LBB129_42:
	s_or_b64 exec, exec, s[6:7]
	s_and_saveexec_b64 s[6:7], s[2:3]
	s_cbranch_execnz .LBB129_76
.LBB129_43:
	s_or_b64 exec, exec, s[6:7]
	s_and_saveexec_b64 s[6:7], s[4:5]
	s_cbranch_execz .LBB129_45
.LBB129_44:
	v_add_u32_e32 v18, v16, v25
	v_mov_b32_e32 v19, 0
	s_waitcnt lgkmcnt(0)
	v_lshl_add_u64 v[18:19], v[18:19], 2, s[12:13]
	global_store_dword v[18:19], v22, off
.LBB129_45:
	s_or_b64 exec, exec, s[6:7]
	v_add3_u32 v16, v32, s11, 32
	v_cmp_gt_u32_e64 s[6:7], s8, v16
	s_and_b64 exec, exec, s[6:7]
	s_cbranch_execz .LBB129_17
; %bb.46:
	v_mul_lo_u32 v16, v16, s10
	s_and_saveexec_b64 s[6:7], vcc
	s_cbranch_execnz .LBB129_77
; %bb.47:
	s_or_b64 exec, exec, s[6:7]
	s_and_saveexec_b64 s[6:7], s[0:1]
	s_cbranch_execnz .LBB129_78
.LBB129_48:
	s_or_b64 exec, exec, s[6:7]
	s_and_saveexec_b64 s[6:7], s[2:3]
	s_cbranch_execnz .LBB129_79
.LBB129_49:
	s_or_b64 exec, exec, s[6:7]
	s_and_saveexec_b64 s[6:7], s[4:5]
	s_cbranch_execz .LBB129_51
.LBB129_50:
	v_add_u32_e32 v18, v16, v25
	v_mov_b32_e32 v19, 0
	s_waitcnt lgkmcnt(0)
	v_lshl_add_u64 v[18:19], v[18:19], 2, s[12:13]
	global_store_dword v[18:19], v1, off
.LBB129_51:
	s_or_b64 exec, exec, s[6:7]
	v_add3_u32 v1, v32, s11, 40
	v_cmp_gt_u32_e64 s[6:7], s8, v1
	s_and_b64 exec, exec, s[6:7]
	s_cbranch_execz .LBB129_17
; %bb.52:
	v_mul_lo_u32 v1, v1, s10
	s_and_saveexec_b64 s[6:7], vcc
	s_cbranch_execnz .LBB129_80
; %bb.53:
	s_or_b64 exec, exec, s[6:7]
	s_and_saveexec_b64 s[6:7], s[0:1]
	s_cbranch_execnz .LBB129_81
.LBB129_54:
	s_or_b64 exec, exec, s[6:7]
	s_and_saveexec_b64 s[6:7], s[2:3]
	s_cbranch_execnz .LBB129_82
.LBB129_55:
	s_or_b64 exec, exec, s[6:7]
	s_and_saveexec_b64 s[6:7], s[4:5]
	s_cbranch_execz .LBB129_57
.LBB129_56:
	v_add_u32_e32 v4, v1, v25
	v_mov_b32_e32 v5, 0
	s_waitcnt lgkmcnt(0)
	v_lshl_add_u64 v[4:5], v[4:5], 2, s[12:13]
	global_store_dword v[4:5], v0, off
.LBB129_57:
	s_or_b64 exec, exec, s[6:7]
	v_add3_u32 v0, v32, s11, 48
	v_cmp_gt_u32_e64 s[6:7], s8, v0
	s_and_b64 exec, exec, s[6:7]
	s_cbranch_execz .LBB129_17
; %bb.58:
	v_mul_lo_u32 v0, v0, s10
	s_and_saveexec_b64 s[6:7], vcc
	s_cbranch_execnz .LBB129_83
; %bb.59:
	s_or_b64 exec, exec, s[6:7]
	s_and_saveexec_b64 s[6:7], s[0:1]
	s_cbranch_execnz .LBB129_84
.LBB129_60:
	s_or_b64 exec, exec, s[6:7]
	s_and_saveexec_b64 s[6:7], s[2:3]
	s_cbranch_execnz .LBB129_85
.LBB129_61:
	s_or_b64 exec, exec, s[6:7]
	s_and_saveexec_b64 s[6:7], s[4:5]
	s_cbranch_execz .LBB129_63
.LBB129_62:
	v_add_u32_e32 v0, v0, v25
	v_mov_b32_e32 v1, 0
	s_waitcnt lgkmcnt(0)
	v_lshl_add_u64 v[0:1], v[0:1], 2, s[12:13]
	global_store_dword v[0:1], v3, off
.LBB129_63:
	s_or_b64 exec, exec, s[6:7]
	v_add3_u32 v0, v32, s11, 56
	v_cmp_gt_u32_e64 s[6:7], s8, v0
	s_and_b64 exec, exec, s[6:7]
	s_cbranch_execz .LBB129_17
; %bb.64:
	v_mul_lo_u32 v0, v0, s10
	s_and_saveexec_b64 s[6:7], vcc
	s_cbranch_execnz .LBB129_86
; %bb.65:
	s_or_b64 exec, exec, s[6:7]
	s_and_saveexec_b64 s[6:7], s[0:1]
	s_cbranch_execnz .LBB129_87
.LBB129_66:
	s_or_b64 exec, exec, s[6:7]
	s_and_saveexec_b64 s[0:1], s[2:3]
	s_cbranch_execnz .LBB129_88
.LBB129_67:
	s_or_b64 exec, exec, s[0:1]
	s_and_b64 exec, exec, s[4:5]
	s_cbranch_execz .LBB129_17
	s_branch .LBB129_89
.LBB129_68:
	v_add_u32_e32 v34, v21, v33
	v_mov_b32_e32 v35, 0
	s_waitcnt lgkmcnt(0)
	v_lshl_add_u64 v[34:35], v[34:35], 2, s[12:13]
	global_store_dword v[34:35], v16, off
	s_or_b64 exec, exec, s[6:7]
	s_and_saveexec_b64 s[6:7], s[0:1]
	s_cbranch_execz .LBB129_30
.LBB129_69:
	v_add_u32_e32 v34, v21, v17
	v_mov_b32_e32 v35, 0
	s_waitcnt lgkmcnt(0)
	v_lshl_add_u64 v[34:35], v[34:35], 2, s[12:13]
	global_store_dword v[34:35], v28, off
	s_or_b64 exec, exec, s[6:7]
	s_and_saveexec_b64 s[6:7], s[2:3]
	s_cbranch_execz .LBB129_31
.LBB129_70:
	v_add_u32_e32 v34, v21, v29
	v_mov_b32_e32 v35, 0
	s_waitcnt lgkmcnt(0)
	v_lshl_add_u64 v[34:35], v[34:35], 2, s[12:13]
	global_store_dword v[34:35], v24, off
	s_or_b64 exec, exec, s[6:7]
	s_and_saveexec_b64 s[6:7], s[4:5]
	s_cbranch_execnz .LBB129_32
	s_branch .LBB129_33
.LBB129_71:
	v_add_u32_e32 v20, v16, v33
	v_mov_b32_e32 v21, 0
	s_waitcnt lgkmcnt(0)
	v_lshl_add_u64 v[20:21], v[20:21], 2, s[12:13]
	global_store_dword v[20:21], v19, off
	s_or_b64 exec, exec, s[6:7]
	s_and_saveexec_b64 s[6:7], s[0:1]
	s_cbranch_execz .LBB129_36
.LBB129_72:
	v_add_u32_e32 v20, v16, v17
	v_mov_b32_e32 v21, 0
	s_waitcnt lgkmcnt(0)
	v_lshl_add_u64 v[20:21], v[20:21], 2, s[12:13]
	global_store_dword v[20:21], v31, off
	s_or_b64 exec, exec, s[6:7]
	s_and_saveexec_b64 s[6:7], s[2:3]
	s_cbranch_execz .LBB129_37
.LBB129_73:
	v_add_u32_e32 v20, v16, v29
	v_mov_b32_e32 v21, 0
	s_waitcnt lgkmcnt(0)
	v_lshl_add_u64 v[20:21], v[20:21], 2, s[12:13]
	global_store_dword v[20:21], v27, off
	s_or_b64 exec, exec, s[6:7]
	s_and_saveexec_b64 s[6:7], s[4:5]
	s_cbranch_execnz .LBB129_38
	s_branch .LBB129_39
.LBB129_74:
	v_add_u32_e32 v20, v16, v33
	v_mov_b32_e32 v21, 0
	s_waitcnt lgkmcnt(0)
	v_lshl_add_u64 v[20:21], v[20:21], 2, s[12:13]
	global_store_dword v[20:21], v18, off
	s_or_b64 exec, exec, s[6:7]
	s_and_saveexec_b64 s[6:7], s[0:1]
	s_cbranch_execz .LBB129_42
.LBB129_75:
	v_add_u32_e32 v18, v16, v17
	v_mov_b32_e32 v19, 0
	s_waitcnt lgkmcnt(0)
	v_lshl_add_u64 v[18:19], v[18:19], 2, s[12:13]
	global_store_dword v[18:19], v30, off
	s_or_b64 exec, exec, s[6:7]
	s_and_saveexec_b64 s[6:7], s[2:3]
	s_cbranch_execz .LBB129_43
.LBB129_76:
	v_add_u32_e32 v18, v16, v29
	v_mov_b32_e32 v19, 0
	s_waitcnt lgkmcnt(0)
	v_lshl_add_u64 v[18:19], v[18:19], 2, s[12:13]
	global_store_dword v[18:19], v26, off
	s_or_b64 exec, exec, s[6:7]
	s_and_saveexec_b64 s[6:7], s[4:5]
	s_cbranch_execnz .LBB129_44
	s_branch .LBB129_45
.LBB129_77:
	v_add_u32_e32 v18, v16, v33
	v_mov_b32_e32 v19, 0
	s_waitcnt lgkmcnt(0)
	v_lshl_add_u64 v[18:19], v[18:19], 2, s[12:13]
	global_store_dword v[18:19], v13, off
	s_or_b64 exec, exec, s[6:7]
	s_and_saveexec_b64 s[6:7], s[0:1]
	s_cbranch_execz .LBB129_48
.LBB129_78:
	v_add_u32_e32 v18, v16, v17
	v_mov_b32_e32 v19, 0
	s_waitcnt lgkmcnt(0)
	v_lshl_add_u64 v[18:19], v[18:19], 2, s[12:13]
	global_store_dword v[18:19], v9, off
	s_or_b64 exec, exec, s[6:7]
	s_and_saveexec_b64 s[6:7], s[2:3]
	s_cbranch_execz .LBB129_49
.LBB129_79:
	v_add_u32_e32 v18, v16, v29
	v_mov_b32_e32 v19, 0
	s_waitcnt lgkmcnt(0)
	v_lshl_add_u64 v[18:19], v[18:19], 2, s[12:13]
	global_store_dword v[18:19], v5, off
	s_or_b64 exec, exec, s[6:7]
	s_and_saveexec_b64 s[6:7], s[4:5]
	s_cbranch_execnz .LBB129_50
	s_branch .LBB129_51
.LBB129_80:
	v_add_u32_e32 v18, v1, v33
	v_mov_b32_e32 v19, 0
	s_waitcnt lgkmcnt(0)
	v_lshl_add_u64 v[18:19], v[18:19], 2, s[12:13]
	global_store_dword v[18:19], v12, off
	s_or_b64 exec, exec, s[6:7]
	s_and_saveexec_b64 s[6:7], s[0:1]
	s_cbranch_execz .LBB129_54
.LBB129_81:
	v_add_u32_e32 v12, v1, v17
	v_mov_b32_e32 v13, 0
	s_waitcnt lgkmcnt(0)
	v_lshl_add_u64 v[12:13], v[12:13], 2, s[12:13]
	global_store_dword v[12:13], v8, off
	s_or_b64 exec, exec, s[6:7]
	s_and_saveexec_b64 s[6:7], s[2:3]
	s_cbranch_execz .LBB129_55
.LBB129_82:
	v_add_u32_e32 v8, v1, v29
	v_mov_b32_e32 v9, 0
	s_waitcnt lgkmcnt(0)
	v_lshl_add_u64 v[8:9], v[8:9], 2, s[12:13]
	global_store_dword v[8:9], v4, off
	s_or_b64 exec, exec, s[6:7]
	s_and_saveexec_b64 s[6:7], s[4:5]
	s_cbranch_execnz .LBB129_56
	s_branch .LBB129_57
.LBB129_83:
	v_add_u32_e32 v4, v0, v33
	v_mov_b32_e32 v5, 0
	s_waitcnt lgkmcnt(0)
	v_lshl_add_u64 v[4:5], v[4:5], 2, s[12:13]
	global_store_dword v[4:5], v15, off
	s_or_b64 exec, exec, s[6:7]
	s_and_saveexec_b64 s[6:7], s[0:1]
	s_cbranch_execz .LBB129_60
.LBB129_84:
	v_add_u32_e32 v4, v0, v17
	v_mov_b32_e32 v5, 0
	s_waitcnt lgkmcnt(0)
	v_lshl_add_u64 v[4:5], v[4:5], 2, s[12:13]
	global_store_dword v[4:5], v11, off
	s_or_b64 exec, exec, s[6:7]
	s_and_saveexec_b64 s[6:7], s[2:3]
	s_cbranch_execz .LBB129_61
.LBB129_85:
	v_add_u32_e32 v4, v0, v29
	v_mov_b32_e32 v5, 0
	s_waitcnt lgkmcnt(0)
	v_lshl_add_u64 v[4:5], v[4:5], 2, s[12:13]
	global_store_dword v[4:5], v7, off
	s_or_b64 exec, exec, s[6:7]
	s_and_saveexec_b64 s[6:7], s[4:5]
	s_cbranch_execnz .LBB129_62
	s_branch .LBB129_63
.LBB129_86:
	v_add_u32_e32 v4, v0, v33
	v_mov_b32_e32 v5, 0
	s_waitcnt lgkmcnt(0)
	v_lshl_add_u64 v[4:5], v[4:5], 2, s[12:13]
	global_store_dword v[4:5], v14, off
	s_or_b64 exec, exec, s[6:7]
	s_and_saveexec_b64 s[6:7], s[0:1]
	s_cbranch_execz .LBB129_66
.LBB129_87:
	v_add_u32_e32 v4, v0, v17
	v_mov_b32_e32 v5, 0
	s_waitcnt lgkmcnt(0)
	v_lshl_add_u64 v[4:5], v[4:5], 2, s[12:13]
	global_store_dword v[4:5], v10, off
	s_or_b64 exec, exec, s[6:7]
	s_and_saveexec_b64 s[0:1], s[2:3]
	s_cbranch_execz .LBB129_67
.LBB129_88:
	v_add_u32_e32 v4, v0, v29
	v_mov_b32_e32 v5, 0
	s_waitcnt lgkmcnt(0)
	v_lshl_add_u64 v[4:5], v[4:5], 2, s[12:13]
	global_store_dword v[4:5], v6, off
	s_or_b64 exec, exec, s[0:1]
	s_and_b64 exec, exec, s[4:5]
	s_cbranch_execz .LBB129_17
.LBB129_89:
	v_add_u32_e32 v0, v0, v25
	v_mov_b32_e32 v1, 0
	s_waitcnt lgkmcnt(0)
	v_lshl_add_u64 v[0:1], v[0:1], 2, s[12:13]
	global_store_dword v[0:1], v2, off
	s_endpgm
	.section	.rodata,"a",@progbits
	.p2align	6, 0x0
	.amdhsa_kernel _ZL12mul_mat_q3_KIfLb0EEvPKvS1_PT_iiiii
		.amdhsa_group_segment_fixed_size 39840
		.amdhsa_private_segment_fixed_size 0
		.amdhsa_kernarg_size 44
		.amdhsa_user_sgpr_count 2
		.amdhsa_user_sgpr_dispatch_ptr 0
		.amdhsa_user_sgpr_queue_ptr 0
		.amdhsa_user_sgpr_kernarg_segment_ptr 1
		.amdhsa_user_sgpr_dispatch_id 0
		.amdhsa_user_sgpr_kernarg_preload_length 0
		.amdhsa_user_sgpr_kernarg_preload_offset 0
		.amdhsa_user_sgpr_private_segment_size 0
		.amdhsa_uses_dynamic_stack 0
		.amdhsa_enable_private_segment 0
		.amdhsa_system_sgpr_workgroup_id_x 1
		.amdhsa_system_sgpr_workgroup_id_y 1
		.amdhsa_system_sgpr_workgroup_id_z 0
		.amdhsa_system_sgpr_workgroup_info 0
		.amdhsa_system_vgpr_workitem_id 1
		.amdhsa_next_free_vgpr 246
		.amdhsa_next_free_sgpr 96
		.amdhsa_accum_offset 248
		.amdhsa_reserve_vcc 1
		.amdhsa_float_round_mode_32 0
		.amdhsa_float_round_mode_16_64 0
		.amdhsa_float_denorm_mode_32 3
		.amdhsa_float_denorm_mode_16_64 3
		.amdhsa_dx10_clamp 1
		.amdhsa_ieee_mode 1
		.amdhsa_fp16_overflow 0
		.amdhsa_tg_split 0
		.amdhsa_exception_fp_ieee_invalid_op 0
		.amdhsa_exception_fp_denorm_src 0
		.amdhsa_exception_fp_ieee_div_zero 0
		.amdhsa_exception_fp_ieee_overflow 0
		.amdhsa_exception_fp_ieee_underflow 0
		.amdhsa_exception_fp_ieee_inexact 0
		.amdhsa_exception_int_div_zero 0
	.end_amdhsa_kernel
	.section	.text._ZL12mul_mat_q3_KIfLb0EEvPKvS1_PT_iiiii,"axG",@progbits,_ZL12mul_mat_q3_KIfLb0EEvPKvS1_PT_iiiii,comdat
.Lfunc_end129:
	.size	_ZL12mul_mat_q3_KIfLb0EEvPKvS1_PT_iiiii, .Lfunc_end129-_ZL12mul_mat_q3_KIfLb0EEvPKvS1_PT_iiiii
                                        ; -- End function
	.set _ZL12mul_mat_q3_KIfLb0EEvPKvS1_PT_iiiii.num_vgpr, 246
	.set _ZL12mul_mat_q3_KIfLb0EEvPKvS1_PT_iiiii.num_agpr, 0
	.set _ZL12mul_mat_q3_KIfLb0EEvPKvS1_PT_iiiii.numbered_sgpr, 26
	.set _ZL12mul_mat_q3_KIfLb0EEvPKvS1_PT_iiiii.num_named_barrier, 0
	.set _ZL12mul_mat_q3_KIfLb0EEvPKvS1_PT_iiiii.private_seg_size, 0
	.set _ZL12mul_mat_q3_KIfLb0EEvPKvS1_PT_iiiii.uses_vcc, 1
	.set _ZL12mul_mat_q3_KIfLb0EEvPKvS1_PT_iiiii.uses_flat_scratch, 0
	.set _ZL12mul_mat_q3_KIfLb0EEvPKvS1_PT_iiiii.has_dyn_sized_stack, 0
	.set _ZL12mul_mat_q3_KIfLb0EEvPKvS1_PT_iiiii.has_recursion, 0
	.set _ZL12mul_mat_q3_KIfLb0EEvPKvS1_PT_iiiii.has_indirect_call, 0
	.section	.AMDGPU.csdata,"",@progbits
; Kernel info:
; codeLenInByte = 31260
; TotalNumSgprs: 32
; NumVgprs: 246
; NumAgprs: 0
; TotalNumVgprs: 246
; ScratchSize: 0
; MemoryBound: 0
; FloatMode: 240
; IeeeMode: 1
; LDSByteSize: 39840 bytes/workgroup (compile time only)
; SGPRBlocks: 12
; VGPRBlocks: 30
; NumSGPRsForWavesPerEU: 102
; NumVGPRsForWavesPerEU: 246
; AccumOffset: 248
; Occupancy: 2
; WaveLimiterHint : 0
; COMPUTE_PGM_RSRC2:SCRATCH_EN: 0
; COMPUTE_PGM_RSRC2:USER_SGPR: 2
; COMPUTE_PGM_RSRC2:TRAP_HANDLER: 0
; COMPUTE_PGM_RSRC2:TGID_X_EN: 1
; COMPUTE_PGM_RSRC2:TGID_Y_EN: 1
; COMPUTE_PGM_RSRC2:TGID_Z_EN: 0
; COMPUTE_PGM_RSRC2:TIDIG_COMP_CNT: 1
; COMPUTE_PGM_RSRC3_GFX90A:ACCUM_OFFSET: 61
; COMPUTE_PGM_RSRC3_GFX90A:TG_SPLIT: 0
	.section	.text._ZL12mul_mat_q3_KIfLb1EEvPKvS1_PT_iiiii,"axG",@progbits,_ZL12mul_mat_q3_KIfLb1EEvPKvS1_PT_iiiii,comdat
	.globl	_ZL12mul_mat_q3_KIfLb1EEvPKvS1_PT_iiiii ; -- Begin function _ZL12mul_mat_q3_KIfLb1EEvPKvS1_PT_iiiii
	.p2align	8
	.type	_ZL12mul_mat_q3_KIfLb1EEvPKvS1_PT_iiiii,@function
_ZL12mul_mat_q3_KIfLb1EEvPKvS1_PT_iiiii: ; @_ZL12mul_mat_q3_KIfLb1EEvPKvS1_PT_iiiii
; %bb.0:
	s_load_dwordx4 s[8:11], s[0:1], 0x18
	s_load_dword s14, s[0:1], 0x28
	s_lshl_b32 s15, s3, 6
	v_bfe_u32 v77, v0, 10, 10
	s_waitcnt lgkmcnt(0)
	s_cmpk_gt_i32 s8, 0xff
	s_cbranch_scc1 .LBB130_2
; %bb.1:
	v_bfe_u32 v32, v0, 10, 10
	v_and_b32_e32 v41, 0x3ff, v0
	v_add_u32_e32 v47, s15, v32
	s_mov_b64 s[4:5], 0
	s_branch .LBB130_3
.LBB130_2:
	s_mov_b64 s[4:5], -1
                                        ; implicit-def: $vgpr32
                                        ; implicit-def: $vgpr41
                                        ; implicit-def: $vgpr47
.LBB130_3:
	s_load_dwordx2 s[12:13], s[0:1], 0x10
	s_lshl_b32 s6, s2, 7
	s_andn2_b64 vcc, exec, s[4:5]
	s_mov_b32 s4, 0
	s_cbranch_vccnz .LBB130_16
; %bb.4:
	s_ashr_i32 s5, s8, 31
	s_load_dwordx4 s[0:3], s[0:1], 0x0
	s_lshr_b32 s5, s5, 24
	s_add_i32 s5, s8, s5
	s_ashr_i32 s7, s11, 31
	s_ashr_i32 s5, s5, 8
	s_lshr_b32 s7, s7, 27
	s_add_i32 s7, s11, s7
	s_mul_i32 s8, s5, s6
	s_ashr_i32 s11, s7, 5
	s_mul_hi_i32 s16, s8, 0x6e
	s_mulk_i32 s8, 0x6e
	s_waitcnt lgkmcnt(0)
	s_add_u32 s0, s0, s8
	s_addc_u32 s1, s1, s16
	s_not_b32 s8, s6
	s_add_i32 s9, s9, s8
	v_add_u32_e32 v1, 64, v77
	v_min_i32_e32 v24, s9, v1
	v_add_u32_e32 v1, 0x48, v77
	v_min_i32_e32 v25, s9, v1
	;; [unrolled: 2-line block ×3, first 2 shown]
	v_add_u32_e32 v1, 0x58, v77
	v_and_b32_e32 v41, 0x3ff, v0
	v_min_i32_e32 v27, s9, v1
	v_add_u32_e32 v1, 0x60, v77
	v_and_b32_e32 v3, 15, v0
	v_min_i32_e32 v8, s9, v77
	v_lshlrev_b32_e32 v2, 2, v41
	s_movk_i32 s8, 0x84
	v_min_i32_e32 v28, s9, v1
	v_add_u32_e32 v1, 0x68, v77
	v_mad_u64_u32 v[44:45], s[16:17], v8, s8, v[2:3]
	v_min_i32_e32 v29, s9, v1
	v_add_u32_e32 v1, 0x70, v77
	v_min_i32_e32 v30, s9, v1
	v_add_u32_e32 v1, 0x78, v77
	v_lshlrev_b32_e32 v19, 4, v77
	v_bfe_u32 v45, v0, 1, 9
	v_min_i32_e32 v31, s9, v1
	v_add_u32_e32 v1, v45, v19
	v_and_b32_e32 v1, 0x7f, v1
	v_min_i32_e32 v32, s9, v1
	v_ashrrev_i32_e32 v1, 31, v32
	v_lshrrev_b32_e32 v1, 28, v1
	v_add_u32_e32 v9, 8, v77
	v_add_u32_e32 v11, 16, v77
	;; [unrolled: 1-line block ×8, first 2 shown]
	v_min_i32_e32 v10, s9, v9
	v_min_i32_e32 v12, s9, v11
	;; [unrolled: 1-line block ×7, first 2 shown]
	v_and_b32_e32 v76, 1, v0
	v_ashrrev_i32_e32 v1, 4, v1
	v_bfe_u32 v40, v0, 4, 6
	v_mad_u64_u32 v[46:47], s[16:17], v10, s8, v[2:3]
	v_mad_u64_u32 v[48:49], s[16:17], v12, s8, v[2:3]
	;; [unrolled: 1-line block ×15, first 2 shown]
	v_lshlrev_b32_e32 v1, 2, v1
	v_lshlrev_b32_e32 v4, 2, v76
	s_mov_b32 s8, 0x9380
	v_add3_u32 v1, v1, v4, s8
	v_lshl_add_u32 v4, v77, 1, v40
	v_min_i32_e32 v35, s9, v4
	v_lshrrev_b32_e32 v5, 31, v35
	v_add_lshl_u32 v5, v35, v5, 1
	v_lshlrev_b32_e32 v42, 2, v3
	v_and_b32_e32 v5, -4, v5
	s_movk_i32 s8, 0x4200
	v_add3_u32 v36, v5, v42, s8
	v_add_u32_e32 v5, 16, v4
	v_min_i32_e32 v38, s9, v5
	v_lshrrev_b32_e32 v5, 31, v38
	v_add_lshl_u32 v5, v38, v5, 1
	v_and_b32_e32 v5, -4, v5
	v_add3_u32 v39, v5, v42, s8
	v_add_u32_e32 v5, 32, v4
	v_min_i32_e32 v124, s9, v5
	v_lshrrev_b32_e32 v5, 31, v124
	v_add_lshl_u32 v5, v124, v5, 1
	v_and_b32_e32 v5, -4, v5
	v_add3_u32 v69, v5, v42, s8
	v_add_u32_e32 v5, 48, v4
	v_min_i32_e32 v126, s9, v5
	v_lshrrev_b32_e32 v5, 31, v126
	v_add_lshl_u32 v5, v126, v5, 1
	v_and_b32_e32 v5, -4, v5
	v_add3_u32 v73, v5, v42, s8
	v_add_u32_e32 v5, 64, v4
	v_min_i32_e32 v128, s9, v5
	v_lshrrev_b32_e32 v5, 31, v128
	v_add_lshl_u32 v5, v128, v5, 1
	v_and_b32_e32 v5, -4, v5
	v_add3_u32 v84, v5, v42, s8
	v_add_u32_e32 v5, 0x50, v4
	v_min_i32_e32 v130, s9, v5
	v_lshrrev_b32_e32 v5, 31, v130
	v_add_lshl_u32 v5, v130, v5, 1
	v_and_b32_e32 v5, -4, v5
	v_add3_u32 v86, v5, v42, s8
	v_add_u32_e32 v5, 0x60, v4
	v_add_u32_e32 v4, 0x70, v4
	v_min_i32_e32 v134, s9, v4
	v_min_i32_e32 v132, s9, v5
	v_lshrrev_b32_e32 v4, 31, v134
	v_lshrrev_b32_e32 v5, 31, v132
	v_add_lshl_u32 v4, v134, v4, 1
	v_add_lshl_u32 v5, v132, v5, 1
	v_and_b32_e32 v4, -4, v4
	v_and_b32_e32 v5, -4, v5
	v_add3_u32 v90, v4, v42, s8
	v_bfe_u32 v49, v0, 3, 7
	v_and_b32_e32 v4, 3, v0
	v_add3_u32 v88, v5, v42, s8
	v_lshl_add_u32 v91, v77, 2, v49
	v_add_u16_e32 v5, -2, v4
	v_cmp_gt_u32_e32 vcc, 2, v4
	v_mov_b32_e32 v6, 2
	v_min_i32_e32 v136, s9, v91
	v_cndmask_b32_e32 v5, v5, v4, vcc
	v_lshlrev_b32_sdwa v80, v6, v5 dst_sel:DWORD dst_unused:UNUSED_PAD src0_sel:DWORD src1_sel:BYTE_0
	v_ashrrev_i32_e32 v5, 31, v136
	v_lshrrev_b32_e32 v5, 30, v5
	v_and_b32_e32 v34, 7, v0
	v_add_u32_e32 v5, v136, v5
	v_lshlrev_b32_e32 v78, 2, v34
	v_and_b32_e32 v5, -4, v5
	s_mov_b32 s18, 0x8300
	v_add3_u32 v94, v5, v78, s18
	v_and_b32_e32 v5, 31, v0
	v_mov_b32_e32 v53, 0x6300
	v_lshl_or_b32 v53, v5, 2, v53
	v_bfe_u32 v5, v0, 2, 8
	v_lshl_add_u32 v5, v77, 3, v5
	v_and_b32_e32 v5, 63, v5
	s_add_i32 s16, s10, -1
	v_or_b32_e32 v55, s15, v5
	v_min_i32_e32 v55, s16, v55
	v_lshlrev_b32_e32 v51, 1, v4
	v_add_u32_e32 v47, s15, v77
	v_cvt_f64_i32_e32 v[6:7], s16
	v_mad_u64_u32 v[82:83], s[16:17], v55, s11, v[4:5]
	v_lshlrev_b32_e32 v4, 2, v4
	v_lshl_or_b32 v93, v5, 4, v4
	v_cvt_f64_u32_e32 v[4:5], v47
	v_min_f64 v[4:5], v[4:5], v[6:7]
	v_cvt_i32_f64_e32 v95, v[4:5]
	v_add_u32_e32 v4, 8, v47
	v_cvt_f64_u32_e32 v[4:5], v4
	v_min_f64 v[4:5], v[4:5], v[6:7]
	v_cvt_i32_f64_e32 v96, v[4:5]
	v_add_u32_e32 v4, 16, v47
	;; [unrolled: 4-line block ×7, first 2 shown]
	v_cvt_f64_u32_e32 v[4:5], v4
	v_min_f64 v[4:5], v[4:5], v[6:7]
	v_cvt_i32_f64_e32 v4, v[4:5]
	v_lshlrev_b32_e32 v5, 5, v41
	v_add_u32_e32 v6, 32, v41
	v_and_b32_e32 v0, 0xfc, v0
	v_add_u32_e32 v7, 64, v41
	v_add_u32_e32 v55, v5, v0
	v_and_b32_e32 v0, 0x1fc, v6
	v_add_u32_e32 v102, 0x60, v41
	;; [unrolled: 3-line block ×3, first 2 shown]
	v_and_b32_e32 v0, 0x1fc, v102
	v_lshlrev_b32_e32 v33, 3, v32
	v_add_u32_e32 v61, v5, v0
	v_add_u32_e32 v0, 32, v91
	;; [unrolled: 1-line block ×3, first 2 shown]
	v_min_i32_e32 v33, s9, v0
	v_ashrrev_i32_e32 v0, 31, v33
	v_lshrrev_b32_e32 v0, 30, v0
	v_add_u32_e32 v0, v33, v0
	v_lshlrev_b32_e32 v37, 6, v35
	v_and_b32_e32 v0, -4, v0
	v_lshlrev_b32_e32 v67, 6, v38
	v_add_u32_e32 v65, v36, v37
	v_add3_u32 v36, v0, v78, s18
	v_add_u32_e32 v0, 64, v91
	v_add_u32_e32 v67, v39, v67
	v_min_i32_e32 v39, s9, v0
	v_ashrrev_i32_e32 v0, 31, v39
	v_lshrrev_b32_e32 v0, 30, v0
	v_add_u32_e32 v0, v39, v0
	v_and_b32_e32 v0, -4, v0
	v_add3_u32 v104, v0, v78, s18
	v_add_u32_e32 v0, 0x60, v91
	v_min_i32_e32 v142, s9, v0
	v_ashrrev_i32_e32 v0, 31, v142
	v_lshrrev_b32_e32 v0, 30, v0
	v_add_u32_e32 v0, v142, v0
	v_mov_b32_e32 v43, 0
	v_lshlrev_b32_e32 v71, 6, v124
	v_lshlrev_b32_e32 v75, 6, v126
	;; [unrolled: 1-line block ×8, first 2 shown]
	v_and_b32_e32 v0, -4, v0
	v_add_u32_e32 v69, v69, v71
	v_add_u32_e32 v71, v73, v75
	;; [unrolled: 1-line block ×3, first 2 shown]
	v_lshlrev_b32_e32 v84, 5, v39
	v_add_u32_e32 v75, v86, v87
	v_add3_u32 v85, v0, v78, s18
	v_add_u32_e32 v83, v88, v89
	v_lshlrev_b32_e32 v86, 5, v142
	v_and_b32_e32 v0, 28, v2
	v_mov_b32_e32 v1, v43
	v_lshlrev_b32_e32 v2, 7, v9
	v_lshlrev_b32_e32 v9, 7, v11
	;; [unrolled: 1-line block ×6, first 2 shown]
	v_mul_lo_u32 v103, s11, v4
	v_lshlrev_b32_e32 v4, 7, v18
	v_add_u32_e32 v105, v90, v92
	v_lshrrev_b32_e32 v90, 1, v6
	v_add_u32_e32 v107, v94, v5
	v_lshrrev_b32_e32 v5, 4, v6
	;; [unrolled: 2-line block ×3, first 2 shown]
	v_lshlrev_b32_e32 v113, 6, v6
	v_lshlrev_b32_e32 v117, 3, v6
	v_lshrrev_b32_e32 v119, 3, v6
	v_lshrrev_b32_e32 v6, 4, v7
	v_lshlrev_b32_e32 v121, 6, v7
	v_lshlrev_b32_e32 v123, 3, v7
	v_lshrrev_b32_e32 v125, 3, v7
	v_lshrrev_b32_e32 v7, 1, v102
	v_add_u32_e32 v133, 0x97a0, v19
	v_mov_b32_e32 v16, v43
	v_mov_b32_e32 v17, v43
	;; [unrolled: 1-line block ×4, first 2 shown]
	v_cmp_lt_u32_e32 vcc, 7, v3
	v_add_u32_e32 v87, 0x97a0, v93
	v_mul_lo_u32 v89, s11, v95
	v_mul_lo_u32 v91, s11, v96
	;; [unrolled: 1-line block ×6, first 2 shown]
	v_add_u32_e32 v111, v104, v84
	v_add_u32_e32 v115, v85, v86
	v_lshrrev_b32_e32 v37, 4, v102
	v_lshlrev_b32_e32 v127, 6, v102
	v_lshlrev_b32_e32 v129, 3, v102
	v_lshrrev_b32_e32 v131, 3, v102
	v_lshl_add_u64 v[84:85], s[2:3], 0, v[0:1]
	v_add_u32_e32 v135, v53, v2
	v_add_u32_e32 v137, v53, v9
	;; [unrolled: 1-line block ×7, first 2 shown]
	v_lshlrev_b32_e32 v149, 2, v90
	v_lshlrev_b32_e32 v151, 2, v5
	;; [unrolled: 1-line block ×4, first 2 shown]
	v_mul_lo_u32 v86, v8, s5
	v_mul_lo_u32 v88, v10, s5
	;; [unrolled: 1-line block ×16, first 2 shown]
	v_lshlrev_b32_e32 v174, 1, v41
	v_lshlrev_b32_e32 v176, 7, v77
	v_cndmask_b32_e64 v144, 0, 1, vcc
	v_cmp_lt_u32_e32 vcc, 3, v34
	v_mov_b64_e32 v[12:13], v[16:17]
	v_mov_b64_e32 v[30:31], v[18:19]
	;; [unrolled: 1-line block ×7, first 2 shown]
	s_movk_i32 s7, 0x6e
	v_mov_b32_e32 v79, v43
	s_movk_i32 s8, 0xff
	v_mov_b32_e32 v81, v43
	v_mul_lo_u32 v101, s11, v101
	s_mov_b32 s9, 0x30303030
	s_movk_i32 s11, 0xe000
	s_movk_i32 s16, 0x3f00
	v_lshlrev_b32_e32 v153, 2, v36
	v_lshlrev_b32_e32 v173, 2, v37
	v_mul_lo_u32 v118, v32, s5
	v_mul_lo_u32 v120, v35, s5
	;; [unrolled: 1-line block ×9, first 2 shown]
	v_and_b32_e32 v175, 4, v174
	v_mul_lo_u32 v136, v136, s5
	v_mul_lo_u32 v138, v33, s5
	;; [unrolled: 1-line block ×4, first 2 shown]
	v_mul_u32_u24_e32 v177, 0x84, v41
	v_lshlrev_b32_e32 v178, 6, v41
	v_add_u32_e32 v179, 0x8300, v55
	v_add_u32_e32 v180, 0x8700, v57
	;; [unrolled: 1-line block ×5, first 2 shown]
	v_cndmask_b32_e64 v146, 0, 1, vcc
	v_mov_b64_e32 v[14:15], v[18:19]
	v_mov_b64_e32 v[28:29], v[16:17]
	;; [unrolled: 1-line block ×7, first 2 shown]
	s_branch .LBB130_6
.LBB130_5:                              ;   in Loop: Header=BB130_6 Depth=1
	s_add_i32 s4, s4, 2
	s_cmp_ge_i32 s4, s5
	s_cbranch_scc1 .LBB130_18
.LBB130_6:                              ; =>This Loop Header: Depth=1
                                        ;     Child Loop BB130_7 Depth 2
                                        ;     Child Loop BB130_9 Depth 2
	;; [unrolled: 1-line block ×4, first 2 shown]
	s_mul_i32 s18, s4, 0x6e
	s_mul_hi_u32 s17, s4, 0x6e
	s_add_u32 s18, s0, s18
	s_addc_u32 s19, s1, s17
	v_mov_b64_e32 v[32:33], s[18:19]
	v_mad_u64_u32 v[34:35], s[18:19], v40, s7, v[32:33]
	v_mad_i64_i32 v[36:37], s[18:19], v86, s7, v[34:35]
	v_mad_i64_i32 v[38:39], s[18:19], v88, s7, v[34:35]
	;; [unrolled: 1-line block ×8, first 2 shown]
	v_lshl_add_u64 v[36:37], v[36:37], 0, v[42:43]
	v_lshl_add_u64 v[38:39], v[38:39], 0, v[42:43]
	;; [unrolled: 1-line block ×8, first 2 shown]
	global_load_dword v148, v[36:37], off offset:32
	global_load_dword v150, v[38:39], off offset:32
	;; [unrolled: 1-line block ×7, first 2 shown]
	s_nop 0
	global_load_dword v166, v[166:167], off offset:32
	v_mad_i64_i32 v[36:37], s[18:19], v102, s7, v[34:35]
	v_mad_i64_i32 v[38:39], s[18:19], v104, s7, v[34:35]
	;; [unrolled: 1-line block ×8, first 2 shown]
	v_lshl_add_u64 v[36:37], v[36:37], 0, v[42:43]
	v_lshl_add_u64 v[164:165], v[164:165], 0, v[42:43]
	;; [unrolled: 1-line block ×8, first 2 shown]
	global_load_dword v167, v[36:37], off offset:32
	global_load_dword v171, v[38:39], off offset:32
	;; [unrolled: 1-line block ×6, first 2 shown]
	s_nop 0
	global_load_dword v164, v[164:165], off offset:32
	s_nop 0
	global_load_dword v165, v[34:35], off offset:32
	v_mad_i64_i32 v[34:35], s[18:19], v118, s7, v[32:33]
	v_mad_u64_u32 v[36:37], s[18:19], v144, s7, v[32:33]
	v_mad_u64_u32 v[34:35], s[18:19], v76, s7, v[34:35]
	v_lshl_add_u64 v[36:37], v[36:37], 0, v[78:79]
	v_mad_i64_i32 v[38:39], s[18:19], v120, s7, v[36:37]
	global_load_ushort v188, v[34:35], off offset:108
	global_load_dword v189, v[38:39], off
	v_mad_i64_i32 v[34:35], s[18:19], v122, s7, v[36:37]
	v_mad_i64_i32 v[156:157], s[18:19], v126, s7, v[36:37]
	;; [unrolled: 1-line block ×6, first 2 shown]
	global_load_dword v190, v[34:35], off
	global_load_dword v191, v[38:39], off
	s_nop 0
	global_load_dword v156, v[156:157], off
	s_nop 0
	;; [unrolled: 2-line block ×3, first 2 shown]
	global_load_dword v158, v[160:161], off
	global_load_dword v159, v[162:163], off
	v_mad_i64_i32 v[34:35], s[18:19], v134, s7, v[36:37]
	v_mad_u64_u32 v[32:33], s[18:19], v146, s7, v[32:33]
	global_load_dword v160, v[34:35], off
	v_mad_i64_i32 v[34:35], s[18:19], v136, s7, v[32:33]
	v_lshl_add_u64 v[36:37], v[34:35], 0, v[80:81]
	global_load_dword v161, v[36:37], off offset:96
	v_mad_i64_i32 v[36:37], s[18:19], v138, s7, v[32:33]
	v_mad_i64_i32 v[38:39], s[18:19], v140, s7, v[32:33]
	;; [unrolled: 1-line block ×3, first 2 shown]
	global_load_dword v162, v[32:33], off offset:104
	global_load_dword v163, v[38:39], off offset:104
	;; [unrolled: 1-line block ×4, first 2 shown]
	v_lshl_add_u64 v[34:35], v[36:37], 0, v[80:81]
	v_lshl_add_u64 v[36:37], v[38:39], 0, v[80:81]
	global_load_dword v194, v[34:35], off offset:96
	global_load_dword v195, v[36:37], off offset:96
	s_waitcnt vmcnt(31)
	ds_write_b32 v44, v148
	s_waitcnt vmcnt(30)
	ds_write_b32 v46, v150
	;; [unrolled: 2-line block ×13, first 2 shown]
	v_lshl_add_u64 v[32:33], v[32:33], 0, v[80:81]
	s_lshl_b32 s17, s4, 3
	v_add_u32_e32 v152, s17, v49
	v_add_u32_e32 v154, v152, v97
	v_add_u32_e32 v36, v152, v93
	v_add_u32_e32 v38, v152, v95
	v_mad_i64_i32 v[36:37], s[18:19], v36, 36, v[84:85]
	v_mad_i64_i32 v[38:39], s[18:19], v38, 36, v[84:85]
	v_mov_b32_e32 v170, v183
	s_waitcnt vmcnt(15)
	v_cvt_f32_f16_e32 v34, v188
	ds_write_b32 v70, v187
	ds_write_b32 v72, v164
	;; [unrolled: 1-line block ×4, first 2 shown]
	s_waitcnt vmcnt(14)
	v_not_b32_e32 v34, v189
	global_load_dword v150, v[32:33], off offset:96
	ds_write_b32 v65, v34
	v_add_u32_e32 v32, v152, v89
	v_mad_i64_i32 v[32:33], s[18:19], v32, 36, v[84:85]
	v_add_u32_e32 v187, s17, v82
	s_waitcnt vmcnt(14)
	v_not_b32_e32 v34, v190
	ds_write_b32 v67, v34
	s_waitcnt vmcnt(13)
	v_not_b32_e32 v34, v191
	ds_write_b32 v69, v34
	;; [unrolled: 3-line block ×7, first 2 shown]
	s_waitcnt vmcnt(7)
	v_ashrrev_i32_e32 v34, v175, v161
	v_and_b32_e32 v148, 0xf0f0f0f, v34
	v_add_u32_e32 v34, v152, v91
	v_mad_i64_i32 v[34:35], s[18:19], v34, 36, v[84:85]
	v_mad_i64_i32 v[156:157], s[18:19], v154, 36, v[84:85]
	global_load_dword v154, v[32:33], off offset:4
	global_load_dword v158, v[34:35], off offset:4
	;; [unrolled: 1-line block ×4, first 2 shown]
	s_nop 0
	global_load_dword v156, v[156:157], off offset:4
	v_add_u32_e32 v32, v152, v99
	v_add_u32_e32 v34, v152, v101
	v_mad_i64_i32 v[32:33], s[18:19], v32, 36, v[84:85]
	v_mad_i64_i32 v[34:35], s[18:19], v34, 36, v[84:85]
	v_add_u32_e32 v36, v152, v103
	v_mad_u64_u32 v[38:39], s[18:19], v187, 36, s[2:3]
	v_mad_i64_i32 v[36:37], s[18:19], v36, 36, v[84:85]
	global_load_dword v38, v[38:39], off
	s_nop 0
	global_load_dword v32, v[32:33], off offset:4
	s_nop 0
	global_load_dword v33, v[34:35], off offset:4
	;; [unrolled: 2-line block ×3, first 2 shown]
	s_waitcnt vmcnt(12)
	v_ashrrev_i32_e32 v35, v51, v193
	v_lshlrev_b32_e32 v35, 4, v35
	v_and_or_b32 v35, v35, s9, v148
	v_lshlrev_b16_e32 v37, 8, v35
	v_add_u16_e32 v37, 0xe000, v37
	v_lshrrev_b32_e32 v36, 16, v35
	v_lshrrev_b16_e32 v37, 8, v37
	v_bitop3_b16 v35, v35, v37, s16 bitop3:0xec
	v_lshlrev_b16_e32 v37, 8, v36
	v_add_u16_e32 v37, 0xe000, v37
	v_lshrrev_b16_e32 v37, 8, v37
	v_bitop3_b16 v36, v36, v37, s16 bitop3:0xec
	v_add_u16_e32 v35, 0xe000, v35
	v_add_u16_sdwa v36, v36, s11 dst_sel:WORD_1 dst_unused:UNUSED_PAD src0_sel:DWORD src1_sel:DWORD
	v_add_u32_e32 v188, v53, v176
	v_or_b32_e32 v35, v35, v36
	ds_write_b32 v107, v35
	s_waitcnt vmcnt(11)
	v_ashrrev_i32_e32 v35, v175, v194
	v_ashrrev_i32_e32 v36, v51, v192
	v_and_b32_e32 v35, 0xf0f0f0f, v35
	v_lshlrev_b32_e32 v36, 4, v36
	v_and_or_b32 v35, v36, s9, v35
	v_lshlrev_b16_e32 v37, 8, v35
	v_add_u16_e32 v37, 0xe000, v37
	v_lshrrev_b32_e32 v36, 16, v35
	v_lshrrev_b16_e32 v37, 8, v37
	v_bitop3_b16 v35, v35, v37, s16 bitop3:0xec
	v_lshlrev_b16_e32 v37, 8, v36
	v_add_u16_e32 v37, 0xe000, v37
	v_lshrrev_b16_e32 v37, 8, v37
	v_bitop3_b16 v36, v36, v37, s16 bitop3:0xec
	v_add_u16_e32 v35, 0xe000, v35
	v_add_u16_sdwa v36, v36, s11 dst_sel:WORD_1 dst_unused:UNUSED_PAD src0_sel:DWORD src1_sel:DWORD
	v_mov_b32_e32 v171, v133
	v_or_b32_e32 v35, v35, v36
	ds_write_b32 v109, v35
	s_waitcnt vmcnt(10)
	v_ashrrev_i32_e32 v35, v175, v195
	v_ashrrev_i32_e32 v36, v51, v163
	v_and_b32_e32 v35, 0xf0f0f0f, v35
	v_lshlrev_b32_e32 v36, 4, v36
	v_and_or_b32 v35, v36, s9, v35
	v_lshlrev_b16_e32 v37, 8, v35
	v_add_u16_e32 v37, 0xe000, v37
	v_lshrrev_b32_e32 v36, 16, v35
	v_lshrrev_b16_e32 v37, 8, v37
	v_bitop3_b16 v35, v35, v37, s16 bitop3:0xec
	v_lshlrev_b16_e32 v37, 8, v36
	v_add_u16_e32 v37, 0xe000, v37
	v_lshrrev_b16_e32 v37, 8, v37
	v_bitop3_b16 v36, v36, v37, s16 bitop3:0xec
	v_add_u16_e32 v35, 0xe000, v35
	v_add_u16_sdwa v36, v36, s11 dst_sel:WORD_1 dst_unused:UNUSED_PAD src0_sel:DWORD src1_sel:DWORD
	s_mov_b32 s18, 0
	v_or_b32_e32 v35, v35, v36
	ds_write_b32 v111, v35
	s_waitcnt vmcnt(9)
	v_ashrrev_i32_e32 v35, v175, v150
	v_ashrrev_i32_e32 v36, v51, v162
	v_and_b32_e32 v35, 0xf0f0f0f, v35
	v_lshlrev_b32_e32 v36, 4, v36
	v_and_or_b32 v35, v36, s9, v35
	v_lshlrev_b16_e32 v37, 8, v35
	v_add_u16_e32 v37, 0xe000, v37
	v_lshrrev_b32_e32 v36, 16, v35
	v_lshrrev_b16_e32 v37, 8, v37
	v_bitop3_b16 v35, v35, v37, s16 bitop3:0xec
	v_lshlrev_b16_e32 v37, 8, v36
	v_add_u16_e32 v37, 0xe000, v37
	v_lshrrev_b16_e32 v37, 8, v37
	v_bitop3_b16 v36, v36, v37, s16 bitop3:0xec
	v_add_u16_e32 v35, 0xe000, v35
	v_add_u16_sdwa v36, v36, s11 dst_sel:WORD_1 dst_unused:UNUSED_PAD src0_sel:DWORD src1_sel:DWORD
	s_mov_b32 s22, -2
	v_or_b32_e32 v35, v35, v36
	ds_write_b32 v115, v35
	s_mov_b32 s19, 0
	s_waitcnt vmcnt(8)
	ds_write_b32 v188, v154
	s_waitcnt vmcnt(7)
	ds_write_b32 v135, v158
	;; [unrolled: 2-line block ×5, first 2 shown]
	s_waitcnt vmcnt(3)
	v_cvt_f32_f16_e32 v35, v38
	s_waitcnt vmcnt(2)
	ds_write_b32 v143, v32
	s_waitcnt vmcnt(1)
	ds_write_b32 v145, v33
	;; [unrolled: 2-line block ×3, first 2 shown]
	ds_write_b32 v87, v35
	s_waitcnt lgkmcnt(0)
	s_barrier
.LBB130_7:                              ;   Parent Loop BB130_6 Depth=1
                                        ; =>  This Inner Loop Header: Depth=2
	s_add_i32 s20, s22, 2
	s_lshr_b32 s24, s20, 4
	s_and_b32 s21, s20, 0x3ffffff8
	v_lshl_add_u32 v154, s21, 2, v177
	s_lshl_b32 s21, s24, 5
	s_addk_i32 s21, 0x4200
	v_lshlrev_b32_e32 v184, 2, v45
	v_add3_u32 v152, s21, v184, v178
	v_add3_u32 v212, s21, v172, v127
	ds_read2_b32 v[156:157], v171 offset1:32
	ds_read_b128 v[36:39], v170
	ds_read_b128 v[32:35], v170 offset:16
	ds_read2_b32 v[158:159], v154 offset1:1
	ds_read2_b32 v[222:223], v212 offset0:6 offset1:7
	ds_read2_b32 v[160:161], v152 offset1:1
	s_and_b32 s23, s19, -16
	s_add_i32 s22, s22, s23
	s_waitcnt lgkmcnt(2)
	v_ashrrev_i32_e32 v148, s20, v158
	v_bfe_u32 v150, v148, 24, 2
	s_waitcnt lgkmcnt(0)
	v_ashrrev_i32_e32 v158, s18, v160
	v_lshlrev_b32_e32 v158, 2, v158
	v_and_b32_e32 v148, 0x3030303, v148
	v_and_b32_e32 v158, 0x4040404, v158
	v_sub_u16_e32 v160, v148, v158
	v_sub_u16_sdwa v162, v148, v158 dst_sel:BYTE_1 dst_unused:UNUSED_PAD src0_sel:BYTE_1 src1_sel:BYTE_1
	v_sub_u16_sdwa v148, v148, v158 dst_sel:DWORD dst_unused:UNUSED_PAD src0_sel:WORD_1 src1_sel:WORD_1
	v_sub_u16_sdwa v150, v150, v158 dst_sel:BYTE_1 dst_unused:UNUSED_PAD src0_sel:DWORD src1_sel:BYTE_3
	v_bitop3_b16 v160, v160, v162, s8 bitop3:0xec
	v_bitop3_b16 v148, v148, v150, s8 bitop3:0xec
	v_lshlrev_b32_e32 v148, 16, v148
	v_or_b32_sdwa v158, v160, v148 dst_sel:DWORD dst_unused:UNUSED_PAD src0_sel:WORD_0 src1_sel:DWORD
	v_ashrrev_i32_e32 v148, s20, v159
	v_ashrrev_i32_e32 v159, s18, v161
	v_lshlrev_b32_e32 v159, 2, v159
	v_bfe_u32 v150, v148, 24, 2
	v_and_b32_e32 v148, 0x3030303, v148
	v_and_b32_e32 v159, 0x4040404, v159
	v_sub_u16_e32 v160, v148, v159
	v_sub_u16_sdwa v161, v148, v159 dst_sel:BYTE_1 dst_unused:UNUSED_PAD src0_sel:BYTE_1 src1_sel:BYTE_1
	v_sub_u16_sdwa v148, v148, v159 dst_sel:DWORD dst_unused:UNUSED_PAD src0_sel:WORD_1 src1_sel:WORD_1
	v_sub_u16_sdwa v150, v150, v159 dst_sel:BYTE_1 dst_unused:UNUSED_PAD src0_sel:DWORD src1_sel:BYTE_3
	v_bitop3_b16 v160, v160, v161, s8 bitop3:0xec
	v_bitop3_b16 v148, v148, v150, s8 bitop3:0xec
	v_lshlrev_b32_e32 v148, 16, v148
	v_or_b32_sdwa v159, v160, v148 dst_sel:DWORD dst_unused:UNUSED_PAD src0_sel:WORD_0 src1_sel:DWORD
	ds_read2_b32 v[160:161], v154 offset0:2 offset1:3
	ds_read2_b32 v[162:163], v152 offset0:2 offset1:3
	s_lshl_b32 s23, s24, 2
	s_add_i32 s23, s23, 0x9380
	v_lshlrev_b32_e32 v185, 2, v40
	s_waitcnt lgkmcnt(1)
	v_ashrrev_i32_e32 v148, s20, v160
	s_waitcnt lgkmcnt(0)
	v_ashrrev_i32_e32 v160, s18, v162
	v_lshlrev_b32_e32 v160, 2, v160
	v_bfe_u32 v150, v148, 24, 2
	v_and_b32_e32 v148, 0x3030303, v148
	v_and_b32_e32 v160, 0x4040404, v160
	v_sub_u16_e32 v162, v148, v160
	v_sub_u16_sdwa v164, v148, v160 dst_sel:BYTE_1 dst_unused:UNUSED_PAD src0_sel:BYTE_1 src1_sel:BYTE_1
	v_sub_u16_sdwa v148, v148, v160 dst_sel:DWORD dst_unused:UNUSED_PAD src0_sel:WORD_1 src1_sel:WORD_1
	v_sub_u16_sdwa v150, v150, v160 dst_sel:BYTE_1 dst_unused:UNUSED_PAD src0_sel:DWORD src1_sel:BYTE_3
	v_bitop3_b16 v162, v162, v164, s8 bitop3:0xec
	v_bitop3_b16 v148, v148, v150, s8 bitop3:0xec
	v_lshlrev_b32_e32 v148, 16, v148
	v_or_b32_sdwa v160, v162, v148 dst_sel:DWORD dst_unused:UNUSED_PAD src0_sel:WORD_0 src1_sel:DWORD
	v_ashrrev_i32_e32 v148, s20, v161
	v_ashrrev_i32_e32 v161, s18, v163
	v_lshlrev_b32_e32 v161, 2, v161
	v_bfe_u32 v150, v148, 24, 2
	v_and_b32_e32 v148, 0x3030303, v148
	v_and_b32_e32 v161, 0x4040404, v161
	v_sub_u16_e32 v162, v148, v161
	v_sub_u16_sdwa v163, v148, v161 dst_sel:BYTE_1 dst_unused:UNUSED_PAD src0_sel:BYTE_1 src1_sel:BYTE_1
	v_sub_u16_sdwa v148, v148, v161 dst_sel:DWORD dst_unused:UNUSED_PAD src0_sel:WORD_1 src1_sel:WORD_1
	v_sub_u16_sdwa v150, v150, v161 dst_sel:BYTE_1 dst_unused:UNUSED_PAD src0_sel:DWORD src1_sel:BYTE_3
	v_bitop3_b16 v162, v162, v163, s8 bitop3:0xec
	v_bitop3_b16 v148, v148, v150, s8 bitop3:0xec
	v_lshlrev_b32_e32 v148, 16, v148
	v_or_b32_sdwa v161, v162, v148 dst_sel:DWORD dst_unused:UNUSED_PAD src0_sel:WORD_0 src1_sel:DWORD
	ds_read2_b32 v[162:163], v154 offset0:4 offset1:5
	ds_read2_b32 v[164:165], v152 offset0:4 offset1:5
	v_lshlrev_b32_e32 v186, 2, v174
	v_add3_u32 v169, s21, v149, v113
	ds_read2_b32 v[192:193], v169 offset1:1
	s_waitcnt lgkmcnt(2)
	v_ashrrev_i32_e32 v148, s20, v162
	s_waitcnt lgkmcnt(1)
	v_ashrrev_i32_e32 v162, s18, v164
	v_lshlrev_b32_e32 v162, 2, v162
	v_bfe_u32 v150, v148, 24, 2
	v_and_b32_e32 v148, 0x3030303, v148
	v_and_b32_e32 v162, 0x4040404, v162
	v_sub_u16_e32 v164, v148, v162
	v_sub_u16_sdwa v166, v148, v162 dst_sel:BYTE_1 dst_unused:UNUSED_PAD src0_sel:BYTE_1 src1_sel:BYTE_1
	v_sub_u16_sdwa v148, v148, v162 dst_sel:DWORD dst_unused:UNUSED_PAD src0_sel:WORD_1 src1_sel:WORD_1
	v_sub_u16_sdwa v150, v150, v162 dst_sel:BYTE_1 dst_unused:UNUSED_PAD src0_sel:DWORD src1_sel:BYTE_3
	v_bitop3_b16 v164, v164, v166, s8 bitop3:0xec
	v_bitop3_b16 v148, v148, v150, s8 bitop3:0xec
	v_lshlrev_b32_e32 v148, 16, v148
	v_or_b32_sdwa v162, v164, v148 dst_sel:DWORD dst_unused:UNUSED_PAD src0_sel:WORD_0 src1_sel:DWORD
	v_ashrrev_i32_e32 v148, s20, v163
	v_ashrrev_i32_e32 v163, s18, v165
	v_lshlrev_b32_e32 v163, 2, v163
	v_bfe_u32 v150, v148, 24, 2
	v_and_b32_e32 v148, 0x3030303, v148
	v_and_b32_e32 v163, 0x4040404, v163
	v_sub_u16_e32 v164, v148, v163
	v_sub_u16_sdwa v165, v148, v163 dst_sel:BYTE_1 dst_unused:UNUSED_PAD src0_sel:BYTE_1 src1_sel:BYTE_1
	v_sub_u16_sdwa v148, v148, v163 dst_sel:DWORD dst_unused:UNUSED_PAD src0_sel:WORD_1 src1_sel:WORD_1
	v_sub_u16_sdwa v150, v150, v163 dst_sel:BYTE_1 dst_unused:UNUSED_PAD src0_sel:DWORD src1_sel:BYTE_3
	v_bitop3_b16 v164, v164, v165, s8 bitop3:0xec
	v_bitop3_b16 v148, v148, v150, s8 bitop3:0xec
	v_lshlrev_b32_e32 v148, 16, v148
	v_or_b32_sdwa v163, v164, v148 dst_sel:DWORD dst_unused:UNUSED_PAD src0_sel:WORD_0 src1_sel:DWORD
	ds_read2_b32 v[164:165], v154 offset0:6 offset1:7
	ds_read2_b32 v[166:167], v152 offset0:6 offset1:7
	s_waitcnt lgkmcnt(2)
	v_ashrrev_i32_e32 v189, s18, v192
	v_lshlrev_b32_e32 v189, 2, v189
	v_and_b32_e32 v189, 0x4040404, v189
	s_waitcnt lgkmcnt(1)
	v_ashrrev_i32_e32 v148, s20, v164
	s_waitcnt lgkmcnt(0)
	v_ashrrev_i32_e32 v152, s18, v166
	v_lshlrev_b32_e32 v152, 2, v152
	v_bfe_u32 v150, v148, 24, 2
	v_and_b32_e32 v148, 0x3030303, v148
	v_and_b32_e32 v152, 0x4040404, v152
	v_sub_u16_e32 v164, v148, v152
	v_sub_u16_sdwa v166, v148, v152 dst_sel:BYTE_1 dst_unused:UNUSED_PAD src0_sel:BYTE_1 src1_sel:BYTE_1
	v_sub_u16_sdwa v148, v148, v152 dst_sel:DWORD dst_unused:UNUSED_PAD src0_sel:WORD_1 src1_sel:WORD_1
	v_sub_u16_sdwa v150, v150, v152 dst_sel:BYTE_1 dst_unused:UNUSED_PAD src0_sel:DWORD src1_sel:BYTE_3
	v_bitop3_b16 v164, v164, v166, s8 bitop3:0xec
	v_bitop3_b16 v148, v148, v150, s8 bitop3:0xec
	v_lshlrev_b32_e32 v148, 16, v148
	v_ashrrev_i32_e32 v152, s18, v167
	v_or_b32_sdwa v164, v164, v148 dst_sel:DWORD dst_unused:UNUSED_PAD src0_sel:WORD_0 src1_sel:DWORD
	v_ashrrev_i32_e32 v148, s20, v165
	v_lshlrev_b32_e32 v152, 2, v152
	v_bfe_u32 v150, v148, 24, 2
	v_and_b32_e32 v148, 0x3030303, v148
	v_and_b32_e32 v152, 0x4040404, v152
	v_sub_u16_e32 v165, v148, v152
	v_sub_u16_sdwa v166, v148, v152 dst_sel:BYTE_1 dst_unused:UNUSED_PAD src0_sel:BYTE_1 src1_sel:BYTE_1
	v_sub_u16_sdwa v148, v148, v152 dst_sel:DWORD dst_unused:UNUSED_PAD src0_sel:WORD_1 src1_sel:WORD_1
	v_sub_u16_sdwa v150, v150, v152 dst_sel:BYTE_1 dst_unused:UNUSED_PAD src0_sel:DWORD src1_sel:BYTE_3
	v_bitop3_b16 v165, v165, v166, s8 bitop3:0xec
	v_bitop3_b16 v148, v148, v150, s8 bitop3:0xec
	v_lshlrev_b32_e32 v148, 16, v148
	v_or_b32_sdwa v165, v165, v148 dst_sel:DWORD dst_unused:UNUSED_PAD src0_sel:WORD_0 src1_sel:DWORD
	v_add3_u32 v148, s23, v185, v186
	v_add_u32_e32 v150, 0x1080, v154
	ds_read_b32 v148, v148
	ds_read2_b32 v[190:191], v150 offset1:1
	ds_read2_b32 v[194:195], v169 offset0:2 offset1:3
	ds_read2_b32 v[196:197], v169 offset0:4 offset1:5
	;; [unrolled: 1-line block ×3, first 2 shown]
	v_add3_u32 v206, s21, v153, v121
	s_waitcnt lgkmcnt(3)
	v_ashrrev_i32_e32 v150, s20, v190
	v_bfe_u32 v152, v150, 24, 2
	v_and_b32_e32 v150, 0x3030303, v150
	v_sub_u16_e32 v190, v150, v189
	v_sub_u16_sdwa v192, v150, v189 dst_sel:BYTE_1 dst_unused:UNUSED_PAD src0_sel:BYTE_1 src1_sel:BYTE_1
	v_sub_u16_sdwa v150, v150, v189 dst_sel:DWORD dst_unused:UNUSED_PAD src0_sel:WORD_1 src1_sel:WORD_1
	v_sub_u16_sdwa v152, v152, v189 dst_sel:BYTE_1 dst_unused:UNUSED_PAD src0_sel:DWORD src1_sel:BYTE_3
	v_bitop3_b16 v190, v190, v192, s8 bitop3:0xec
	v_bitop3_b16 v150, v150, v152, s8 bitop3:0xec
	v_lshlrev_b32_e32 v150, 16, v150
	v_or_b32_sdwa v189, v190, v150 dst_sel:DWORD dst_unused:UNUSED_PAD src0_sel:WORD_0 src1_sel:DWORD
	v_ashrrev_i32_e32 v190, s18, v193
	v_ashrrev_i32_e32 v150, s20, v191
	v_lshlrev_b32_e32 v190, 2, v190
	v_bfe_u32 v152, v150, 24, 2
	v_and_b32_e32 v150, 0x3030303, v150
	v_and_b32_e32 v190, 0x4040404, v190
	v_sub_u16_e32 v191, v150, v190
	v_sub_u16_sdwa v192, v150, v190 dst_sel:BYTE_1 dst_unused:UNUSED_PAD src0_sel:BYTE_1 src1_sel:BYTE_1
	v_sub_u16_sdwa v150, v150, v190 dst_sel:DWORD dst_unused:UNUSED_PAD src0_sel:WORD_1 src1_sel:WORD_1
	v_sub_u16_sdwa v152, v152, v190 dst_sel:BYTE_1 dst_unused:UNUSED_PAD src0_sel:DWORD src1_sel:BYTE_3
	v_bitop3_b16 v191, v191, v192, s8 bitop3:0xec
	v_bitop3_b16 v150, v150, v152, s8 bitop3:0xec
	v_lshlrev_b32_e32 v150, 16, v150
	v_or_b32_sdwa v190, v191, v150 dst_sel:DWORD dst_unused:UNUSED_PAD src0_sel:WORD_0 src1_sel:DWORD
	v_add_u32_e32 v150, 0x1088, v154
	ds_read2_b32 v[192:193], v150 offset1:1
	s_waitcnt lgkmcnt(3)
	v_ashrrev_i32_e32 v191, s18, v194
	v_lshlrev_b32_e32 v191, 2, v191
	v_and_b32_e32 v191, 0x4040404, v191
	s_waitcnt lgkmcnt(1)
	v_ashrrev_i32_e32 v169, s18, v198
	s_waitcnt lgkmcnt(0)
	v_ashrrev_i32_e32 v150, s20, v192
	v_bfe_u32 v152, v150, 24, 2
	v_and_b32_e32 v150, 0x3030303, v150
	v_sub_u16_e32 v192, v150, v191
	v_sub_u16_sdwa v194, v150, v191 dst_sel:BYTE_1 dst_unused:UNUSED_PAD src0_sel:BYTE_1 src1_sel:BYTE_1
	v_sub_u16_sdwa v150, v150, v191 dst_sel:DWORD dst_unused:UNUSED_PAD src0_sel:WORD_1 src1_sel:WORD_1
	v_sub_u16_sdwa v152, v152, v191 dst_sel:BYTE_1 dst_unused:UNUSED_PAD src0_sel:DWORD src1_sel:BYTE_3
	v_bitop3_b16 v192, v192, v194, s8 bitop3:0xec
	v_bitop3_b16 v150, v150, v152, s8 bitop3:0xec
	v_lshlrev_b32_e32 v150, 16, v150
	v_or_b32_sdwa v191, v192, v150 dst_sel:DWORD dst_unused:UNUSED_PAD src0_sel:WORD_0 src1_sel:DWORD
	v_ashrrev_i32_e32 v192, s18, v195
	v_ashrrev_i32_e32 v150, s20, v193
	v_lshlrev_b32_e32 v192, 2, v192
	v_bfe_u32 v152, v150, 24, 2
	v_and_b32_e32 v150, 0x3030303, v150
	v_and_b32_e32 v192, 0x4040404, v192
	v_sub_u16_e32 v193, v150, v192
	v_sub_u16_sdwa v194, v150, v192 dst_sel:BYTE_1 dst_unused:UNUSED_PAD src0_sel:BYTE_1 src1_sel:BYTE_1
	v_sub_u16_sdwa v150, v150, v192 dst_sel:DWORD dst_unused:UNUSED_PAD src0_sel:WORD_1 src1_sel:WORD_1
	v_sub_u16_sdwa v152, v152, v192 dst_sel:BYTE_1 dst_unused:UNUSED_PAD src0_sel:DWORD src1_sel:BYTE_3
	v_bitop3_b16 v193, v193, v194, s8 bitop3:0xec
	v_bitop3_b16 v150, v150, v152, s8 bitop3:0xec
	v_lshlrev_b32_e32 v150, 16, v150
	v_or_b32_sdwa v192, v193, v150 dst_sel:DWORD dst_unused:UNUSED_PAD src0_sel:WORD_0 src1_sel:DWORD
	v_add_u32_e32 v150, 0x1090, v154
	ds_read2_b32 v[194:195], v150 offset1:1
	v_ashrrev_i32_e32 v193, s18, v196
	v_lshlrev_b32_e32 v193, 2, v193
	v_and_b32_e32 v193, 0x4040404, v193
	v_lshlrev_b32_e32 v169, 2, v169
	s_waitcnt lgkmcnt(0)
	v_ashrrev_i32_e32 v150, s20, v194
	v_bfe_u32 v152, v150, 24, 2
	v_and_b32_e32 v150, 0x3030303, v150
	v_sub_u16_e32 v194, v150, v193
	v_sub_u16_sdwa v196, v150, v193 dst_sel:BYTE_1 dst_unused:UNUSED_PAD src0_sel:BYTE_1 src1_sel:BYTE_1
	v_sub_u16_sdwa v150, v150, v193 dst_sel:DWORD dst_unused:UNUSED_PAD src0_sel:WORD_1 src1_sel:WORD_1
	v_sub_u16_sdwa v152, v152, v193 dst_sel:BYTE_1 dst_unused:UNUSED_PAD src0_sel:DWORD src1_sel:BYTE_3
	v_bitop3_b16 v194, v194, v196, s8 bitop3:0xec
	v_bitop3_b16 v150, v150, v152, s8 bitop3:0xec
	v_lshlrev_b32_e32 v150, 16, v150
	v_or_b32_sdwa v193, v194, v150 dst_sel:DWORD dst_unused:UNUSED_PAD src0_sel:WORD_0 src1_sel:DWORD
	v_ashrrev_i32_e32 v194, s18, v197
	v_ashrrev_i32_e32 v150, s20, v195
	v_lshlrev_b32_e32 v194, 2, v194
	v_bfe_u32 v152, v150, 24, 2
	v_and_b32_e32 v150, 0x3030303, v150
	v_and_b32_e32 v194, 0x4040404, v194
	v_sub_u16_e32 v195, v150, v194
	v_sub_u16_sdwa v196, v150, v194 dst_sel:BYTE_1 dst_unused:UNUSED_PAD src0_sel:BYTE_1 src1_sel:BYTE_1
	v_sub_u16_sdwa v150, v150, v194 dst_sel:DWORD dst_unused:UNUSED_PAD src0_sel:WORD_1 src1_sel:WORD_1
	v_sub_u16_sdwa v152, v152, v194 dst_sel:BYTE_1 dst_unused:UNUSED_PAD src0_sel:DWORD src1_sel:BYTE_3
	v_bitop3_b16 v195, v195, v196, s8 bitop3:0xec
	v_bitop3_b16 v150, v150, v152, s8 bitop3:0xec
	v_lshlrev_b32_e32 v150, 16, v150
	v_or_b32_sdwa v194, v195, v150 dst_sel:DWORD dst_unused:UNUSED_PAD src0_sel:WORD_0 src1_sel:DWORD
	v_add_u32_e32 v150, 0x1098, v154
	ds_read2_b32 v[196:197], v150 offset1:1
	v_and_b32_e32 v169, 0x4040404, v169
	ds_read2_b32 v[200:201], v206 offset1:1
	v_mov_b32_e32 v167, 0
	v_mov_b32_e32 v168, 0
	s_waitcnt lgkmcnt(1)
	v_ashrrev_i32_e32 v150, s20, v196
	v_bfe_u32 v152, v150, 24, 2
	v_and_b32_e32 v150, 0x3030303, v150
	v_sub_u16_e32 v195, v150, v169
	v_sub_u16_sdwa v196, v150, v169 dst_sel:BYTE_1 dst_unused:UNUSED_PAD src0_sel:BYTE_1 src1_sel:BYTE_1
	v_sub_u16_sdwa v150, v150, v169 dst_sel:DWORD dst_unused:UNUSED_PAD src0_sel:WORD_1 src1_sel:WORD_1
	v_sub_u16_sdwa v152, v152, v169 dst_sel:BYTE_1 dst_unused:UNUSED_PAD src0_sel:DWORD src1_sel:BYTE_3
	v_bitop3_b16 v195, v195, v196, s8 bitop3:0xec
	v_bitop3_b16 v150, v150, v152, s8 bitop3:0xec
	v_lshlrev_b32_e32 v150, 16, v150
	v_ashrrev_i32_e32 v169, s18, v199
	v_or_b32_sdwa v195, v195, v150 dst_sel:DWORD dst_unused:UNUSED_PAD src0_sel:WORD_0 src1_sel:DWORD
	v_ashrrev_i32_e32 v150, s20, v197
	v_lshlrev_b32_e32 v169, 2, v169
	v_bfe_u32 v152, v150, 24, 2
	v_and_b32_e32 v150, 0x3030303, v150
	v_and_b32_e32 v169, 0x4040404, v169
	v_sub_u16_e32 v196, v150, v169
	v_sub_u16_sdwa v197, v150, v169 dst_sel:BYTE_1 dst_unused:UNUSED_PAD src0_sel:BYTE_1 src1_sel:BYTE_1
	v_sub_u16_sdwa v150, v150, v169 dst_sel:DWORD dst_unused:UNUSED_PAD src0_sel:WORD_1 src1_sel:WORD_1
	v_sub_u16_sdwa v152, v152, v169 dst_sel:BYTE_1 dst_unused:UNUSED_PAD src0_sel:DWORD src1_sel:BYTE_3
	v_bitop3_b16 v196, v196, v197, s8 bitop3:0xec
	v_bitop3_b16 v150, v150, v152, s8 bitop3:0xec
	v_lshlrev_b32_e32 v150, 16, v150
	v_or_b32_sdwa v196, v196, v150 dst_sel:DWORD dst_unused:UNUSED_PAD src0_sel:WORD_0 src1_sel:DWORD
	v_add3_u32 v150, s23, v151, v117
	v_add_u32_e32 v152, 0x2100, v154
	ds_read_b32 v150, v150
	ds_read2_b32 v[198:199], v152 offset1:1
	v_mov_b32_e32 v213, 0
	v_mov_b32_e32 v214, 0
	v_mov_b32_e32 v219, 0
	v_mov_b32_e32 v221, 0
	s_waitcnt lgkmcnt(0)
	v_ashrrev_i32_e32 v152, s20, v198
	v_ashrrev_i32_e32 v198, s18, v200
	v_lshlrev_b32_e32 v198, 2, v198
	v_bfe_u32 v197, v152, 24, 2
	v_and_b32_e32 v152, 0x3030303, v152
	v_and_b32_e32 v198, 0x4040404, v198
	v_sub_u16_e32 v200, v152, v198
	v_sub_u16_sdwa v202, v152, v198 dst_sel:BYTE_1 dst_unused:UNUSED_PAD src0_sel:BYTE_1 src1_sel:BYTE_1
	v_sub_u16_sdwa v152, v152, v198 dst_sel:DWORD dst_unused:UNUSED_PAD src0_sel:WORD_1 src1_sel:WORD_1
	v_sub_u16_sdwa v197, v197, v198 dst_sel:BYTE_1 dst_unused:UNUSED_PAD src0_sel:DWORD src1_sel:BYTE_3
	v_bitop3_b16 v200, v200, v202, s8 bitop3:0xec
	v_bitop3_b16 v152, v152, v197, s8 bitop3:0xec
	v_lshlrev_b32_e32 v152, 16, v152
	v_or_b32_sdwa v197, v200, v152 dst_sel:DWORD dst_unused:UNUSED_PAD src0_sel:WORD_0 src1_sel:DWORD
	v_ashrrev_i32_e32 v152, s20, v199
	v_ashrrev_i32_e32 v199, s18, v201
	v_lshlrev_b32_e32 v199, 2, v199
	v_bfe_u32 v198, v152, 24, 2
	v_and_b32_e32 v152, 0x3030303, v152
	v_and_b32_e32 v199, 0x4040404, v199
	v_sub_u16_e32 v200, v152, v199
	v_sub_u16_sdwa v201, v152, v199 dst_sel:BYTE_1 dst_unused:UNUSED_PAD src0_sel:BYTE_1 src1_sel:BYTE_1
	v_sub_u16_sdwa v152, v152, v199 dst_sel:DWORD dst_unused:UNUSED_PAD src0_sel:WORD_1 src1_sel:WORD_1
	v_sub_u16_sdwa v198, v198, v199 dst_sel:BYTE_1 dst_unused:UNUSED_PAD src0_sel:DWORD src1_sel:BYTE_3
	v_bitop3_b16 v200, v200, v201, s8 bitop3:0xec
	v_bitop3_b16 v152, v152, v198, s8 bitop3:0xec
	v_lshlrev_b32_e32 v152, 16, v152
	v_or_b32_sdwa v198, v200, v152 dst_sel:DWORD dst_unused:UNUSED_PAD src0_sel:WORD_0 src1_sel:DWORD
	v_add_u32_e32 v152, 0x2108, v154
	ds_read2_b32 v[200:201], v152 offset1:1
	ds_read2_b32 v[202:203], v206 offset0:2 offset1:3
	v_mov_b32_e32 v236, 0
	v_dot4c_i32_i8_e32 v167, v158, v36
	v_dot4c_i32_i8_e32 v168, v162, v32
	s_waitcnt lgkmcnt(1)
	v_ashrrev_i32_e32 v152, s20, v200
	s_waitcnt lgkmcnt(0)
	v_ashrrev_i32_e32 v200, s18, v202
	v_lshlrev_b32_e32 v200, 2, v200
	v_bfe_u32 v199, v152, 24, 2
	v_and_b32_e32 v152, 0x3030303, v152
	v_and_b32_e32 v200, 0x4040404, v200
	v_sub_u16_e32 v202, v152, v200
	v_sub_u16_sdwa v204, v152, v200 dst_sel:BYTE_1 dst_unused:UNUSED_PAD src0_sel:BYTE_1 src1_sel:BYTE_1
	v_sub_u16_sdwa v152, v152, v200 dst_sel:DWORD dst_unused:UNUSED_PAD src0_sel:WORD_1 src1_sel:WORD_1
	v_sub_u16_sdwa v199, v199, v200 dst_sel:BYTE_1 dst_unused:UNUSED_PAD src0_sel:DWORD src1_sel:BYTE_3
	v_bitop3_b16 v202, v202, v204, s8 bitop3:0xec
	v_bitop3_b16 v152, v152, v199, s8 bitop3:0xec
	v_lshlrev_b32_e32 v152, 16, v152
	v_or_b32_sdwa v199, v202, v152 dst_sel:DWORD dst_unused:UNUSED_PAD src0_sel:WORD_0 src1_sel:DWORD
	v_ashrrev_i32_e32 v152, s20, v201
	v_ashrrev_i32_e32 v201, s18, v203
	v_lshlrev_b32_e32 v201, 2, v201
	v_bfe_u32 v200, v152, 24, 2
	v_and_b32_e32 v152, 0x3030303, v152
	v_and_b32_e32 v201, 0x4040404, v201
	v_sub_u16_e32 v202, v152, v201
	v_sub_u16_sdwa v203, v152, v201 dst_sel:BYTE_1 dst_unused:UNUSED_PAD src0_sel:BYTE_1 src1_sel:BYTE_1
	v_sub_u16_sdwa v152, v152, v201 dst_sel:DWORD dst_unused:UNUSED_PAD src0_sel:WORD_1 src1_sel:WORD_1
	v_sub_u16_sdwa v200, v200, v201 dst_sel:BYTE_1 dst_unused:UNUSED_PAD src0_sel:DWORD src1_sel:BYTE_3
	v_bitop3_b16 v202, v202, v203, s8 bitop3:0xec
	v_bitop3_b16 v152, v152, v200, s8 bitop3:0xec
	v_lshlrev_b32_e32 v152, 16, v152
	v_or_b32_sdwa v200, v202, v152 dst_sel:DWORD dst_unused:UNUSED_PAD src0_sel:WORD_0 src1_sel:DWORD
	v_add_u32_e32 v152, 0x2110, v154
	ds_read2_b32 v[202:203], v152 offset1:1
	ds_read2_b32 v[204:205], v206 offset0:4 offset1:5
	v_dot4c_i32_i8_e32 v213, v189, v36
	v_dot4c_i32_i8_e32 v214, v193, v32
	;; [unrolled: 1-line block ×3, first 2 shown]
	s_waitcnt lgkmcnt(1)
	v_ashrrev_i32_e32 v152, s20, v202
	s_waitcnt lgkmcnt(0)
	v_ashrrev_i32_e32 v202, s18, v204
	v_lshlrev_b32_e32 v202, 2, v202
	v_bfe_u32 v201, v152, 24, 2
	v_and_b32_e32 v152, 0x3030303, v152
	v_and_b32_e32 v202, 0x4040404, v202
	v_sub_u16_e32 v204, v152, v202
	v_sub_u16_sdwa v207, v152, v202 dst_sel:BYTE_1 dst_unused:UNUSED_PAD src0_sel:BYTE_1 src1_sel:BYTE_1
	v_sub_u16_sdwa v152, v152, v202 dst_sel:DWORD dst_unused:UNUSED_PAD src0_sel:WORD_1 src1_sel:WORD_1
	v_sub_u16_sdwa v201, v201, v202 dst_sel:BYTE_1 dst_unused:UNUSED_PAD src0_sel:DWORD src1_sel:BYTE_3
	v_bitop3_b16 v204, v204, v207, s8 bitop3:0xec
	v_bitop3_b16 v152, v152, v201, s8 bitop3:0xec
	v_lshlrev_b32_e32 v152, 16, v152
	v_or_b32_sdwa v201, v204, v152 dst_sel:DWORD dst_unused:UNUSED_PAD src0_sel:WORD_0 src1_sel:DWORD
	v_ashrrev_i32_e32 v152, s20, v203
	v_ashrrev_i32_e32 v203, s18, v205
	v_lshlrev_b32_e32 v203, 2, v203
	v_bfe_u32 v202, v152, 24, 2
	v_and_b32_e32 v152, 0x3030303, v152
	v_and_b32_e32 v203, 0x4040404, v203
	v_sub_u16_e32 v204, v152, v203
	v_sub_u16_sdwa v205, v152, v203 dst_sel:BYTE_1 dst_unused:UNUSED_PAD src0_sel:BYTE_1 src1_sel:BYTE_1
	v_sub_u16_sdwa v152, v152, v203 dst_sel:DWORD dst_unused:UNUSED_PAD src0_sel:WORD_1 src1_sel:WORD_1
	v_sub_u16_sdwa v202, v202, v203 dst_sel:BYTE_1 dst_unused:UNUSED_PAD src0_sel:DWORD src1_sel:BYTE_3
	v_bitop3_b16 v204, v204, v205, s8 bitop3:0xec
	v_bitop3_b16 v152, v152, v202, s8 bitop3:0xec
	v_lshlrev_b32_e32 v152, 16, v152
	v_or_b32_sdwa v202, v204, v152 dst_sel:DWORD dst_unused:UNUSED_PAD src0_sel:WORD_0 src1_sel:DWORD
	v_add_u32_e32 v152, 0x2118, v154
	ds_read2_b32 v[204:205], v152 offset1:1
	ds_read2_b32 v[206:207], v206 offset0:6 offset1:7
	v_dot4c_i32_i8_e32 v221, v201, v32
	v_dot4c_i32_i8_e32 v167, v159, v37
	;; [unrolled: 1-line block ×3, first 2 shown]
	s_waitcnt lgkmcnt(1)
	v_ashrrev_i32_e32 v152, s20, v204
	s_waitcnt lgkmcnt(0)
	v_ashrrev_i32_e32 v204, s18, v206
	v_lshlrev_b32_e32 v204, 2, v204
	v_bfe_u32 v203, v152, 24, 2
	v_and_b32_e32 v152, 0x3030303, v152
	v_and_b32_e32 v204, 0x4040404, v204
	v_sub_u16_e32 v206, v152, v204
	v_sub_u16_sdwa v208, v152, v204 dst_sel:BYTE_1 dst_unused:UNUSED_PAD src0_sel:BYTE_1 src1_sel:BYTE_1
	v_sub_u16_sdwa v152, v152, v204 dst_sel:DWORD dst_unused:UNUSED_PAD src0_sel:WORD_1 src1_sel:WORD_1
	v_sub_u16_sdwa v203, v203, v204 dst_sel:BYTE_1 dst_unused:UNUSED_PAD src0_sel:DWORD src1_sel:BYTE_3
	v_bitop3_b16 v206, v206, v208, s8 bitop3:0xec
	v_bitop3_b16 v152, v152, v203, s8 bitop3:0xec
	v_lshlrev_b32_e32 v152, 16, v152
	v_or_b32_sdwa v203, v206, v152 dst_sel:DWORD dst_unused:UNUSED_PAD src0_sel:WORD_0 src1_sel:DWORD
	v_ashrrev_i32_e32 v152, s20, v205
	v_ashrrev_i32_e32 v205, s18, v207
	v_lshlrev_b32_e32 v205, 2, v205
	v_bfe_u32 v204, v152, 24, 2
	v_and_b32_e32 v152, 0x3030303, v152
	v_and_b32_e32 v205, 0x4040404, v205
	v_sub_u16_e32 v206, v152, v205
	v_sub_u16_sdwa v207, v152, v205 dst_sel:BYTE_1 dst_unused:UNUSED_PAD src0_sel:BYTE_1 src1_sel:BYTE_1
	v_sub_u16_sdwa v152, v152, v205 dst_sel:DWORD dst_unused:UNUSED_PAD src0_sel:WORD_1 src1_sel:WORD_1
	v_sub_u16_sdwa v204, v204, v205 dst_sel:BYTE_1 dst_unused:UNUSED_PAD src0_sel:DWORD src1_sel:BYTE_3
	v_bitop3_b16 v206, v206, v207, s8 bitop3:0xec
	v_bitop3_b16 v152, v152, v204, s8 bitop3:0xec
	v_lshlrev_b32_e32 v152, 16, v152
	v_add_u32_e32 v205, 0x3180, v154
	v_or_b32_sdwa v204, v206, v152 dst_sel:DWORD dst_unused:UNUSED_PAD src0_sel:WORD_0 src1_sel:DWORD
	ds_read2_b32 v[206:207], v205 offset1:1
	ds_read2_b32 v[208:209], v212 offset1:1
	v_add3_u32 v152, s23, v155, v123
	ds_read_b32 v152, v152
	v_dot4c_i32_i8_e32 v213, v190, v37
	s_waitcnt lgkmcnt(2)
	v_ashrrev_i32_e32 v205, s20, v206
	s_waitcnt lgkmcnt(1)
	v_ashrrev_i32_e32 v208, s18, v208
	v_lshlrev_b32_e32 v208, 2, v208
	v_bfe_u32 v206, v205, 24, 2
	v_and_b32_e32 v205, 0x3030303, v205
	v_and_b32_e32 v208, 0x4040404, v208
	v_sub_u16_e32 v210, v205, v208
	v_sub_u16_sdwa v211, v205, v208 dst_sel:BYTE_1 dst_unused:UNUSED_PAD src0_sel:BYTE_1 src1_sel:BYTE_1
	v_sub_u16_sdwa v205, v205, v208 dst_sel:DWORD dst_unused:UNUSED_PAD src0_sel:WORD_1 src1_sel:WORD_1
	v_sub_u16_sdwa v206, v206, v208 dst_sel:BYTE_1 dst_unused:UNUSED_PAD src0_sel:DWORD src1_sel:BYTE_3
	v_ashrrev_i32_e32 v208, s18, v209
	v_bitop3_b16 v205, v205, v206, s8 bitop3:0xec
	v_ashrrev_i32_e32 v206, s20, v207
	v_lshlrev_b32_e32 v208, 2, v208
	v_bitop3_b16 v210, v210, v211, s8 bitop3:0xec
	v_lshlrev_b32_e32 v205, 16, v205
	v_bfe_u32 v207, v206, 24, 2
	v_and_b32_e32 v206, 0x3030303, v206
	v_and_b32_e32 v208, 0x4040404, v208
	v_or_b32_sdwa v205, v210, v205 dst_sel:DWORD dst_unused:UNUSED_PAD src0_sel:WORD_0 src1_sel:DWORD
	v_sub_u16_e32 v209, v206, v208
	v_sub_u16_sdwa v210, v206, v208 dst_sel:BYTE_1 dst_unused:UNUSED_PAD src0_sel:BYTE_1 src1_sel:BYTE_1
	v_sub_u16_sdwa v206, v206, v208 dst_sel:DWORD dst_unused:UNUSED_PAD src0_sel:WORD_1 src1_sel:WORD_1
	v_sub_u16_sdwa v207, v207, v208 dst_sel:BYTE_1 dst_unused:UNUSED_PAD src0_sel:DWORD src1_sel:BYTE_3
	v_bitop3_b16 v209, v209, v210, s8 bitop3:0xec
	v_bitop3_b16 v206, v206, v207, s8 bitop3:0xec
	v_lshlrev_b32_e32 v206, 16, v206
	v_add_u32_e32 v207, 0x3188, v154
	v_or_b32_sdwa v206, v209, v206 dst_sel:DWORD dst_unused:UNUSED_PAD src0_sel:WORD_0 src1_sel:DWORD
	ds_read2_b32 v[208:209], v207 offset1:1
	ds_read2_b32 v[210:211], v212 offset0:2 offset1:3
	v_dot4c_i32_i8_e32 v214, v194, v33
	v_dot4c_i32_i8_e32 v219, v198, v37
	;; [unrolled: 1-line block ×3, first 2 shown]
	s_waitcnt lgkmcnt(1)
	v_ashrrev_i32_e32 v207, s20, v208
	s_waitcnt lgkmcnt(0)
	v_ashrrev_i32_e32 v210, s18, v210
	v_lshlrev_b32_e32 v210, 2, v210
	v_bfe_u32 v208, v207, 24, 2
	v_and_b32_e32 v207, 0x3030303, v207
	v_and_b32_e32 v210, 0x4040404, v210
	v_sub_u16_e32 v216, v207, v210
	v_sub_u16_sdwa v217, v207, v210 dst_sel:BYTE_1 dst_unused:UNUSED_PAD src0_sel:BYTE_1 src1_sel:BYTE_1
	v_sub_u16_sdwa v207, v207, v210 dst_sel:DWORD dst_unused:UNUSED_PAD src0_sel:WORD_1 src1_sel:WORD_1
	v_sub_u16_sdwa v208, v208, v210 dst_sel:BYTE_1 dst_unused:UNUSED_PAD src0_sel:DWORD src1_sel:BYTE_3
	v_ashrrev_i32_e32 v210, s18, v211
	v_bitop3_b16 v207, v207, v208, s8 bitop3:0xec
	v_ashrrev_i32_e32 v208, s20, v209
	v_lshlrev_b32_e32 v210, 2, v210
	v_bitop3_b16 v216, v216, v217, s8 bitop3:0xec
	v_lshlrev_b32_e32 v207, 16, v207
	v_bfe_u32 v209, v208, 24, 2
	v_and_b32_e32 v208, 0x3030303, v208
	v_and_b32_e32 v210, 0x4040404, v210
	v_or_b32_sdwa v207, v216, v207 dst_sel:DWORD dst_unused:UNUSED_PAD src0_sel:WORD_0 src1_sel:DWORD
	v_sub_u16_e32 v211, v208, v210
	v_sub_u16_sdwa v216, v208, v210 dst_sel:BYTE_1 dst_unused:UNUSED_PAD src0_sel:BYTE_1 src1_sel:BYTE_1
	v_sub_u16_sdwa v208, v208, v210 dst_sel:DWORD dst_unused:UNUSED_PAD src0_sel:WORD_1 src1_sel:WORD_1
	v_sub_u16_sdwa v209, v209, v210 dst_sel:BYTE_1 dst_unused:UNUSED_PAD src0_sel:DWORD src1_sel:BYTE_3
	v_bitop3_b16 v211, v211, v216, s8 bitop3:0xec
	v_bitop3_b16 v208, v208, v209, s8 bitop3:0xec
	v_lshlrev_b32_e32 v208, 16, v208
	v_add_u32_e32 v209, 0x3190, v154
	v_or_b32_sdwa v208, v211, v208 dst_sel:DWORD dst_unused:UNUSED_PAD src0_sel:WORD_0 src1_sel:DWORD
	ds_read2_b32 v[210:211], v209 offset1:1
	ds_read2_b32 v[216:217], v212 offset0:4 offset1:5
	v_add_u32_e32 v154, 0x3198, v154
	v_ashrrev_i32_e32 v212, s18, v222
	v_lshlrev_b32_e32 v212, 2, v212
	s_waitcnt lgkmcnt(1)
	v_ashrrev_i32_e32 v209, s20, v210
	s_waitcnt lgkmcnt(0)
	v_ashrrev_i32_e32 v216, s18, v216
	v_lshlrev_b32_e32 v216, 2, v216
	v_bfe_u32 v210, v209, 24, 2
	v_and_b32_e32 v209, 0x3030303, v209
	v_and_b32_e32 v216, 0x4040404, v216
	v_sub_u16_e32 v218, v209, v216
	v_sub_u16_sdwa v220, v209, v216 dst_sel:BYTE_1 dst_unused:UNUSED_PAD src0_sel:BYTE_1 src1_sel:BYTE_1
	v_sub_u16_sdwa v209, v209, v216 dst_sel:DWORD dst_unused:UNUSED_PAD src0_sel:WORD_1 src1_sel:WORD_1
	v_sub_u16_sdwa v210, v210, v216 dst_sel:BYTE_1 dst_unused:UNUSED_PAD src0_sel:DWORD src1_sel:BYTE_3
	v_ashrrev_i32_e32 v216, s18, v217
	v_bitop3_b16 v209, v209, v210, s8 bitop3:0xec
	v_ashrrev_i32_e32 v210, s20, v211
	v_lshlrev_b32_e32 v216, 2, v216
	v_bitop3_b16 v218, v218, v220, s8 bitop3:0xec
	v_lshlrev_b32_e32 v209, 16, v209
	v_bfe_u32 v211, v210, 24, 2
	v_and_b32_e32 v210, 0x3030303, v210
	v_and_b32_e32 v216, 0x4040404, v216
	v_or_b32_sdwa v209, v218, v209 dst_sel:DWORD dst_unused:UNUSED_PAD src0_sel:WORD_0 src1_sel:DWORD
	v_sub_u16_e32 v217, v210, v216
	v_sub_u16_sdwa v218, v210, v216 dst_sel:BYTE_1 dst_unused:UNUSED_PAD src0_sel:BYTE_1 src1_sel:BYTE_1
	v_sub_u16_sdwa v210, v210, v216 dst_sel:DWORD dst_unused:UNUSED_PAD src0_sel:WORD_1 src1_sel:WORD_1
	v_sub_u16_sdwa v211, v211, v216 dst_sel:BYTE_1 dst_unused:UNUSED_PAD src0_sel:DWORD src1_sel:BYTE_3
	v_bitop3_b16 v217, v217, v218, s8 bitop3:0xec
	v_bitop3_b16 v210, v210, v211, s8 bitop3:0xec
	v_lshlrev_b32_e32 v210, 16, v210
	v_or_b32_sdwa v210, v217, v210 dst_sel:DWORD dst_unused:UNUSED_PAD src0_sel:WORD_0 src1_sel:DWORD
	ds_read2_b32 v[216:217], v154 offset1:1
	v_and_b32_e32 v212, 0x4040404, v212
	v_dot4c_i32_i8_e32 v236, v209, v32
	v_dot4c_i32_i8_e32 v236, v210, v33
	;; [unrolled: 1-line block ×3, first 2 shown]
	s_waitcnt lgkmcnt(0)
	v_ashrrev_i32_e32 v154, s20, v216
	v_bfe_u32 v211, v154, 24, 2
	v_and_b32_e32 v154, 0x3030303, v154
	v_sub_u16_e32 v216, v154, v212
	v_sub_u16_sdwa v218, v154, v212 dst_sel:BYTE_1 dst_unused:UNUSED_PAD src0_sel:BYTE_1 src1_sel:BYTE_1
	v_sub_u16_sdwa v154, v154, v212 dst_sel:DWORD dst_unused:UNUSED_PAD src0_sel:WORD_1 src1_sel:WORD_1
	v_sub_u16_sdwa v211, v211, v212 dst_sel:BYTE_1 dst_unused:UNUSED_PAD src0_sel:DWORD src1_sel:BYTE_3
	v_bitop3_b16 v216, v216, v218, s8 bitop3:0xec
	v_bitop3_b16 v154, v154, v211, s8 bitop3:0xec
	v_lshlrev_b32_e32 v154, 16, v154
	v_or_b32_sdwa v211, v216, v154 dst_sel:DWORD dst_unused:UNUSED_PAD src0_sel:WORD_0 src1_sel:DWORD
	v_ashrrev_i32_e32 v216, s18, v223
	v_ashrrev_i32_e32 v154, s20, v217
	v_lshlrev_b32_e32 v216, 2, v216
	v_bfe_u32 v212, v154, 24, 2
	v_and_b32_e32 v154, 0x3030303, v154
	v_and_b32_e32 v216, 0x4040404, v216
	v_sub_u16_e32 v217, v154, v216
	v_sub_u16_sdwa v218, v154, v216 dst_sel:BYTE_1 dst_unused:UNUSED_PAD src0_sel:BYTE_1 src1_sel:BYTE_1
	v_sub_u16_sdwa v154, v154, v216 dst_sel:DWORD dst_unused:UNUSED_PAD src0_sel:WORD_1 src1_sel:WORD_1
	v_sub_u16_sdwa v212, v212, v216 dst_sel:BYTE_1 dst_unused:UNUSED_PAD src0_sel:DWORD src1_sel:BYTE_3
	v_mov_b32_e32 v223, 0
	v_bitop3_b16 v154, v154, v212, s8 bitop3:0xec
	v_dot4c_i32_i8_e32 v223, v205, v36
	v_bitop3_b16 v217, v217, v218, s8 bitop3:0xec
	v_lshlrev_b32_e32 v154, 16, v154
	v_dot4c_i32_i8_e32 v223, v206, v37
	v_dot4c_i32_i8_e32 v168, v164, v34
	;; [unrolled: 1-line block ×6, first 2 shown]
	v_or_b32_sdwa v212, v217, v154 dst_sel:DWORD dst_unused:UNUSED_PAD src0_sel:WORD_0 src1_sel:DWORD
	v_add3_u32 v154, s23, v173, v129
	v_dot4c_i32_i8_e32 v223, v207, v38
	v_dot4c_i32_i8_e32 v236, v211, v34
	;; [unrolled: 1-line block ×8, first 2 shown]
	ds_read_b32 v154, v154
	v_dot4c_i32_i8_e32 v223, v208, v39
	v_dot4c_i32_i8_e32 v236, v212, v35
	ds_read_b128 v[32:35], v170 offset:1024
	ds_read_b128 v[36:39], v170 offset:1040
	v_mov_b32_e32 v218, 0
	v_mov_b32_e32 v228, 0
	;; [unrolled: 1-line block ×8, first 2 shown]
	s_waitcnt lgkmcnt(1)
	v_dot4c_i32_i8_e32 v218, v158, v32
	s_waitcnt lgkmcnt(0)
	v_dot4c_i32_i8_e32 v228, v162, v36
	v_dot4c_i32_i8_e32 v237, v189, v32
	;; [unrolled: 1-line block ×31, first 2 shown]
	ds_read2_b32 v[216:217], v171 offset0:64 offset1:96
	ds_read_b128 v[32:35], v170 offset:2048
	ds_read_b128 v[36:39], v170 offset:2064
	v_mov_b32_e32 v225, 0
	v_mov_b32_e32 v224, 0
	;; [unrolled: 1-line block ×8, first 2 shown]
	s_waitcnt lgkmcnt(1)
	v_dot4c_i32_i8_e32 v225, v158, v32
	s_waitcnt lgkmcnt(0)
	v_dot4c_i32_i8_e32 v224, v162, v36
	v_dot4c_i32_i8_e32 v243, v189, v32
	;; [unrolled: 1-line block ×15, first 2 shown]
	v_add_u32_e32 v166, s22, v179
	v_dot4c_i32_i8_e32 v225, v160, v34
	v_dot4c_i32_i8_e32 v224, v164, v38
	;; [unrolled: 1-line block ×16, first 2 shown]
	ds_read_b128 v[32:35], v170 offset:3072
	ds_read_b128 v[36:39], v170 offset:3088
	ds_read_u16 v166, v166 offset:2
	v_add_u32_e32 v169, s22, v180
	v_add_u32_e32 v215, s22, v181
	;; [unrolled: 1-line block ×3, first 2 shown]
	v_mov_b32_e32 v226, 0
	s_waitcnt lgkmcnt(0)
	v_lshrrev_b16_e32 v220, 8, v166
	v_bfe_i32 v166, v166, 0, 8
	v_bfe_i32 v220, v220, 0, 8
	v_mul_lo_u32 v168, v168, v220
	v_mul_lo_u32 v218, v218, v166
	v_mad_u64_u32 v[228:229], s[22:23], v228, v220, v[218:219]
	v_mad_u64_u32 v[230:231], s[22:23], v167, v166, v[168:169]
	v_dot4c_i32_i8_e32 v226, v158, v32
	v_mov_b32_e32 v227, 0
	v_cvt_f32_i32_e32 v229, v230
	v_cvt_f32_i32_e32 v228, v228
	v_dot4c_i32_i8_e32 v226, v159, v33
	v_dot4c_i32_i8_e32 v227, v162, v36
	;; [unrolled: 1-line block ×4, first 2 shown]
	v_mov_b32_e32 v232, v157
	v_mov_b32_e32 v233, v156
	v_dot4c_i32_i8_e32 v226, v161, v35
	v_dot4c_i32_i8_e32 v227, v164, v38
	v_pk_mul_f32 v[156:157], v[148:149], v[232:233] op_sel_hi:[0,1]
	v_dot4c_i32_i8_e32 v227, v165, v39
	v_mul_lo_u32 v224, v224, v220
	v_mul_lo_u32 v226, v226, v166
	v_pk_fma_f32 v[16:17], v[156:157], v[228:229], v[16:17]
	ds_read_u16 v156, v169 offset:2
	v_mad_u64_u32 v[226:227], s[22:23], v227, v220, v[226:227]
	v_mad_u64_u32 v[224:225], s[22:23], v225, v166, v[224:225]
	v_cvt_f32_i32_e32 v225, v224
	v_cvt_f32_i32_e32 v224, v226
	v_mov_b32_e32 v157, 0
	v_dot4c_i32_i8_e32 v157, v189, v32
	v_mov_b32_e32 v234, v217
	v_mov_b32_e32 v235, v216
	v_dot4c_i32_i8_e32 v157, v190, v33
	v_pk_mul_f32 v[216:217], v[148:149], v[234:235] op_sel_hi:[0,1]
	v_dot4c_i32_i8_e32 v157, v191, v34
	s_waitcnt lgkmcnt(0)
	v_lshrrev_b16_e32 v168, 8, v156
	v_pk_fma_f32 v[18:19], v[216:217], v[224:225], v[18:19]
	v_dot4c_i32_i8_e32 v157, v192, v35
	v_bfe_i32 v217, v156, 0, 8
	v_bfe_i32 v218, v168, 0, 8
	v_mul_lo_u32 v156, v214, v218
	v_mul_lo_u32 v168, v237, v217
	;; [unrolled: 1-line block ×3, first 2 shown]
                                        ; kill: def $vgpr157 killed $sgpr0 killed $exec
	v_mov_b32_e32 v167, 0
	v_mad_u64_u32 v[168:169], s[22:23], v238, v218, v[168:169]
	v_mad_u64_u32 v[156:157], s[22:23], v213, v217, v[156:157]
	v_dot4c_i32_i8_e32 v167, v193, v36
	v_cvt_f32_i32_e32 v157, v156
	v_cvt_f32_i32_e32 v156, v168
	v_dot4c_i32_i8_e32 v167, v194, v37
	v_dot4c_i32_i8_e32 v167, v195, v38
	;; [unrolled: 1-line block ×3, first 2 shown]
	v_mul_lo_u32 v214, v244, v218
	v_pk_mul_f32 v[228:229], v[150:151], v[232:233] op_sel_hi:[0,1]
	v_mad_u64_u32 v[226:227], s[22:23], v243, v217, v[214:215]
	v_mad_u64_u32 v[224:225], s[22:23], v167, v218, v[216:217]
	v_pk_fma_f32 v[28:29], v[228:229], v[156:157], v[28:29]
	ds_read_u16 v156, v215 offset:2
	v_cvt_f32_i32_e32 v169, v226
	v_cvt_f32_i32_e32 v168, v224
	v_mov_b32_e32 v157, 0
	v_dot4c_i32_i8_e32 v157, v197, v32
	v_pk_mul_f32 v[230:231], v[150:151], v[234:235] op_sel_hi:[0,1]
	v_dot4c_i32_i8_e32 v157, v198, v33
	v_pk_fma_f32 v[30:31], v[230:231], v[168:169], v[30:31]
	v_dot4c_i32_i8_e32 v157, v199, v34
	s_waitcnt lgkmcnt(0)
	v_lshrrev_b16_e32 v168, 8, v156
	v_dot4c_i32_i8_e32 v157, v200, v35
	v_bfe_i32 v215, v156, 0, 8
	v_bfe_i32 v216, v168, 0, 8
	v_mul_lo_u32 v156, v221, v216
	v_mul_lo_u32 v168, v239, v215
	;; [unrolled: 1-line block ×3, first 2 shown]
                                        ; kill: def $vgpr157 killed $sgpr0 killed $exec
	v_mad_u64_u32 v[168:169], s[22:23], v240, v216, v[168:169]
	v_mad_u64_u32 v[156:157], s[22:23], v219, v215, v[156:157]
	v_cvt_f32_i32_e32 v157, v156
	v_cvt_f32_i32_e32 v156, v168
	v_pk_mul_f32 v[228:229], v[152:153], v[232:233] op_sel_hi:[0,1]
	v_mov_b32_e32 v167, 0
	v_dot4c_i32_i8_e32 v167, v201, v36
	v_pk_fma_f32 v[24:25], v[228:229], v[156:157], v[24:25]
	v_mov_b32_e32 v156, 0
	v_dot4c_i32_i8_e32 v156, v205, v32
	ds_read_u16 v32, v222 offset:2
	v_dot4c_i32_i8_e32 v156, v206, v33
	v_mov_b32_e32 v33, 0
	v_dot4c_i32_i8_e32 v33, v209, v36
	v_dot4c_i32_i8_e32 v167, v202, v37
	;; [unrolled: 1-line block ×5, first 2 shown]
	v_mul_lo_u32 v214, v246, v216
	v_dot4c_i32_i8_e32 v156, v208, v35
	v_dot4c_i32_i8_e32 v33, v211, v38
	s_waitcnt lgkmcnt(0)
	v_lshrrev_b16_e32 v34, 8, v32
	v_bfe_i32 v213, v32, 0, 8
	v_dot4c_i32_i8_e32 v167, v204, v39
	v_mad_u64_u32 v[226:227], s[22:23], v245, v215, v[214:215]
	v_dot4c_i32_i8_e32 v33, v212, v39
	v_bfe_i32 v214, v34, 0, 8
	v_mul_lo_u32 v38, v156, v213
	v_mad_u64_u32 v[224:225], s[22:23], v167, v216, v[224:225]
	v_mul_lo_u32 v32, v236, v214
	v_mul_lo_u32 v34, v241, v213
	;; [unrolled: 1-line block ×3, first 2 shown]
                                        ; kill: def $vgpr35 killed $sgpr0 killed $exec
	v_mad_u64_u32 v[38:39], s[22:23], v33, v214, v[38:39]
                                        ; kill: def $vgpr33 killed $sgpr0 killed $exec
	v_cvt_f32_i32_e32 v169, v226
	v_cvt_f32_i32_e32 v168, v224
	v_mad_u64_u32 v[36:37], s[22:23], v247, v213, v[36:37]
	v_mad_u64_u32 v[34:35], s[22:23], v242, v214, v[34:35]
	;; [unrolled: 1-line block ×3, first 2 shown]
	v_cvt_f32_i32_e32 v33, v32
	v_cvt_f32_i32_e32 v32, v34
	;; [unrolled: 1-line block ×4, first 2 shown]
	v_pk_mul_f32 v[230:231], v[152:153], v[234:235] op_sel_hi:[0,1]
	v_pk_fma_f32 v[26:27], v[230:231], v[168:169], v[26:27]
	v_pk_mul_f32 v[156:157], v[154:155], v[232:233] op_sel_hi:[0,1]
	v_pk_mul_f32 v[168:169], v[154:155], v[234:235] op_sel_hi:[0,1]
	v_pk_fma_f32 v[22:23], v[168:169], v[34:35], v[22:23]
	v_pk_fma_f32 v[20:21], v[156:157], v[32:33], v[20:21]
	ds_read2_b32 v[156:157], v171 offset0:128 offset1:160
	ds_read_b128 v[32:35], v170 offset:4096
	ds_read_b128 v[36:39], v170 offset:4112
	v_mov_b32_e32 v167, 0
	v_mov_b32_e32 v232, 0
	;; [unrolled: 1-line block ×8, first 2 shown]
	s_waitcnt lgkmcnt(1)
	v_dot4c_i32_i8_e32 v167, v158, v32
	s_waitcnt lgkmcnt(0)
	v_dot4c_i32_i8_e32 v232, v162, v36
	v_dot4c_i32_i8_e32 v228, v189, v32
	;; [unrolled: 1-line block ×31, first 2 shown]
	ds_read_b128 v[32:35], v170 offset:5120
	ds_read_b128 v[36:39], v170 offset:5136
	v_mov_b32_e32 v234, 0
	v_mov_b32_e32 v233, 0
	;; [unrolled: 1-line block ×8, first 2 shown]
	s_waitcnt lgkmcnt(1)
	v_dot4c_i32_i8_e32 v234, v158, v32
	s_waitcnt lgkmcnt(0)
	v_dot4c_i32_i8_e32 v233, v162, v36
	v_dot4c_i32_i8_e32 v231, v189, v32
	;; [unrolled: 1-line block ×31, first 2 shown]
	ds_read2_b32 v[168:169], v171 offset0:192 offset1:224
	ds_read_b128 v[32:35], v170 offset:6144
	ds_read_b128 v[36:39], v170 offset:6160
	v_mov_b32_e32 v241, 0
	v_mov_b32_e32 v242, 0
	;; [unrolled: 1-line block ×8, first 2 shown]
	s_waitcnt lgkmcnt(1)
	v_dot4c_i32_i8_e32 v241, v158, v32
	s_waitcnt lgkmcnt(0)
	v_dot4c_i32_i8_e32 v242, v162, v36
	v_dot4c_i32_i8_e32 v239, v189, v32
	;; [unrolled: 1-line block ×31, first 2 shown]
	ds_read_b128 v[36:39], v170 offset:7168
	ds_read_b128 v[32:35], v170 offset:7184
	v_mov_b32_e32 v243, 0
	s_add_i32 s19, s19, 2
	s_add_i32 s18, s18, 1
	s_waitcnt lgkmcnt(1)
	v_dot4c_i32_i8_e32 v243, v158, v36
	v_dot4c_i32_i8_e32 v243, v159, v37
	v_mov_b32_e32 v159, 0
	s_waitcnt lgkmcnt(0)
	v_dot4c_i32_i8_e32 v159, v162, v32
	v_dot4c_i32_i8_e32 v243, v160, v38
	;; [unrolled: 1-line block ×6, first 2 shown]
	v_mul_lo_u32 v162, v242, v220
	v_mul_lo_u32 v160, v243, v166
                                        ; kill: def $vgpr161 killed $sgpr0 killed $exec
	v_mad_u64_u32 v[162:163], s[22:23], v241, v166, v[162:163]
	v_mad_u64_u32 v[160:161], s[22:23], v159, v220, v[160:161]
	v_cvt_f32_i32_e32 v161, v162
	v_cvt_f32_i32_e32 v160, v160
	v_mul_lo_u32 v158, v232, v220
                                        ; kill: def $vgpr159 killed $sgpr0 killed $exec
	v_mul_lo_u32 v164, v234, v166
	v_mad_u64_u32 v[166:167], s[22:23], v167, v166, v[158:159]
	v_mov_b32_e32 v158, v157
	v_mov_b32_e32 v159, v156
	v_mov_b32_e32 v156, v169
	v_mov_b32_e32 v157, v168
	v_pk_mul_f32 v[168:169], v[148:149], v[156:157] op_sel_hi:[0,1]
	v_mad_u64_u32 v[164:165], s[22:23], v233, v220, v[164:165]
	v_pk_fma_f32 v[14:15], v[168:169], v[160:161], v[14:15]
	v_mov_b32_e32 v161, 0
	v_cvt_f32_i32_e32 v165, v166
	v_cvt_f32_i32_e32 v164, v164
	v_dot4c_i32_i8_e32 v161, v189, v36
	v_dot4c_i32_i8_e32 v161, v190, v37
	;; [unrolled: 1-line block ×3, first 2 shown]
	v_mov_b32_e32 v163, 0
	v_pk_mul_f32 v[232:233], v[148:149], v[158:159] op_sel_hi:[0,1]
	v_dot4c_i32_i8_e32 v161, v192, v39
	v_dot4c_i32_i8_e32 v163, v193, v32
	v_pk_fma_f32 v[12:13], v[232:233], v[164:165], v[12:13]
	v_dot4c_i32_i8_e32 v163, v194, v33
	v_mul_lo_u32 v148, v229, v218
	v_mul_lo_u32 v160, v231, v217
	;; [unrolled: 1-line block ×3, first 2 shown]
                                        ; kill: def $vgpr161 killed $sgpr0 killed $exec
	v_dot4c_i32_i8_e32 v163, v195, v34
	v_mad_u64_u32 v[160:161], s[22:23], v230, v218, v[160:161]
	v_mad_u64_u32 v[166:167], s[22:23], v228, v217, v[148:149]
	v_dot4c_i32_i8_e32 v163, v196, v35
	v_mul_lo_u32 v162, v240, v218
	v_cvt_f32_i32_e32 v161, v166
	v_cvt_f32_i32_e32 v160, v160
	v_mad_u64_u32 v[164:165], s[22:23], v163, v218, v[164:165]
	v_mad_u64_u32 v[162:163], s[22:23], v239, v217, v[162:163]
	v_cvt_f32_i32_e32 v163, v162
	v_cvt_f32_i32_e32 v162, v164
	v_pk_mul_f32 v[168:169], v[150:151], v[158:159] op_sel_hi:[0,1]
	v_mul_lo_u32 v148, v225, v216
	v_pk_fma_f32 v[8:9], v[168:169], v[160:161], v[8:9]
	v_mov_b32_e32 v161, 0
	v_mad_u64_u32 v[166:167], s[22:23], v224, v215, v[148:149]
	v_mov_b32_e32 v148, 0
	v_pk_mul_f32 v[190:191], v[150:151], v[156:157] op_sel_hi:[0,1]
	v_dot4c_i32_i8_e32 v161, v197, v36
	v_dot4c_i32_i8_e32 v148, v205, v36
	v_pk_fma_f32 v[10:11], v[190:191], v[162:163], v[10:11]
	v_dot4c_i32_i8_e32 v161, v198, v37
	v_mov_b32_e32 v163, 0
	v_dot4c_i32_i8_e32 v148, v206, v37
	v_mov_b32_e32 v37, 0
	v_dot4c_i32_i8_e32 v163, v201, v32
	v_dot4c_i32_i8_e32 v37, v209, v32
	;; [unrolled: 1-line block ×11, first 2 shown]
	v_mul_lo_u32 v150, v227, v215
	v_mul_lo_u32 v160, v238, v216
	;; [unrolled: 1-line block ×3, first 2 shown]
                                        ; kill: def $vgpr161 killed $sgpr0 killed $exec
	v_dot4c_i32_i8_e32 v37, v212, v35
	v_mul_lo_u32 v38, v221, v214
	v_mul_lo_u32 v36, v223, v213
	;; [unrolled: 1-line block ×4, first 2 shown]
                                        ; kill: def $vgpr33 killed $sgpr0 killed $exec
	v_mad_u64_u32 v[162:163], s[22:23], v163, v216, v[162:163]
	v_mad_u64_u32 v[160:161], s[22:23], v237, v215, v[160:161]
	;; [unrolled: 1-line block ×7, first 2 shown]
	v_cvt_f32_i32_e32 v165, v166
	v_cvt_f32_i32_e32 v164, v164
	;; [unrolled: 1-line block ×8, first 2 shown]
	v_pk_mul_f32 v[168:169], v[152:153], v[158:159] op_sel_hi:[0,1]
	v_pk_mul_f32 v[190:191], v[152:153], v[156:157] op_sel_hi:[0,1]
	;; [unrolled: 1-line block ×4, first 2 shown]
	v_pk_fma_f32 v[6:7], v[190:191], v[160:161], v[6:7]
	v_pk_fma_f32 v[4:5], v[168:169], v[164:165], v[4:5]
	;; [unrolled: 1-line block ×4, first 2 shown]
	v_add_u32_e32 v171, 4, v171
	v_add_u32_e32 v170, 32, v170
	s_cmp_lt_u32 s20, 6
	s_mov_b32 s22, s20
	s_cbranch_scc1 .LBB130_7
; %bb.8:                                ;   in Loop: Header=BB130_6 Depth=1
	v_add_u32_e32 v148, s17, v119
	v_add_u32_e32 v150, v148, v97
	v_mad_i64_i32 v[156:157], s[18:19], v150, 36, v[84:85]
	v_add_u32_e32 v150, v148, v99
	v_add_u32_e32 v32, v148, v89
	;; [unrolled: 1-line block ×5, first 2 shown]
	v_mad_i64_i32 v[158:159], s[18:19], v150, 36, v[84:85]
	v_add_u32_e32 v150, v148, v101
	v_add_u32_e32 v148, v148, v103
	v_mad_i64_i32 v[162:163], s[18:19], v148, 36, v[84:85]
	v_add_u32_e32 v148, 4, v187
	v_mad_i64_i32 v[32:33], s[18:19], v32, 36, v[84:85]
	v_mad_i64_i32 v[34:35], s[18:19], v34, 36, v[84:85]
	v_mad_i64_i32 v[36:37], s[18:19], v36, 36, v[84:85]
	v_mad_i64_i32 v[38:39], s[18:19], v38, 36, v[84:85]
	v_mad_u64_u32 v[164:165], s[18:19], v148, 36, s[2:3]
	s_barrier
	v_mad_i64_i32 v[160:161], s[18:19], v150, 36, v[84:85]
	global_load_dword v148, v[164:165], off
	s_nop 0
	global_load_dword v32, v[32:33], off offset:4
	s_nop 0
	global_load_dword v33, v[34:35], off offset:4
	s_nop 0
	global_load_dword v34, v[36:37], off offset:4
	global_load_dword v35, v[38:39], off offset:4
	s_nop 0
	global_load_dword v36, v[156:157], off offset:4
	global_load_dword v37, v[158:159], off offset:4
	;; [unrolled: 1-line block ×4, first 2 shown]
	s_mov_b32 s18, 4
	s_mov_b32 s19, 8
	s_mov_b32 s22, 6
	v_mov_b32_e32 v189, v183
	v_mov_b32_e32 v190, v133
	s_waitcnt vmcnt(8)
	v_cvt_f32_f16_e32 v148, v148
	s_waitcnt vmcnt(7)
	ds_write_b32 v188, v32
	s_waitcnt vmcnt(6)
	ds_write_b32 v135, v33
	;; [unrolled: 2-line block ×8, first 2 shown]
	ds_write_b32 v87, v148
	s_waitcnt lgkmcnt(0)
	s_barrier
.LBB130_9:                              ;   Parent Loop BB130_6 Depth=1
                                        ; =>  This Inner Loop Header: Depth=2
	s_add_i32 s20, s22, 2
	s_lshr_b32 s25, s20, 4
	s_and_b32 s23, s20, 0x3ffffff8
	v_lshl_add_u32 v154, s23, 2, v177
	s_lshl_b32 s23, s25, 5
	s_addk_i32 s23, 0x4200
	v_add3_u32 v152, s23, v184, v178
	v_add3_u32 v214, s23, v172, v127
	ds_read2_b32 v[156:157], v190 offset1:32
	ds_read_b128 v[36:39], v189
	ds_read_b128 v[32:35], v189 offset:16
	ds_read2_b32 v[158:159], v154 offset1:1
	ds_read2_b32 v[222:223], v214 offset0:6 offset1:7
	ds_read2_b32 v[160:161], v152 offset1:1
	s_add_i32 s21, s22, -6
	s_and_b32 s24, s19, -16
	s_waitcnt lgkmcnt(2)
	v_ashrrev_i32_e32 v148, s21, v158
	v_bfe_u32 v150, v148, 24, 2
	s_waitcnt lgkmcnt(0)
	v_ashrrev_i32_e32 v158, s18, v160
	v_lshlrev_b32_e32 v158, 2, v158
	v_and_b32_e32 v148, 0x3030303, v148
	v_and_b32_e32 v158, 0x4040404, v158
	v_sub_u16_e32 v160, v148, v158
	v_sub_u16_sdwa v162, v148, v158 dst_sel:BYTE_1 dst_unused:UNUSED_PAD src0_sel:BYTE_1 src1_sel:BYTE_1
	v_sub_u16_sdwa v148, v148, v158 dst_sel:DWORD dst_unused:UNUSED_PAD src0_sel:WORD_1 src1_sel:WORD_1
	v_sub_u16_sdwa v150, v150, v158 dst_sel:BYTE_1 dst_unused:UNUSED_PAD src0_sel:DWORD src1_sel:BYTE_3
	v_bitop3_b16 v160, v160, v162, s8 bitop3:0xec
	v_bitop3_b16 v148, v148, v150, s8 bitop3:0xec
	v_lshlrev_b32_e32 v148, 16, v148
	v_or_b32_sdwa v158, v160, v148 dst_sel:DWORD dst_unused:UNUSED_PAD src0_sel:WORD_0 src1_sel:DWORD
	v_ashrrev_i32_e32 v148, s21, v159
	v_ashrrev_i32_e32 v159, s18, v161
	v_lshlrev_b32_e32 v159, 2, v159
	v_bfe_u32 v150, v148, 24, 2
	v_and_b32_e32 v148, 0x3030303, v148
	v_and_b32_e32 v159, 0x4040404, v159
	v_sub_u16_e32 v160, v148, v159
	v_sub_u16_sdwa v161, v148, v159 dst_sel:BYTE_1 dst_unused:UNUSED_PAD src0_sel:BYTE_1 src1_sel:BYTE_1
	v_sub_u16_sdwa v148, v148, v159 dst_sel:DWORD dst_unused:UNUSED_PAD src0_sel:WORD_1 src1_sel:WORD_1
	v_sub_u16_sdwa v150, v150, v159 dst_sel:BYTE_1 dst_unused:UNUSED_PAD src0_sel:DWORD src1_sel:BYTE_3
	v_bitop3_b16 v160, v160, v161, s8 bitop3:0xec
	v_bitop3_b16 v148, v148, v150, s8 bitop3:0xec
	v_lshlrev_b32_e32 v148, 16, v148
	v_or_b32_sdwa v159, v160, v148 dst_sel:DWORD dst_unused:UNUSED_PAD src0_sel:WORD_0 src1_sel:DWORD
	ds_read2_b32 v[160:161], v154 offset0:2 offset1:3
	ds_read2_b32 v[162:163], v152 offset0:2 offset1:3
	s_add_i32 s22, s22, s24
	s_lshl_b32 s24, s25, 2
	s_add_i32 s24, s24, 0x9380
	s_waitcnt lgkmcnt(1)
	v_ashrrev_i32_e32 v148, s21, v160
	s_waitcnt lgkmcnt(0)
	v_ashrrev_i32_e32 v160, s18, v162
	v_lshlrev_b32_e32 v160, 2, v160
	v_bfe_u32 v150, v148, 24, 2
	v_and_b32_e32 v148, 0x3030303, v148
	v_and_b32_e32 v160, 0x4040404, v160
	v_sub_u16_e32 v162, v148, v160
	v_sub_u16_sdwa v164, v148, v160 dst_sel:BYTE_1 dst_unused:UNUSED_PAD src0_sel:BYTE_1 src1_sel:BYTE_1
	v_sub_u16_sdwa v148, v148, v160 dst_sel:DWORD dst_unused:UNUSED_PAD src0_sel:WORD_1 src1_sel:WORD_1
	v_sub_u16_sdwa v150, v150, v160 dst_sel:BYTE_1 dst_unused:UNUSED_PAD src0_sel:DWORD src1_sel:BYTE_3
	v_bitop3_b16 v162, v162, v164, s8 bitop3:0xec
	v_bitop3_b16 v148, v148, v150, s8 bitop3:0xec
	v_lshlrev_b32_e32 v148, 16, v148
	v_or_b32_sdwa v160, v162, v148 dst_sel:DWORD dst_unused:UNUSED_PAD src0_sel:WORD_0 src1_sel:DWORD
	v_ashrrev_i32_e32 v148, s21, v161
	v_ashrrev_i32_e32 v161, s18, v163
	v_lshlrev_b32_e32 v161, 2, v161
	v_bfe_u32 v150, v148, 24, 2
	v_and_b32_e32 v148, 0x3030303, v148
	v_and_b32_e32 v161, 0x4040404, v161
	v_sub_u16_e32 v162, v148, v161
	v_sub_u16_sdwa v163, v148, v161 dst_sel:BYTE_1 dst_unused:UNUSED_PAD src0_sel:BYTE_1 src1_sel:BYTE_1
	v_sub_u16_sdwa v148, v148, v161 dst_sel:DWORD dst_unused:UNUSED_PAD src0_sel:WORD_1 src1_sel:WORD_1
	v_sub_u16_sdwa v150, v150, v161 dst_sel:BYTE_1 dst_unused:UNUSED_PAD src0_sel:DWORD src1_sel:BYTE_3
	v_bitop3_b16 v162, v162, v163, s8 bitop3:0xec
	v_bitop3_b16 v148, v148, v150, s8 bitop3:0xec
	v_lshlrev_b32_e32 v148, 16, v148
	v_or_b32_sdwa v161, v162, v148 dst_sel:DWORD dst_unused:UNUSED_PAD src0_sel:WORD_0 src1_sel:DWORD
	ds_read2_b32 v[162:163], v154 offset0:4 offset1:5
	ds_read2_b32 v[164:165], v152 offset0:4 offset1:5
	v_add3_u32 v169, s23, v149, v113
	ds_read2_b32 v[192:193], v169 offset1:1
	v_add3_u32 v208, s23, v153, v121
	s_waitcnt lgkmcnt(2)
	v_ashrrev_i32_e32 v148, s21, v162
	s_waitcnt lgkmcnt(1)
	v_ashrrev_i32_e32 v162, s18, v164
	v_lshlrev_b32_e32 v162, 2, v162
	v_bfe_u32 v150, v148, 24, 2
	v_and_b32_e32 v148, 0x3030303, v148
	v_and_b32_e32 v162, 0x4040404, v162
	v_sub_u16_e32 v164, v148, v162
	v_sub_u16_sdwa v166, v148, v162 dst_sel:BYTE_1 dst_unused:UNUSED_PAD src0_sel:BYTE_1 src1_sel:BYTE_1
	v_sub_u16_sdwa v148, v148, v162 dst_sel:DWORD dst_unused:UNUSED_PAD src0_sel:WORD_1 src1_sel:WORD_1
	v_sub_u16_sdwa v150, v150, v162 dst_sel:BYTE_1 dst_unused:UNUSED_PAD src0_sel:DWORD src1_sel:BYTE_3
	v_bitop3_b16 v164, v164, v166, s8 bitop3:0xec
	v_bitop3_b16 v148, v148, v150, s8 bitop3:0xec
	v_lshlrev_b32_e32 v148, 16, v148
	v_or_b32_sdwa v162, v164, v148 dst_sel:DWORD dst_unused:UNUSED_PAD src0_sel:WORD_0 src1_sel:DWORD
	v_ashrrev_i32_e32 v148, s21, v163
	v_ashrrev_i32_e32 v163, s18, v165
	v_lshlrev_b32_e32 v163, 2, v163
	v_bfe_u32 v150, v148, 24, 2
	v_and_b32_e32 v148, 0x3030303, v148
	v_and_b32_e32 v163, 0x4040404, v163
	v_sub_u16_e32 v164, v148, v163
	v_sub_u16_sdwa v165, v148, v163 dst_sel:BYTE_1 dst_unused:UNUSED_PAD src0_sel:BYTE_1 src1_sel:BYTE_1
	v_sub_u16_sdwa v148, v148, v163 dst_sel:DWORD dst_unused:UNUSED_PAD src0_sel:WORD_1 src1_sel:WORD_1
	v_sub_u16_sdwa v150, v150, v163 dst_sel:BYTE_1 dst_unused:UNUSED_PAD src0_sel:DWORD src1_sel:BYTE_3
	v_bitop3_b16 v164, v164, v165, s8 bitop3:0xec
	v_bitop3_b16 v148, v148, v150, s8 bitop3:0xec
	v_lshlrev_b32_e32 v148, 16, v148
	v_or_b32_sdwa v163, v164, v148 dst_sel:DWORD dst_unused:UNUSED_PAD src0_sel:WORD_0 src1_sel:DWORD
	ds_read2_b32 v[164:165], v154 offset0:6 offset1:7
	ds_read2_b32 v[166:167], v152 offset0:6 offset1:7
	;; [unrolled: 1-line block ×4, first 2 shown]
	v_mov_b32_e32 v168, 0
	s_waitcnt lgkmcnt(3)
	v_ashrrev_i32_e32 v148, s21, v164
	s_waitcnt lgkmcnt(2)
	v_ashrrev_i32_e32 v152, s18, v166
	v_lshlrev_b32_e32 v152, 2, v152
	v_bfe_u32 v150, v148, 24, 2
	v_and_b32_e32 v148, 0x3030303, v148
	v_and_b32_e32 v152, 0x4040404, v152
	v_sub_u16_e32 v164, v148, v152
	v_sub_u16_sdwa v166, v148, v152 dst_sel:BYTE_1 dst_unused:UNUSED_PAD src0_sel:BYTE_1 src1_sel:BYTE_1
	v_sub_u16_sdwa v148, v148, v152 dst_sel:DWORD dst_unused:UNUSED_PAD src0_sel:WORD_1 src1_sel:WORD_1
	v_sub_u16_sdwa v150, v150, v152 dst_sel:BYTE_1 dst_unused:UNUSED_PAD src0_sel:DWORD src1_sel:BYTE_3
	v_bitop3_b16 v164, v164, v166, s8 bitop3:0xec
	v_bitop3_b16 v148, v148, v150, s8 bitop3:0xec
	v_lshlrev_b32_e32 v148, 16, v148
	v_ashrrev_i32_e32 v152, s18, v167
	v_or_b32_sdwa v164, v164, v148 dst_sel:DWORD dst_unused:UNUSED_PAD src0_sel:WORD_0 src1_sel:DWORD
	v_ashrrev_i32_e32 v148, s21, v165
	v_lshlrev_b32_e32 v152, 2, v152
	v_bfe_u32 v150, v148, 24, 2
	v_and_b32_e32 v148, 0x3030303, v148
	v_and_b32_e32 v152, 0x4040404, v152
	v_sub_u16_e32 v165, v148, v152
	v_sub_u16_sdwa v166, v148, v152 dst_sel:BYTE_1 dst_unused:UNUSED_PAD src0_sel:BYTE_1 src1_sel:BYTE_1
	v_sub_u16_sdwa v148, v148, v152 dst_sel:DWORD dst_unused:UNUSED_PAD src0_sel:WORD_1 src1_sel:WORD_1
	v_sub_u16_sdwa v150, v150, v152 dst_sel:BYTE_1 dst_unused:UNUSED_PAD src0_sel:DWORD src1_sel:BYTE_3
	v_bitop3_b16 v165, v165, v166, s8 bitop3:0xec
	v_bitop3_b16 v148, v148, v150, s8 bitop3:0xec
	v_lshlrev_b32_e32 v148, 16, v148
	v_or_b32_sdwa v165, v165, v148 dst_sel:DWORD dst_unused:UNUSED_PAD src0_sel:WORD_0 src1_sel:DWORD
	v_add3_u32 v148, s24, v185, v186
	v_add_u32_e32 v150, 0x1080, v154
	ds_read_b32 v148, v148
	ds_read2_b32 v[170:171], v150 offset1:1
	ds_read2_b32 v[198:199], v169 offset0:6 offset1:7
	ds_read2_b32 v[202:203], v208 offset1:1
	v_mov_b32_e32 v167, 0
	v_mov_b32_e32 v216, 0
	s_waitcnt lgkmcnt(2)
	v_ashrrev_i32_e32 v150, s21, v170
	v_ashrrev_i32_e32 v170, s18, v192
	v_lshlrev_b32_e32 v170, 2, v170
	v_bfe_u32 v152, v150, 24, 2
	v_and_b32_e32 v150, 0x3030303, v150
	v_and_b32_e32 v170, 0x4040404, v170
	v_sub_u16_e32 v191, v150, v170
	v_sub_u16_sdwa v192, v150, v170 dst_sel:BYTE_1 dst_unused:UNUSED_PAD src0_sel:BYTE_1 src1_sel:BYTE_1
	v_sub_u16_sdwa v150, v150, v170 dst_sel:DWORD dst_unused:UNUSED_PAD src0_sel:WORD_1 src1_sel:WORD_1
	v_sub_u16_sdwa v152, v152, v170 dst_sel:BYTE_1 dst_unused:UNUSED_PAD src0_sel:DWORD src1_sel:BYTE_3
	v_bitop3_b16 v191, v191, v192, s8 bitop3:0xec
	v_bitop3_b16 v150, v150, v152, s8 bitop3:0xec
	v_lshlrev_b32_e32 v150, 16, v150
	v_ashrrev_i32_e32 v170, s18, v193
	v_or_b32_sdwa v191, v191, v150 dst_sel:DWORD dst_unused:UNUSED_PAD src0_sel:WORD_0 src1_sel:DWORD
	v_ashrrev_i32_e32 v150, s21, v171
	v_lshlrev_b32_e32 v170, 2, v170
	v_bfe_u32 v152, v150, 24, 2
	v_and_b32_e32 v150, 0x3030303, v150
	v_and_b32_e32 v170, 0x4040404, v170
	v_sub_u16_e32 v171, v150, v170
	v_sub_u16_sdwa v192, v150, v170 dst_sel:BYTE_1 dst_unused:UNUSED_PAD src0_sel:BYTE_1 src1_sel:BYTE_1
	v_sub_u16_sdwa v150, v150, v170 dst_sel:DWORD dst_unused:UNUSED_PAD src0_sel:WORD_1 src1_sel:WORD_1
	v_sub_u16_sdwa v152, v152, v170 dst_sel:BYTE_1 dst_unused:UNUSED_PAD src0_sel:DWORD src1_sel:BYTE_3
	v_bitop3_b16 v171, v171, v192, s8 bitop3:0xec
	v_bitop3_b16 v150, v150, v152, s8 bitop3:0xec
	v_lshlrev_b32_e32 v150, 16, v150
	v_or_b32_sdwa v192, v171, v150 dst_sel:DWORD dst_unused:UNUSED_PAD src0_sel:WORD_0 src1_sel:DWORD
	v_add_u32_e32 v150, 0x1088, v154
	ds_read2_b32 v[170:171], v150 offset1:1
	s_waitcnt lgkmcnt(2)
	v_ashrrev_i32_e32 v169, s18, v198
	v_lshlrev_b32_e32 v169, 2, v169
	v_and_b32_e32 v169, 0x4040404, v169
	v_mov_b32_e32 v221, 0
	s_waitcnt lgkmcnt(0)
	v_ashrrev_i32_e32 v150, s21, v170
	v_ashrrev_i32_e32 v170, s18, v194
	v_lshlrev_b32_e32 v170, 2, v170
	v_bfe_u32 v152, v150, 24, 2
	v_and_b32_e32 v150, 0x3030303, v150
	v_and_b32_e32 v170, 0x4040404, v170
	v_sub_u16_e32 v193, v150, v170
	v_sub_u16_sdwa v194, v150, v170 dst_sel:BYTE_1 dst_unused:UNUSED_PAD src0_sel:BYTE_1 src1_sel:BYTE_1
	v_sub_u16_sdwa v150, v150, v170 dst_sel:DWORD dst_unused:UNUSED_PAD src0_sel:WORD_1 src1_sel:WORD_1
	v_sub_u16_sdwa v152, v152, v170 dst_sel:BYTE_1 dst_unused:UNUSED_PAD src0_sel:DWORD src1_sel:BYTE_3
	v_bitop3_b16 v193, v193, v194, s8 bitop3:0xec
	v_bitop3_b16 v150, v150, v152, s8 bitop3:0xec
	v_lshlrev_b32_e32 v150, 16, v150
	v_ashrrev_i32_e32 v170, s18, v195
	v_or_b32_sdwa v193, v193, v150 dst_sel:DWORD dst_unused:UNUSED_PAD src0_sel:WORD_0 src1_sel:DWORD
	v_ashrrev_i32_e32 v150, s21, v171
	v_lshlrev_b32_e32 v170, 2, v170
	v_bfe_u32 v152, v150, 24, 2
	v_and_b32_e32 v150, 0x3030303, v150
	v_and_b32_e32 v170, 0x4040404, v170
	v_sub_u16_e32 v171, v150, v170
	v_sub_u16_sdwa v194, v150, v170 dst_sel:BYTE_1 dst_unused:UNUSED_PAD src0_sel:BYTE_1 src1_sel:BYTE_1
	v_sub_u16_sdwa v150, v150, v170 dst_sel:DWORD dst_unused:UNUSED_PAD src0_sel:WORD_1 src1_sel:WORD_1
	v_sub_u16_sdwa v152, v152, v170 dst_sel:BYTE_1 dst_unused:UNUSED_PAD src0_sel:DWORD src1_sel:BYTE_3
	v_bitop3_b16 v171, v171, v194, s8 bitop3:0xec
	v_bitop3_b16 v150, v150, v152, s8 bitop3:0xec
	v_lshlrev_b32_e32 v150, 16, v150
	v_or_b32_sdwa v194, v171, v150 dst_sel:DWORD dst_unused:UNUSED_PAD src0_sel:WORD_0 src1_sel:DWORD
	v_add_u32_e32 v150, 0x1090, v154
	ds_read2_b32 v[170:171], v150 offset1:1
	v_mov_b32_e32 v232, 0
	v_dot4c_i32_i8_e32 v167, v158, v36
	v_dot4c_i32_i8_e32 v168, v162, v32
	;; [unrolled: 1-line block ×3, first 2 shown]
	s_waitcnt lgkmcnt(0)
	v_ashrrev_i32_e32 v150, s21, v170
	v_ashrrev_i32_e32 v170, s18, v196
	v_lshlrev_b32_e32 v170, 2, v170
	v_bfe_u32 v152, v150, 24, 2
	v_and_b32_e32 v150, 0x3030303, v150
	v_and_b32_e32 v170, 0x4040404, v170
	v_sub_u16_e32 v195, v150, v170
	v_sub_u16_sdwa v196, v150, v170 dst_sel:BYTE_1 dst_unused:UNUSED_PAD src0_sel:BYTE_1 src1_sel:BYTE_1
	v_sub_u16_sdwa v150, v150, v170 dst_sel:DWORD dst_unused:UNUSED_PAD src0_sel:WORD_1 src1_sel:WORD_1
	v_sub_u16_sdwa v152, v152, v170 dst_sel:BYTE_1 dst_unused:UNUSED_PAD src0_sel:DWORD src1_sel:BYTE_3
	v_bitop3_b16 v195, v195, v196, s8 bitop3:0xec
	v_bitop3_b16 v150, v150, v152, s8 bitop3:0xec
	v_lshlrev_b32_e32 v150, 16, v150
	v_ashrrev_i32_e32 v170, s18, v197
	v_or_b32_sdwa v195, v195, v150 dst_sel:DWORD dst_unused:UNUSED_PAD src0_sel:WORD_0 src1_sel:DWORD
	v_ashrrev_i32_e32 v150, s21, v171
	v_lshlrev_b32_e32 v170, 2, v170
	v_bfe_u32 v152, v150, 24, 2
	v_and_b32_e32 v150, 0x3030303, v150
	v_and_b32_e32 v170, 0x4040404, v170
	v_sub_u16_e32 v171, v150, v170
	v_sub_u16_sdwa v196, v150, v170 dst_sel:BYTE_1 dst_unused:UNUSED_PAD src0_sel:BYTE_1 src1_sel:BYTE_1
	v_sub_u16_sdwa v150, v150, v170 dst_sel:DWORD dst_unused:UNUSED_PAD src0_sel:WORD_1 src1_sel:WORD_1
	v_sub_u16_sdwa v152, v152, v170 dst_sel:BYTE_1 dst_unused:UNUSED_PAD src0_sel:DWORD src1_sel:BYTE_3
	v_bitop3_b16 v171, v171, v196, s8 bitop3:0xec
	v_bitop3_b16 v150, v150, v152, s8 bitop3:0xec
	v_lshlrev_b32_e32 v150, 16, v150
	v_or_b32_sdwa v196, v171, v150 dst_sel:DWORD dst_unused:UNUSED_PAD src0_sel:WORD_0 src1_sel:DWORD
	v_add_u32_e32 v150, 0x1098, v154
	ds_read2_b32 v[170:171], v150 offset1:1
	v_dot4c_i32_i8_e32 v168, v163, v33
	v_dot4c_i32_i8_e32 v167, v160, v38
	;; [unrolled: 1-line block ×4, first 2 shown]
	s_waitcnt lgkmcnt(0)
	v_ashrrev_i32_e32 v150, s21, v170
	v_bfe_u32 v152, v150, 24, 2
	v_and_b32_e32 v150, 0x3030303, v150
	v_sub_u16_e32 v170, v150, v169
	v_sub_u16_sdwa v197, v150, v169 dst_sel:BYTE_1 dst_unused:UNUSED_PAD src0_sel:BYTE_1 src1_sel:BYTE_1
	v_sub_u16_sdwa v150, v150, v169 dst_sel:DWORD dst_unused:UNUSED_PAD src0_sel:WORD_1 src1_sel:WORD_1
	v_sub_u16_sdwa v152, v152, v169 dst_sel:BYTE_1 dst_unused:UNUSED_PAD src0_sel:DWORD src1_sel:BYTE_3
	v_bitop3_b16 v170, v170, v197, s8 bitop3:0xec
	v_bitop3_b16 v150, v150, v152, s8 bitop3:0xec
	v_lshlrev_b32_e32 v150, 16, v150
	v_ashrrev_i32_e32 v169, s18, v199
	v_or_b32_sdwa v197, v170, v150 dst_sel:DWORD dst_unused:UNUSED_PAD src0_sel:WORD_0 src1_sel:DWORD
	v_ashrrev_i32_e32 v150, s21, v171
	v_lshlrev_b32_e32 v169, 2, v169
	v_bfe_u32 v152, v150, 24, 2
	v_and_b32_e32 v150, 0x3030303, v150
	v_and_b32_e32 v169, 0x4040404, v169
	v_sub_u16_e32 v170, v150, v169
	v_sub_u16_sdwa v171, v150, v169 dst_sel:BYTE_1 dst_unused:UNUSED_PAD src0_sel:BYTE_1 src1_sel:BYTE_1
	v_sub_u16_sdwa v150, v150, v169 dst_sel:DWORD dst_unused:UNUSED_PAD src0_sel:WORD_1 src1_sel:WORD_1
	v_sub_u16_sdwa v152, v152, v169 dst_sel:BYTE_1 dst_unused:UNUSED_PAD src0_sel:DWORD src1_sel:BYTE_3
	v_bitop3_b16 v170, v170, v171, s8 bitop3:0xec
	v_bitop3_b16 v150, v150, v152, s8 bitop3:0xec
	v_lshlrev_b32_e32 v150, 16, v150
	v_or_b32_sdwa v198, v170, v150 dst_sel:DWORD dst_unused:UNUSED_PAD src0_sel:WORD_0 src1_sel:DWORD
	v_add3_u32 v150, s24, v151, v117
	v_add_u32_e32 v152, 0x2100, v154
	ds_read_b32 v150, v150
	ds_read2_b32 v[200:201], v152 offset1:1
	v_mov_b32_e32 v170, 0
	v_mov_b32_e32 v171, 0
	v_dot4c_i32_i8_e32 v170, v191, v36
	v_dot4c_i32_i8_e32 v171, v195, v32
	s_waitcnt lgkmcnt(0)
	v_ashrrev_i32_e32 v152, s21, v200
	v_ashrrev_i32_e32 v200, s18, v202
	v_lshlrev_b32_e32 v200, 2, v200
	v_bfe_u32 v199, v152, 24, 2
	v_and_b32_e32 v152, 0x3030303, v152
	v_and_b32_e32 v200, 0x4040404, v200
	v_sub_u16_e32 v202, v152, v200
	v_sub_u16_sdwa v204, v152, v200 dst_sel:BYTE_1 dst_unused:UNUSED_PAD src0_sel:BYTE_1 src1_sel:BYTE_1
	v_sub_u16_sdwa v152, v152, v200 dst_sel:DWORD dst_unused:UNUSED_PAD src0_sel:WORD_1 src1_sel:WORD_1
	v_sub_u16_sdwa v199, v199, v200 dst_sel:BYTE_1 dst_unused:UNUSED_PAD src0_sel:DWORD src1_sel:BYTE_3
	v_bitop3_b16 v202, v202, v204, s8 bitop3:0xec
	v_bitop3_b16 v152, v152, v199, s8 bitop3:0xec
	v_lshlrev_b32_e32 v152, 16, v152
	v_or_b32_sdwa v199, v202, v152 dst_sel:DWORD dst_unused:UNUSED_PAD src0_sel:WORD_0 src1_sel:DWORD
	v_ashrrev_i32_e32 v152, s21, v201
	v_ashrrev_i32_e32 v201, s18, v203
	v_lshlrev_b32_e32 v201, 2, v201
	v_bfe_u32 v200, v152, 24, 2
	v_and_b32_e32 v152, 0x3030303, v152
	v_and_b32_e32 v201, 0x4040404, v201
	v_sub_u16_e32 v202, v152, v201
	v_sub_u16_sdwa v203, v152, v201 dst_sel:BYTE_1 dst_unused:UNUSED_PAD src0_sel:BYTE_1 src1_sel:BYTE_1
	v_sub_u16_sdwa v152, v152, v201 dst_sel:DWORD dst_unused:UNUSED_PAD src0_sel:WORD_1 src1_sel:WORD_1
	v_sub_u16_sdwa v200, v200, v201 dst_sel:BYTE_1 dst_unused:UNUSED_PAD src0_sel:DWORD src1_sel:BYTE_3
	v_bitop3_b16 v202, v202, v203, s8 bitop3:0xec
	v_bitop3_b16 v152, v152, v200, s8 bitop3:0xec
	v_lshlrev_b32_e32 v152, 16, v152
	v_or_b32_sdwa v200, v202, v152 dst_sel:DWORD dst_unused:UNUSED_PAD src0_sel:WORD_0 src1_sel:DWORD
	v_add_u32_e32 v152, 0x2108, v154
	ds_read2_b32 v[202:203], v152 offset1:1
	ds_read2_b32 v[204:205], v208 offset0:2 offset1:3
	v_dot4c_i32_i8_e32 v216, v199, v36
	v_dot4c_i32_i8_e32 v170, v192, v37
	v_dot4c_i32_i8_e32 v171, v196, v33
	s_waitcnt lgkmcnt(1)
	v_ashrrev_i32_e32 v152, s21, v202
	s_waitcnt lgkmcnt(0)
	v_ashrrev_i32_e32 v202, s18, v204
	v_lshlrev_b32_e32 v202, 2, v202
	v_bfe_u32 v201, v152, 24, 2
	v_and_b32_e32 v152, 0x3030303, v152
	v_and_b32_e32 v202, 0x4040404, v202
	v_sub_u16_e32 v204, v152, v202
	v_sub_u16_sdwa v206, v152, v202 dst_sel:BYTE_1 dst_unused:UNUSED_PAD src0_sel:BYTE_1 src1_sel:BYTE_1
	v_sub_u16_sdwa v152, v152, v202 dst_sel:DWORD dst_unused:UNUSED_PAD src0_sel:WORD_1 src1_sel:WORD_1
	v_sub_u16_sdwa v201, v201, v202 dst_sel:BYTE_1 dst_unused:UNUSED_PAD src0_sel:DWORD src1_sel:BYTE_3
	v_bitop3_b16 v204, v204, v206, s8 bitop3:0xec
	v_bitop3_b16 v152, v152, v201, s8 bitop3:0xec
	v_lshlrev_b32_e32 v152, 16, v152
	v_or_b32_sdwa v201, v204, v152 dst_sel:DWORD dst_unused:UNUSED_PAD src0_sel:WORD_0 src1_sel:DWORD
	v_ashrrev_i32_e32 v152, s21, v203
	v_ashrrev_i32_e32 v203, s18, v205
	v_lshlrev_b32_e32 v203, 2, v203
	v_bfe_u32 v202, v152, 24, 2
	v_and_b32_e32 v152, 0x3030303, v152
	v_and_b32_e32 v203, 0x4040404, v203
	v_sub_u16_e32 v204, v152, v203
	v_sub_u16_sdwa v205, v152, v203 dst_sel:BYTE_1 dst_unused:UNUSED_PAD src0_sel:BYTE_1 src1_sel:BYTE_1
	v_sub_u16_sdwa v152, v152, v203 dst_sel:DWORD dst_unused:UNUSED_PAD src0_sel:WORD_1 src1_sel:WORD_1
	v_sub_u16_sdwa v202, v202, v203 dst_sel:BYTE_1 dst_unused:UNUSED_PAD src0_sel:DWORD src1_sel:BYTE_3
	v_bitop3_b16 v204, v204, v205, s8 bitop3:0xec
	v_bitop3_b16 v152, v152, v202, s8 bitop3:0xec
	v_lshlrev_b32_e32 v152, 16, v152
	v_or_b32_sdwa v202, v204, v152 dst_sel:DWORD dst_unused:UNUSED_PAD src0_sel:WORD_0 src1_sel:DWORD
	v_add_u32_e32 v152, 0x2110, v154
	ds_read2_b32 v[204:205], v152 offset1:1
	ds_read2_b32 v[206:207], v208 offset0:4 offset1:5
	v_dot4c_i32_i8_e32 v216, v200, v37
	v_dot4c_i32_i8_e32 v170, v193, v38
	v_dot4c_i32_i8_e32 v171, v197, v34
	s_waitcnt lgkmcnt(1)
	v_ashrrev_i32_e32 v152, s21, v204
	s_waitcnt lgkmcnt(0)
	;; [unrolled: 36-line block ×3, first 2 shown]
	v_ashrrev_i32_e32 v206, s18, v208
	v_lshlrev_b32_e32 v206, 2, v206
	v_bfe_u32 v205, v152, 24, 2
	v_and_b32_e32 v152, 0x3030303, v152
	v_and_b32_e32 v206, 0x4040404, v206
	v_sub_u16_e32 v208, v152, v206
	v_sub_u16_sdwa v210, v152, v206 dst_sel:BYTE_1 dst_unused:UNUSED_PAD src0_sel:BYTE_1 src1_sel:BYTE_1
	v_sub_u16_sdwa v152, v152, v206 dst_sel:DWORD dst_unused:UNUSED_PAD src0_sel:WORD_1 src1_sel:WORD_1
	v_sub_u16_sdwa v205, v205, v206 dst_sel:BYTE_1 dst_unused:UNUSED_PAD src0_sel:DWORD src1_sel:BYTE_3
	v_bitop3_b16 v208, v208, v210, s8 bitop3:0xec
	v_bitop3_b16 v152, v152, v205, s8 bitop3:0xec
	v_lshlrev_b32_e32 v152, 16, v152
	v_or_b32_sdwa v205, v208, v152 dst_sel:DWORD dst_unused:UNUSED_PAD src0_sel:WORD_0 src1_sel:DWORD
	v_ashrrev_i32_e32 v152, s21, v207
	v_ashrrev_i32_e32 v207, s18, v209
	v_lshlrev_b32_e32 v207, 2, v207
	v_bfe_u32 v206, v152, 24, 2
	v_and_b32_e32 v152, 0x3030303, v152
	v_and_b32_e32 v207, 0x4040404, v207
	v_sub_u16_e32 v208, v152, v207
	v_sub_u16_sdwa v209, v152, v207 dst_sel:BYTE_1 dst_unused:UNUSED_PAD src0_sel:BYTE_1 src1_sel:BYTE_1
	v_sub_u16_sdwa v152, v152, v207 dst_sel:DWORD dst_unused:UNUSED_PAD src0_sel:WORD_1 src1_sel:WORD_1
	v_sub_u16_sdwa v206, v206, v207 dst_sel:BYTE_1 dst_unused:UNUSED_PAD src0_sel:DWORD src1_sel:BYTE_3
	v_bitop3_b16 v208, v208, v209, s8 bitop3:0xec
	v_bitop3_b16 v152, v152, v206, s8 bitop3:0xec
	v_lshlrev_b32_e32 v152, 16, v152
	v_add_u32_e32 v207, 0x3180, v154
	v_or_b32_sdwa v206, v208, v152 dst_sel:DWORD dst_unused:UNUSED_PAD src0_sel:WORD_0 src1_sel:DWORD
	ds_read2_b32 v[208:209], v207 offset1:1
	ds_read2_b32 v[210:211], v214 offset1:1
	v_add3_u32 v152, s24, v155, v123
	ds_read_b32 v152, v152
	v_dot4c_i32_i8_e32 v221, v205, v34
	s_waitcnt lgkmcnt(2)
	v_ashrrev_i32_e32 v207, s21, v208
	s_waitcnt lgkmcnt(1)
	v_ashrrev_i32_e32 v210, s18, v210
	v_lshlrev_b32_e32 v210, 2, v210
	v_bfe_u32 v208, v207, 24, 2
	v_and_b32_e32 v207, 0x3030303, v207
	v_and_b32_e32 v210, 0x4040404, v210
	v_sub_u16_e32 v212, v207, v210
	v_sub_u16_sdwa v213, v207, v210 dst_sel:BYTE_1 dst_unused:UNUSED_PAD src0_sel:BYTE_1 src1_sel:BYTE_1
	v_sub_u16_sdwa v207, v207, v210 dst_sel:DWORD dst_unused:UNUSED_PAD src0_sel:WORD_1 src1_sel:WORD_1
	v_sub_u16_sdwa v208, v208, v210 dst_sel:BYTE_1 dst_unused:UNUSED_PAD src0_sel:DWORD src1_sel:BYTE_3
	v_ashrrev_i32_e32 v210, s18, v211
	v_bitop3_b16 v207, v207, v208, s8 bitop3:0xec
	v_ashrrev_i32_e32 v208, s21, v209
	v_lshlrev_b32_e32 v210, 2, v210
	v_bitop3_b16 v212, v212, v213, s8 bitop3:0xec
	v_lshlrev_b32_e32 v207, 16, v207
	v_bfe_u32 v209, v208, 24, 2
	v_and_b32_e32 v208, 0x3030303, v208
	v_and_b32_e32 v210, 0x4040404, v210
	v_or_b32_sdwa v207, v212, v207 dst_sel:DWORD dst_unused:UNUSED_PAD src0_sel:WORD_0 src1_sel:DWORD
	v_sub_u16_e32 v211, v208, v210
	v_sub_u16_sdwa v212, v208, v210 dst_sel:BYTE_1 dst_unused:UNUSED_PAD src0_sel:BYTE_1 src1_sel:BYTE_1
	v_sub_u16_sdwa v208, v208, v210 dst_sel:DWORD dst_unused:UNUSED_PAD src0_sel:WORD_1 src1_sel:WORD_1
	v_sub_u16_sdwa v209, v209, v210 dst_sel:BYTE_1 dst_unused:UNUSED_PAD src0_sel:DWORD src1_sel:BYTE_3
	v_bitop3_b16 v211, v211, v212, s8 bitop3:0xec
	v_bitop3_b16 v208, v208, v209, s8 bitop3:0xec
	v_lshlrev_b32_e32 v208, 16, v208
	v_add_u32_e32 v209, 0x3188, v154
	v_or_b32_sdwa v208, v211, v208 dst_sel:DWORD dst_unused:UNUSED_PAD src0_sel:WORD_0 src1_sel:DWORD
	ds_read2_b32 v[210:211], v209 offset1:1
	ds_read2_b32 v[212:213], v214 offset0:2 offset1:3
	v_dot4c_i32_i8_e32 v168, v165, v35
	v_dot4c_i32_i8_e32 v170, v194, v39
	;; [unrolled: 1-line block ×3, first 2 shown]
	s_waitcnt lgkmcnt(1)
	v_ashrrev_i32_e32 v209, s21, v210
	s_waitcnt lgkmcnt(0)
	v_ashrrev_i32_e32 v212, s18, v212
	v_lshlrev_b32_e32 v212, 2, v212
	v_bfe_u32 v210, v209, 24, 2
	v_and_b32_e32 v209, 0x3030303, v209
	v_and_b32_e32 v212, 0x4040404, v212
	v_sub_u16_e32 v217, v209, v212
	v_sub_u16_sdwa v218, v209, v212 dst_sel:BYTE_1 dst_unused:UNUSED_PAD src0_sel:BYTE_1 src1_sel:BYTE_1
	v_sub_u16_sdwa v209, v209, v212 dst_sel:DWORD dst_unused:UNUSED_PAD src0_sel:WORD_1 src1_sel:WORD_1
	v_sub_u16_sdwa v210, v210, v212 dst_sel:BYTE_1 dst_unused:UNUSED_PAD src0_sel:DWORD src1_sel:BYTE_3
	v_ashrrev_i32_e32 v212, s18, v213
	v_bitop3_b16 v209, v209, v210, s8 bitop3:0xec
	v_ashrrev_i32_e32 v210, s21, v211
	v_lshlrev_b32_e32 v212, 2, v212
	v_bitop3_b16 v217, v217, v218, s8 bitop3:0xec
	v_lshlrev_b32_e32 v209, 16, v209
	v_bfe_u32 v211, v210, 24, 2
	v_and_b32_e32 v210, 0x3030303, v210
	v_and_b32_e32 v212, 0x4040404, v212
	v_or_b32_sdwa v209, v217, v209 dst_sel:DWORD dst_unused:UNUSED_PAD src0_sel:WORD_0 src1_sel:DWORD
	v_sub_u16_e32 v213, v210, v212
	v_sub_u16_sdwa v217, v210, v212 dst_sel:BYTE_1 dst_unused:UNUSED_PAD src0_sel:BYTE_1 src1_sel:BYTE_1
	v_sub_u16_sdwa v210, v210, v212 dst_sel:DWORD dst_unused:UNUSED_PAD src0_sel:WORD_1 src1_sel:WORD_1
	v_sub_u16_sdwa v211, v211, v212 dst_sel:BYTE_1 dst_unused:UNUSED_PAD src0_sel:DWORD src1_sel:BYTE_3
	v_bitop3_b16 v213, v213, v217, s8 bitop3:0xec
	v_bitop3_b16 v210, v210, v211, s8 bitop3:0xec
	v_lshlrev_b32_e32 v210, 16, v210
	v_add_u32_e32 v211, 0x3190, v154
	v_or_b32_sdwa v210, v213, v210 dst_sel:DWORD dst_unused:UNUSED_PAD src0_sel:WORD_0 src1_sel:DWORD
	ds_read2_b32 v[212:213], v211 offset1:1
	ds_read2_b32 v[218:219], v214 offset0:4 offset1:5
	v_add_u32_e32 v154, 0x3198, v154
	v_ashrrev_i32_e32 v214, s18, v222
	v_lshlrev_b32_e32 v214, 2, v214
	s_waitcnt lgkmcnt(1)
	v_ashrrev_i32_e32 v211, s21, v212
	s_waitcnt lgkmcnt(0)
	v_ashrrev_i32_e32 v217, s18, v218
	v_lshlrev_b32_e32 v217, 2, v217
	v_bfe_u32 v212, v211, 24, 2
	v_and_b32_e32 v211, 0x3030303, v211
	v_and_b32_e32 v217, 0x4040404, v217
	v_sub_u16_e32 v218, v211, v217
	v_sub_u16_sdwa v220, v211, v217 dst_sel:BYTE_1 dst_unused:UNUSED_PAD src0_sel:BYTE_1 src1_sel:BYTE_1
	v_sub_u16_sdwa v211, v211, v217 dst_sel:DWORD dst_unused:UNUSED_PAD src0_sel:WORD_1 src1_sel:WORD_1
	v_sub_u16_sdwa v212, v212, v217 dst_sel:BYTE_1 dst_unused:UNUSED_PAD src0_sel:DWORD src1_sel:BYTE_3
	v_ashrrev_i32_e32 v217, s18, v219
	v_bitop3_b16 v211, v211, v212, s8 bitop3:0xec
	v_ashrrev_i32_e32 v212, s21, v213
	v_lshlrev_b32_e32 v217, 2, v217
	v_bitop3_b16 v218, v218, v220, s8 bitop3:0xec
	v_lshlrev_b32_e32 v211, 16, v211
	v_bfe_u32 v213, v212, 24, 2
	v_and_b32_e32 v212, 0x3030303, v212
	v_and_b32_e32 v217, 0x4040404, v217
	v_or_b32_sdwa v211, v218, v211 dst_sel:DWORD dst_unused:UNUSED_PAD src0_sel:WORD_0 src1_sel:DWORD
	v_sub_u16_e32 v218, v212, v217
	v_sub_u16_sdwa v219, v212, v217 dst_sel:BYTE_1 dst_unused:UNUSED_PAD src0_sel:BYTE_1 src1_sel:BYTE_1
	v_sub_u16_sdwa v212, v212, v217 dst_sel:DWORD dst_unused:UNUSED_PAD src0_sel:WORD_1 src1_sel:WORD_1
	v_sub_u16_sdwa v213, v213, v217 dst_sel:BYTE_1 dst_unused:UNUSED_PAD src0_sel:DWORD src1_sel:BYTE_3
	v_bitop3_b16 v218, v218, v219, s8 bitop3:0xec
	v_bitop3_b16 v212, v212, v213, s8 bitop3:0xec
	v_lshlrev_b32_e32 v212, 16, v212
	v_or_b32_sdwa v212, v218, v212 dst_sel:DWORD dst_unused:UNUSED_PAD src0_sel:WORD_0 src1_sel:DWORD
	ds_read2_b32 v[218:219], v154 offset1:1
	v_and_b32_e32 v214, 0x4040404, v214
	v_dot4c_i32_i8_e32 v232, v211, v32
	v_dot4c_i32_i8_e32 v232, v212, v33
	;; [unrolled: 1-line block ×3, first 2 shown]
	s_waitcnt lgkmcnt(0)
	v_ashrrev_i32_e32 v154, s21, v218
	v_bfe_u32 v213, v154, 24, 2
	v_and_b32_e32 v154, 0x3030303, v154
	v_sub_u16_e32 v217, v154, v214
	v_sub_u16_sdwa v218, v154, v214 dst_sel:BYTE_1 dst_unused:UNUSED_PAD src0_sel:BYTE_1 src1_sel:BYTE_1
	v_sub_u16_sdwa v154, v154, v214 dst_sel:DWORD dst_unused:UNUSED_PAD src0_sel:WORD_1 src1_sel:WORD_1
	v_sub_u16_sdwa v213, v213, v214 dst_sel:BYTE_1 dst_unused:UNUSED_PAD src0_sel:DWORD src1_sel:BYTE_3
	v_bitop3_b16 v217, v217, v218, s8 bitop3:0xec
	v_bitop3_b16 v154, v154, v213, s8 bitop3:0xec
	v_lshlrev_b32_e32 v154, 16, v154
	v_or_b32_sdwa v213, v217, v154 dst_sel:DWORD dst_unused:UNUSED_PAD src0_sel:WORD_0 src1_sel:DWORD
	v_ashrrev_i32_e32 v217, s18, v223
	v_ashrrev_i32_e32 v154, s21, v219
	v_lshlrev_b32_e32 v217, 2, v217
	v_bfe_u32 v214, v154, 24, 2
	v_and_b32_e32 v154, 0x3030303, v154
	v_and_b32_e32 v217, 0x4040404, v217
	v_sub_u16_e32 v218, v154, v217
	v_sub_u16_sdwa v219, v154, v217 dst_sel:BYTE_1 dst_unused:UNUSED_PAD src0_sel:BYTE_1 src1_sel:BYTE_1
	v_sub_u16_sdwa v154, v154, v217 dst_sel:DWORD dst_unused:UNUSED_PAD src0_sel:WORD_1 src1_sel:WORD_1
	v_sub_u16_sdwa v214, v214, v217 dst_sel:BYTE_1 dst_unused:UNUSED_PAD src0_sel:DWORD src1_sel:BYTE_3
	v_mov_b32_e32 v223, 0
	v_bitop3_b16 v154, v154, v214, s8 bitop3:0xec
	v_dot4c_i32_i8_e32 v223, v207, v36
	v_bitop3_b16 v218, v218, v219, s8 bitop3:0xec
	v_lshlrev_b32_e32 v154, 16, v154
	v_dot4c_i32_i8_e32 v223, v208, v37
	v_or_b32_sdwa v214, v218, v154 dst_sel:DWORD dst_unused:UNUSED_PAD src0_sel:WORD_0 src1_sel:DWORD
	v_add3_u32 v154, s24, v173, v129
	v_dot4c_i32_i8_e32 v223, v209, v38
	v_dot4c_i32_i8_e32 v232, v213, v34
	;; [unrolled: 1-line block ×3, first 2 shown]
	ds_read_b32 v154, v154
	v_dot4c_i32_i8_e32 v223, v210, v39
	v_dot4c_i32_i8_e32 v232, v214, v35
	ds_read_b128 v[32:35], v189 offset:1024
	ds_read_b128 v[36:39], v189 offset:1040
	v_mov_b32_e32 v217, 0
	v_mov_b32_e32 v228, 0
	;; [unrolled: 1-line block ×8, first 2 shown]
	s_waitcnt lgkmcnt(1)
	v_dot4c_i32_i8_e32 v217, v158, v32
	s_waitcnt lgkmcnt(0)
	v_dot4c_i32_i8_e32 v228, v162, v36
	v_dot4c_i32_i8_e32 v238, v191, v32
	;; [unrolled: 1-line block ×31, first 2 shown]
	ds_read2_b32 v[218:219], v190 offset0:64 offset1:96
	ds_read_b128 v[32:35], v189 offset:2048
	ds_read_b128 v[36:39], v189 offset:2064
	v_mov_b32_e32 v225, 0
	v_mov_b32_e32 v224, 0
	;; [unrolled: 1-line block ×8, first 2 shown]
	s_waitcnt lgkmcnt(1)
	v_dot4c_i32_i8_e32 v225, v158, v32
	s_waitcnt lgkmcnt(0)
	v_dot4c_i32_i8_e32 v224, v162, v36
	v_dot4c_i32_i8_e32 v244, v191, v32
	;; [unrolled: 1-line block ×15, first 2 shown]
	v_add_u32_e32 v166, s22, v55
	v_dot4c_i32_i8_e32 v225, v160, v34
	v_dot4c_i32_i8_e32 v224, v164, v38
	v_dot4c_i32_i8_e32 v244, v193, v34
	v_dot4c_i32_i8_e32 v245, v197, v38
	v_dot4c_i32_i8_e32 v246, v201, v34
	v_dot4c_i32_i8_e32 v247, v205, v38
	v_dot4c_i32_i8_e32 v248, v209, v34
	v_dot4c_i32_i8_e32 v249, v213, v38
	v_dot4c_i32_i8_e32 v225, v161, v35
	v_dot4c_i32_i8_e32 v224, v165, v39
	v_dot4c_i32_i8_e32 v244, v194, v35
	v_dot4c_i32_i8_e32 v245, v198, v39
	v_dot4c_i32_i8_e32 v246, v202, v35
	v_dot4c_i32_i8_e32 v247, v206, v39
	v_dot4c_i32_i8_e32 v248, v210, v35
	v_dot4c_i32_i8_e32 v249, v214, v39
	ds_read_b128 v[32:35], v189 offset:3072
	ds_read_b128 v[36:39], v189 offset:3088
	ds_read_u16 v166, v166 offset:33538
	v_add_u32_e32 v169, s22, v57
	v_add_u32_e32 v215, s22, v59
	;; [unrolled: 1-line block ×3, first 2 shown]
	v_mov_b32_e32 v226, 0
	s_waitcnt lgkmcnt(0)
	v_lshrrev_b16_e32 v220, 8, v166
	v_bfe_i32 v166, v166, 0, 8
	v_bfe_i32 v233, v220, 0, 8
	v_mul_lo_u32 v168, v168, v233
	v_mul_lo_u32 v220, v217, v166
	v_mad_u64_u32 v[228:229], s[22:23], v228, v233, v[220:221]
	v_mad_u64_u32 v[230:231], s[22:23], v167, v166, v[168:169]
	v_dot4c_i32_i8_e32 v226, v158, v32
	v_mov_b32_e32 v227, 0
	v_cvt_f32_i32_e32 v229, v230
	v_cvt_f32_i32_e32 v228, v228
	v_dot4c_i32_i8_e32 v226, v159, v33
	v_dot4c_i32_i8_e32 v227, v162, v36
	;; [unrolled: 1-line block ×4, first 2 shown]
	v_mov_b32_e32 v234, v157
	v_mov_b32_e32 v235, v156
	v_dot4c_i32_i8_e32 v226, v161, v35
	v_dot4c_i32_i8_e32 v227, v164, v38
	v_pk_mul_f32 v[156:157], v[148:149], v[234:235] op_sel_hi:[0,1]
	v_dot4c_i32_i8_e32 v227, v165, v39
	v_mul_lo_u32 v224, v224, v233
	v_mul_lo_u32 v226, v226, v166
	v_pk_fma_f32 v[16:17], v[156:157], v[228:229], v[16:17]
	ds_read_u16 v156, v169 offset:34562
	v_mad_u64_u32 v[226:227], s[22:23], v227, v233, v[226:227]
	v_mad_u64_u32 v[224:225], s[22:23], v225, v166, v[224:225]
	v_cvt_f32_i32_e32 v225, v224
	v_cvt_f32_i32_e32 v224, v226
	v_mov_b32_e32 v157, 0
	v_dot4c_i32_i8_e32 v157, v191, v32
	v_mov_b32_e32 v236, v219
	v_mov_b32_e32 v237, v218
	v_dot4c_i32_i8_e32 v157, v192, v33
	v_pk_mul_f32 v[218:219], v[148:149], v[236:237] op_sel_hi:[0,1]
	v_dot4c_i32_i8_e32 v157, v193, v34
	s_waitcnt lgkmcnt(0)
	v_lshrrev_b16_e32 v168, 8, v156
	v_pk_fma_f32 v[18:19], v[218:219], v[224:225], v[18:19]
	v_dot4c_i32_i8_e32 v157, v194, v35
	v_bfe_i32 v219, v156, 0, 8
	v_bfe_i32 v220, v168, 0, 8
	v_mul_lo_u32 v156, v171, v220
	v_mul_lo_u32 v168, v238, v219
	;; [unrolled: 1-line block ×3, first 2 shown]
                                        ; kill: def $vgpr157 killed $sgpr0 killed $exec
	v_mov_b32_e32 v167, 0
	v_mad_u64_u32 v[168:169], s[22:23], v239, v220, v[168:169]
	v_mad_u64_u32 v[156:157], s[22:23], v170, v219, v[156:157]
	v_dot4c_i32_i8_e32 v167, v195, v36
	v_cvt_f32_i32_e32 v157, v156
	v_cvt_f32_i32_e32 v156, v168
	v_dot4c_i32_i8_e32 v167, v196, v37
	v_dot4c_i32_i8_e32 v167, v197, v38
	;; [unrolled: 1-line block ×3, first 2 shown]
	v_mul_lo_u32 v218, v245, v220
	v_pk_mul_f32 v[170:171], v[150:151], v[234:235] op_sel_hi:[0,1]
	v_mad_u64_u32 v[226:227], s[22:23], v244, v219, v[218:219]
	v_mad_u64_u32 v[224:225], s[22:23], v167, v220, v[224:225]
	v_pk_fma_f32 v[28:29], v[170:171], v[156:157], v[28:29]
	ds_read_u16 v156, v215 offset:35586
	v_cvt_f32_i32_e32 v169, v226
	v_cvt_f32_i32_e32 v168, v224
	v_mov_b32_e32 v157, 0
	v_dot4c_i32_i8_e32 v157, v199, v32
	v_pk_mul_f32 v[228:229], v[150:151], v[236:237] op_sel_hi:[0,1]
	v_dot4c_i32_i8_e32 v157, v200, v33
	v_pk_fma_f32 v[30:31], v[228:229], v[168:169], v[30:31]
	v_dot4c_i32_i8_e32 v157, v201, v34
	s_waitcnt lgkmcnt(0)
	v_lshrrev_b16_e32 v168, 8, v156
	v_dot4c_i32_i8_e32 v157, v202, v35
	v_bfe_i32 v217, v156, 0, 8
	v_bfe_i32 v218, v168, 0, 8
	v_mul_lo_u32 v156, v221, v218
	v_mul_lo_u32 v168, v240, v217
	;; [unrolled: 1-line block ×3, first 2 shown]
                                        ; kill: def $vgpr157 killed $sgpr0 killed $exec
	v_mad_u64_u32 v[168:169], s[22:23], v241, v218, v[168:169]
	v_mad_u64_u32 v[156:157], s[22:23], v216, v217, v[156:157]
	v_cvt_f32_i32_e32 v157, v156
	v_cvt_f32_i32_e32 v156, v168
	v_pk_mul_f32 v[226:227], v[152:153], v[234:235] op_sel_hi:[0,1]
	v_mov_b32_e32 v167, 0
	v_dot4c_i32_i8_e32 v167, v203, v36
	v_pk_fma_f32 v[24:25], v[226:227], v[156:157], v[24:25]
	v_mov_b32_e32 v156, 0
	v_dot4c_i32_i8_e32 v156, v207, v32
	ds_read_u16 v32, v222 offset:36610
	v_dot4c_i32_i8_e32 v156, v208, v33
	v_mov_b32_e32 v33, 0
	v_dot4c_i32_i8_e32 v33, v211, v36
	v_dot4c_i32_i8_e32 v167, v204, v37
	;; [unrolled: 1-line block ×7, first 2 shown]
	s_waitcnt lgkmcnt(0)
	v_lshrrev_b16_e32 v34, 8, v32
	v_bfe_i32 v215, v32, 0, 8
	v_dot4c_i32_i8_e32 v167, v206, v39
	v_mul_lo_u32 v170, v247, v218
	v_dot4c_i32_i8_e32 v33, v214, v39
	v_bfe_i32 v216, v34, 0, 8
	v_mul_lo_u32 v38, v156, v215
	v_mad_u64_u32 v[224:225], s[22:23], v167, v218, v[224:225]
	v_mad_u64_u32 v[170:171], s[22:23], v246, v217, v[170:171]
	v_mul_lo_u32 v32, v232, v216
	v_mul_lo_u32 v34, v242, v215
	;; [unrolled: 1-line block ×3, first 2 shown]
                                        ; kill: def $vgpr35 killed $sgpr0 killed $exec
	v_mad_u64_u32 v[38:39], s[22:23], v33, v216, v[38:39]
                                        ; kill: def $vgpr33 killed $sgpr0 killed $exec
	v_cvt_f32_i32_e32 v169, v170
	v_cvt_f32_i32_e32 v168, v224
	v_mad_u64_u32 v[36:37], s[22:23], v248, v215, v[36:37]
	v_mad_u64_u32 v[34:35], s[22:23], v243, v216, v[34:35]
	;; [unrolled: 1-line block ×3, first 2 shown]
	v_cvt_f32_i32_e32 v33, v32
	v_cvt_f32_i32_e32 v32, v34
	v_cvt_f32_i32_e32 v35, v36
	v_cvt_f32_i32_e32 v34, v38
	v_pk_mul_f32 v[228:229], v[152:153], v[236:237] op_sel_hi:[0,1]
	v_pk_fma_f32 v[26:27], v[228:229], v[168:169], v[26:27]
	v_pk_mul_f32 v[156:157], v[154:155], v[234:235] op_sel_hi:[0,1]
	v_pk_mul_f32 v[168:169], v[154:155], v[236:237] op_sel_hi:[0,1]
	v_pk_fma_f32 v[22:23], v[168:169], v[34:35], v[22:23]
	v_pk_fma_f32 v[20:21], v[156:157], v[32:33], v[20:21]
	ds_read2_b32 v[156:157], v190 offset0:128 offset1:160
	ds_read_b128 v[32:35], v189 offset:4096
	ds_read_b128 v[36:39], v189 offset:4112
	v_mov_b32_e32 v167, 0
	v_mov_b32_e32 v170, 0
	;; [unrolled: 1-line block ×8, first 2 shown]
	s_waitcnt lgkmcnt(1)
	v_dot4c_i32_i8_e32 v167, v158, v32
	s_waitcnt lgkmcnt(0)
	v_dot4c_i32_i8_e32 v170, v162, v36
	v_dot4c_i32_i8_e32 v229, v191, v32
	;; [unrolled: 1-line block ×31, first 2 shown]
	ds_read_b128 v[32:35], v189 offset:5120
	ds_read_b128 v[36:39], v189 offset:5136
	v_mov_b32_e32 v171, 0
	v_mov_b32_e32 v240, 0
	;; [unrolled: 1-line block ×8, first 2 shown]
	s_waitcnt lgkmcnt(1)
	v_dot4c_i32_i8_e32 v171, v158, v32
	s_waitcnt lgkmcnt(0)
	v_dot4c_i32_i8_e32 v240, v162, v36
	v_dot4c_i32_i8_e32 v232, v191, v32
	;; [unrolled: 1-line block ×31, first 2 shown]
	ds_read2_b32 v[168:169], v190 offset0:192 offset1:224
	ds_read_b128 v[32:35], v189 offset:6144
	ds_read_b128 v[36:39], v189 offset:6160
	v_mov_b32_e32 v241, 0
	v_mov_b32_e32 v242, 0
	;; [unrolled: 1-line block ×8, first 2 shown]
	s_waitcnt lgkmcnt(1)
	v_dot4c_i32_i8_e32 v241, v158, v32
	s_waitcnt lgkmcnt(0)
	v_dot4c_i32_i8_e32 v242, v162, v36
	v_dot4c_i32_i8_e32 v238, v191, v32
	;; [unrolled: 1-line block ×31, first 2 shown]
	ds_read_b128 v[36:39], v189 offset:7168
	ds_read_b128 v[32:35], v189 offset:7184
	v_mov_b32_e32 v243, 0
	s_add_i32 s19, s19, 2
	s_add_i32 s18, s18, 1
	s_waitcnt lgkmcnt(1)
	v_dot4c_i32_i8_e32 v243, v158, v36
	v_dot4c_i32_i8_e32 v243, v159, v37
	v_mov_b32_e32 v159, 0
	s_waitcnt lgkmcnt(0)
	v_dot4c_i32_i8_e32 v159, v162, v32
	v_dot4c_i32_i8_e32 v243, v160, v38
	;; [unrolled: 1-line block ×6, first 2 shown]
	v_mul_lo_u32 v160, v242, v233
	v_mul_lo_u32 v158, v243, v166
                                        ; kill: def $vgpr161 killed $sgpr0 killed $exec
	v_mul_lo_u32 v164, v170, v233
	v_mad_u64_u32 v[158:159], s[22:23], v159, v233, v[158:159]
	v_mad_u64_u32 v[160:161], s[22:23], v241, v166, v[160:161]
	v_cvt_f32_i32_e32 v159, v160
	v_cvt_f32_i32_e32 v158, v158
	v_mul_lo_u32 v162, v171, v166
	v_mad_u64_u32 v[164:165], s[22:23], v167, v166, v[164:165]
	v_mov_b32_e32 v166, v157
	v_mov_b32_e32 v167, v156
	;; [unrolled: 1-line block ×4, first 2 shown]
	v_pk_mul_f32 v[168:169], v[148:149], v[156:157] op_sel_hi:[0,1]
	v_mad_u64_u32 v[162:163], s[22:23], v240, v233, v[162:163]
	v_pk_fma_f32 v[14:15], v[168:169], v[158:159], v[14:15]
	v_mov_b32_e32 v159, 0
	v_cvt_f32_i32_e32 v163, v164
	v_cvt_f32_i32_e32 v162, v162
	v_dot4c_i32_i8_e32 v159, v191, v36
	v_dot4c_i32_i8_e32 v159, v192, v37
	v_mov_b32_e32 v161, 0
	v_dot4c_i32_i8_e32 v159, v193, v38
	v_dot4c_i32_i8_e32 v161, v195, v32
	v_pk_mul_f32 v[170:171], v[148:149], v[166:167] op_sel_hi:[0,1]
	v_dot4c_i32_i8_e32 v159, v194, v39
	v_dot4c_i32_i8_e32 v161, v196, v33
	v_pk_fma_f32 v[12:13], v[170:171], v[162:163], v[12:13]
	v_dot4c_i32_i8_e32 v161, v197, v34
	v_mul_lo_u32 v148, v230, v220
	v_mul_lo_u32 v158, v232, v219
	v_mul_lo_u32 v162, v159, v219
                                        ; kill: def $vgpr159 killed $sgpr0 killed $exec
	v_dot4c_i32_i8_e32 v161, v198, v35
	v_mul_lo_u32 v160, v239, v220
	v_mad_u64_u32 v[158:159], s[22:23], v231, v220, v[158:159]
	v_mad_u64_u32 v[164:165], s[22:23], v229, v219, v[148:149]
	;; [unrolled: 1-line block ×4, first 2 shown]
	v_cvt_f32_i32_e32 v159, v164
	v_cvt_f32_i32_e32 v158, v158
	;; [unrolled: 1-line block ×4, first 2 shown]
	v_pk_mul_f32 v[168:169], v[150:151], v[166:167] op_sel_hi:[0,1]
	v_mul_lo_u32 v148, v226, v218
	v_pk_mul_f32 v[170:171], v[150:151], v[156:157] op_sel_hi:[0,1]
	v_pk_fma_f32 v[8:9], v[168:169], v[158:159], v[8:9]
	v_mov_b32_e32 v159, 0
	v_mad_u64_u32 v[164:165], s[22:23], v225, v217, v[148:149]
	v_mov_b32_e32 v148, 0
	v_pk_fma_f32 v[10:11], v[170:171], v[160:161], v[10:11]
	v_dot4c_i32_i8_e32 v159, v199, v36
	v_mov_b32_e32 v161, 0
	v_dot4c_i32_i8_e32 v148, v207, v36
	v_dot4c_i32_i8_e32 v159, v200, v37
	;; [unrolled: 1-line block ×4, first 2 shown]
	v_mov_b32_e32 v37, 0
	v_dot4c_i32_i8_e32 v159, v201, v38
	v_dot4c_i32_i8_e32 v161, v204, v33
	v_dot4c_i32_i8_e32 v37, v211, v32
	v_dot4c_i32_i8_e32 v159, v202, v39
	v_dot4c_i32_i8_e32 v161, v205, v34
	v_dot4c_i32_i8_e32 v148, v209, v38
	v_dot4c_i32_i8_e32 v37, v212, v33
	v_dot4c_i32_i8_e32 v161, v206, v35
	v_mul_lo_u32 v158, v237, v218
	v_mul_lo_u32 v160, v159, v217
                                        ; kill: def $vgpr159 killed $sgpr0 killed $exec
	v_dot4c_i32_i8_e32 v148, v210, v39
	v_dot4c_i32_i8_e32 v37, v213, v34
	v_mul_lo_u32 v150, v228, v217
	v_mad_u64_u32 v[160:161], s[22:23], v161, v218, v[160:161]
	v_mad_u64_u32 v[158:159], s[22:23], v236, v217, v[158:159]
	v_dot4c_i32_i8_e32 v37, v214, v35
	v_mul_lo_u32 v32, v222, v216
	v_mul_lo_u32 v34, v224, v215
	;; [unrolled: 1-line block ×4, first 2 shown]
                                        ; kill: def $vgpr33 killed $sgpr0 killed $exec
	v_mad_u64_u32 v[162:163], s[22:23], v227, v218, v[150:151]
	v_cvt_f32_i32_e32 v159, v158
	v_cvt_f32_i32_e32 v158, v160
	v_mad_u64_u32 v[38:39], s[22:23], v37, v216, v[38:39]
	v_mad_u64_u32 v[36:37], s[22:23], v234, v215, v[36:37]
	;; [unrolled: 1-line block ×4, first 2 shown]
	v_cvt_f32_i32_e32 v163, v164
	v_cvt_f32_i32_e32 v162, v162
	;; [unrolled: 1-line block ×6, first 2 shown]
	v_pk_mul_f32 v[170:171], v[152:153], v[156:157] op_sel_hi:[0,1]
	v_pk_mul_f32 v[168:169], v[152:153], v[166:167] op_sel_hi:[0,1]
	v_pk_fma_f32 v[6:7], v[170:171], v[158:159], v[6:7]
	v_pk_mul_f32 v[158:159], v[154:155], v[166:167] op_sel_hi:[0,1]
	v_pk_mul_f32 v[156:157], v[154:155], v[156:157] op_sel_hi:[0,1]
	v_pk_fma_f32 v[4:5], v[168:169], v[162:163], v[4:5]
	v_pk_fma_f32 v[2:3], v[156:157], v[34:35], v[2:3]
	;; [unrolled: 1-line block ×3, first 2 shown]
	v_add_u32_e32 v190, 4, v190
	v_add_u32_e32 v189, 32, v189
	s_cmp_lt_u32 s20, 14
	s_mov_b32 s22, s20
	s_cbranch_scc1 .LBB130_9
; %bb.10:                               ;   in Loop: Header=BB130_6 Depth=1
	s_or_b32 s18, s4, 1
	s_cmp_ge_i32 s18, s5
	s_barrier
	s_cbranch_scc1 .LBB130_5
; %bb.11:                               ;   in Loop: Header=BB130_6 Depth=1
	v_add_u32_e32 v148, s17, v125
	v_add_u32_e32 v150, v148, v97
	v_mad_i64_i32 v[156:157], s[18:19], v150, 36, v[84:85]
	v_add_u32_e32 v150, v148, v99
	v_add_u32_e32 v32, v148, v89
	;; [unrolled: 1-line block ×5, first 2 shown]
	v_mad_i64_i32 v[158:159], s[18:19], v150, 36, v[84:85]
	v_add_u32_e32 v150, v148, v101
	v_add_u32_e32 v148, v148, v103
	v_mad_i64_i32 v[162:163], s[18:19], v148, 36, v[84:85]
	v_add_u32_e32 v148, 8, v187
	v_mad_i64_i32 v[32:33], s[18:19], v32, 36, v[84:85]
	v_mad_i64_i32 v[34:35], s[18:19], v34, 36, v[84:85]
	v_mad_i64_i32 v[36:37], s[18:19], v36, 36, v[84:85]
	v_mad_i64_i32 v[38:39], s[18:19], v38, 36, v[84:85]
	v_mad_u64_u32 v[164:165], s[18:19], v148, 36, s[2:3]
	v_mad_i64_i32 v[160:161], s[18:19], v150, 36, v[84:85]
	global_load_dword v148, v[164:165], off
	s_nop 0
	global_load_dword v32, v[32:33], off offset:4
	s_nop 0
	global_load_dword v33, v[34:35], off offset:4
	;; [unrolled: 2-line block ×3, first 2 shown]
	global_load_dword v35, v[38:39], off offset:4
	s_nop 0
	global_load_dword v36, v[156:157], off offset:4
	global_load_dword v37, v[158:159], off offset:4
	;; [unrolled: 1-line block ×4, first 2 shown]
	s_mov_b32 s18, 16
	s_mov_b32 s22, 14
	;; [unrolled: 1-line block ×3, first 2 shown]
	v_mov_b32_e32 v189, v183
	v_mov_b32_e32 v190, v133
	s_waitcnt vmcnt(8)
	v_cvt_f32_f16_e32 v148, v148
	s_waitcnt vmcnt(7)
	ds_write_b32 v188, v32
	s_waitcnt vmcnt(6)
	ds_write_b32 v135, v33
	;; [unrolled: 2-line block ×8, first 2 shown]
	ds_write_b32 v87, v148
	s_waitcnt lgkmcnt(0)
	s_barrier
.LBB130_12:                             ;   Parent Loop BB130_6 Depth=1
                                        ; =>  This Inner Loop Header: Depth=2
	s_add_i32 s20, s22, 2
	s_lshr_b32 s25, s20, 4
	s_and_b32 s23, s20, 0x3ffffff8
	v_lshl_add_u32 v154, s23, 2, v177
	s_lshl_b32 s23, s25, 5
	s_addk_i32 s23, 0x4200
	v_add3_u32 v152, s23, v184, v178
	v_add3_u32 v214, s23, v172, v127
	ds_read2_b32 v[156:157], v190 offset1:32
	ds_read_b128 v[36:39], v189
	ds_read_b128 v[32:35], v189 offset:16
	ds_read2_b32 v[158:159], v154 offset1:1
	ds_read2_b32 v[222:223], v214 offset0:6 offset1:7
	ds_read2_b32 v[160:161], v152 offset1:1
	s_add_i32 s21, s22, -14
	s_and_b32 s24, s18, -16
	s_waitcnt lgkmcnt(2)
	v_ashrrev_i32_e32 v148, s21, v158
	v_bfe_u32 v150, v148, 24, 2
	s_waitcnt lgkmcnt(0)
	v_ashrrev_i32_e32 v158, s19, v160
	v_lshlrev_b32_e32 v158, 2, v158
	v_and_b32_e32 v148, 0x3030303, v148
	v_and_b32_e32 v158, 0x4040404, v158
	v_sub_u16_e32 v160, v148, v158
	v_sub_u16_sdwa v162, v148, v158 dst_sel:BYTE_1 dst_unused:UNUSED_PAD src0_sel:BYTE_1 src1_sel:BYTE_1
	v_sub_u16_sdwa v148, v148, v158 dst_sel:DWORD dst_unused:UNUSED_PAD src0_sel:WORD_1 src1_sel:WORD_1
	v_sub_u16_sdwa v150, v150, v158 dst_sel:BYTE_1 dst_unused:UNUSED_PAD src0_sel:DWORD src1_sel:BYTE_3
	v_bitop3_b16 v160, v160, v162, s8 bitop3:0xec
	v_bitop3_b16 v148, v148, v150, s8 bitop3:0xec
	v_lshlrev_b32_e32 v148, 16, v148
	v_or_b32_sdwa v158, v160, v148 dst_sel:DWORD dst_unused:UNUSED_PAD src0_sel:WORD_0 src1_sel:DWORD
	v_ashrrev_i32_e32 v148, s21, v159
	v_ashrrev_i32_e32 v159, s19, v161
	v_lshlrev_b32_e32 v159, 2, v159
	v_bfe_u32 v150, v148, 24, 2
	v_and_b32_e32 v148, 0x3030303, v148
	v_and_b32_e32 v159, 0x4040404, v159
	v_sub_u16_e32 v160, v148, v159
	v_sub_u16_sdwa v161, v148, v159 dst_sel:BYTE_1 dst_unused:UNUSED_PAD src0_sel:BYTE_1 src1_sel:BYTE_1
	v_sub_u16_sdwa v148, v148, v159 dst_sel:DWORD dst_unused:UNUSED_PAD src0_sel:WORD_1 src1_sel:WORD_1
	v_sub_u16_sdwa v150, v150, v159 dst_sel:BYTE_1 dst_unused:UNUSED_PAD src0_sel:DWORD src1_sel:BYTE_3
	v_bitop3_b16 v160, v160, v161, s8 bitop3:0xec
	v_bitop3_b16 v148, v148, v150, s8 bitop3:0xec
	v_lshlrev_b32_e32 v148, 16, v148
	v_or_b32_sdwa v159, v160, v148 dst_sel:DWORD dst_unused:UNUSED_PAD src0_sel:WORD_0 src1_sel:DWORD
	ds_read2_b32 v[160:161], v154 offset0:2 offset1:3
	ds_read2_b32 v[162:163], v152 offset0:2 offset1:3
	s_add_i32 s22, s22, s24
	s_lshl_b32 s24, s25, 2
	s_add_i32 s24, s24, 0x9380
	s_waitcnt lgkmcnt(1)
	v_ashrrev_i32_e32 v148, s21, v160
	s_waitcnt lgkmcnt(0)
	v_ashrrev_i32_e32 v160, s19, v162
	v_lshlrev_b32_e32 v160, 2, v160
	v_bfe_u32 v150, v148, 24, 2
	v_and_b32_e32 v148, 0x3030303, v148
	v_and_b32_e32 v160, 0x4040404, v160
	v_sub_u16_e32 v162, v148, v160
	v_sub_u16_sdwa v164, v148, v160 dst_sel:BYTE_1 dst_unused:UNUSED_PAD src0_sel:BYTE_1 src1_sel:BYTE_1
	v_sub_u16_sdwa v148, v148, v160 dst_sel:DWORD dst_unused:UNUSED_PAD src0_sel:WORD_1 src1_sel:WORD_1
	v_sub_u16_sdwa v150, v150, v160 dst_sel:BYTE_1 dst_unused:UNUSED_PAD src0_sel:DWORD src1_sel:BYTE_3
	v_bitop3_b16 v162, v162, v164, s8 bitop3:0xec
	v_bitop3_b16 v148, v148, v150, s8 bitop3:0xec
	v_lshlrev_b32_e32 v148, 16, v148
	v_or_b32_sdwa v160, v162, v148 dst_sel:DWORD dst_unused:UNUSED_PAD src0_sel:WORD_0 src1_sel:DWORD
	v_ashrrev_i32_e32 v148, s21, v161
	v_ashrrev_i32_e32 v161, s19, v163
	v_lshlrev_b32_e32 v161, 2, v161
	v_bfe_u32 v150, v148, 24, 2
	v_and_b32_e32 v148, 0x3030303, v148
	v_and_b32_e32 v161, 0x4040404, v161
	v_sub_u16_e32 v162, v148, v161
	v_sub_u16_sdwa v163, v148, v161 dst_sel:BYTE_1 dst_unused:UNUSED_PAD src0_sel:BYTE_1 src1_sel:BYTE_1
	v_sub_u16_sdwa v148, v148, v161 dst_sel:DWORD dst_unused:UNUSED_PAD src0_sel:WORD_1 src1_sel:WORD_1
	v_sub_u16_sdwa v150, v150, v161 dst_sel:BYTE_1 dst_unused:UNUSED_PAD src0_sel:DWORD src1_sel:BYTE_3
	v_bitop3_b16 v162, v162, v163, s8 bitop3:0xec
	v_bitop3_b16 v148, v148, v150, s8 bitop3:0xec
	v_lshlrev_b32_e32 v148, 16, v148
	v_or_b32_sdwa v161, v162, v148 dst_sel:DWORD dst_unused:UNUSED_PAD src0_sel:WORD_0 src1_sel:DWORD
	ds_read2_b32 v[162:163], v154 offset0:4 offset1:5
	ds_read2_b32 v[164:165], v152 offset0:4 offset1:5
	v_add3_u32 v169, s23, v149, v113
	ds_read2_b32 v[192:193], v169 offset1:1
	v_add3_u32 v208, s23, v153, v121
	s_waitcnt lgkmcnt(2)
	v_ashrrev_i32_e32 v148, s21, v162
	s_waitcnt lgkmcnt(1)
	v_ashrrev_i32_e32 v162, s19, v164
	v_lshlrev_b32_e32 v162, 2, v162
	v_bfe_u32 v150, v148, 24, 2
	v_and_b32_e32 v148, 0x3030303, v148
	v_and_b32_e32 v162, 0x4040404, v162
	v_sub_u16_e32 v164, v148, v162
	v_sub_u16_sdwa v166, v148, v162 dst_sel:BYTE_1 dst_unused:UNUSED_PAD src0_sel:BYTE_1 src1_sel:BYTE_1
	v_sub_u16_sdwa v148, v148, v162 dst_sel:DWORD dst_unused:UNUSED_PAD src0_sel:WORD_1 src1_sel:WORD_1
	v_sub_u16_sdwa v150, v150, v162 dst_sel:BYTE_1 dst_unused:UNUSED_PAD src0_sel:DWORD src1_sel:BYTE_3
	v_bitop3_b16 v164, v164, v166, s8 bitop3:0xec
	v_bitop3_b16 v148, v148, v150, s8 bitop3:0xec
	v_lshlrev_b32_e32 v148, 16, v148
	v_or_b32_sdwa v162, v164, v148 dst_sel:DWORD dst_unused:UNUSED_PAD src0_sel:WORD_0 src1_sel:DWORD
	v_ashrrev_i32_e32 v148, s21, v163
	v_ashrrev_i32_e32 v163, s19, v165
	v_lshlrev_b32_e32 v163, 2, v163
	v_bfe_u32 v150, v148, 24, 2
	v_and_b32_e32 v148, 0x3030303, v148
	v_and_b32_e32 v163, 0x4040404, v163
	v_sub_u16_e32 v164, v148, v163
	v_sub_u16_sdwa v165, v148, v163 dst_sel:BYTE_1 dst_unused:UNUSED_PAD src0_sel:BYTE_1 src1_sel:BYTE_1
	v_sub_u16_sdwa v148, v148, v163 dst_sel:DWORD dst_unused:UNUSED_PAD src0_sel:WORD_1 src1_sel:WORD_1
	v_sub_u16_sdwa v150, v150, v163 dst_sel:BYTE_1 dst_unused:UNUSED_PAD src0_sel:DWORD src1_sel:BYTE_3
	v_bitop3_b16 v164, v164, v165, s8 bitop3:0xec
	v_bitop3_b16 v148, v148, v150, s8 bitop3:0xec
	v_lshlrev_b32_e32 v148, 16, v148
	v_or_b32_sdwa v163, v164, v148 dst_sel:DWORD dst_unused:UNUSED_PAD src0_sel:WORD_0 src1_sel:DWORD
	ds_read2_b32 v[164:165], v154 offset0:6 offset1:7
	ds_read2_b32 v[166:167], v152 offset0:6 offset1:7
	;; [unrolled: 1-line block ×4, first 2 shown]
	v_mov_b32_e32 v168, 0
	s_waitcnt lgkmcnt(3)
	v_ashrrev_i32_e32 v148, s21, v164
	s_waitcnt lgkmcnt(2)
	v_ashrrev_i32_e32 v152, s19, v166
	v_lshlrev_b32_e32 v152, 2, v152
	v_bfe_u32 v150, v148, 24, 2
	v_and_b32_e32 v148, 0x3030303, v148
	v_and_b32_e32 v152, 0x4040404, v152
	v_sub_u16_e32 v164, v148, v152
	v_sub_u16_sdwa v166, v148, v152 dst_sel:BYTE_1 dst_unused:UNUSED_PAD src0_sel:BYTE_1 src1_sel:BYTE_1
	v_sub_u16_sdwa v148, v148, v152 dst_sel:DWORD dst_unused:UNUSED_PAD src0_sel:WORD_1 src1_sel:WORD_1
	v_sub_u16_sdwa v150, v150, v152 dst_sel:BYTE_1 dst_unused:UNUSED_PAD src0_sel:DWORD src1_sel:BYTE_3
	v_bitop3_b16 v164, v164, v166, s8 bitop3:0xec
	v_bitop3_b16 v148, v148, v150, s8 bitop3:0xec
	v_lshlrev_b32_e32 v148, 16, v148
	v_ashrrev_i32_e32 v152, s19, v167
	v_or_b32_sdwa v164, v164, v148 dst_sel:DWORD dst_unused:UNUSED_PAD src0_sel:WORD_0 src1_sel:DWORD
	v_ashrrev_i32_e32 v148, s21, v165
	v_lshlrev_b32_e32 v152, 2, v152
	v_bfe_u32 v150, v148, 24, 2
	v_and_b32_e32 v148, 0x3030303, v148
	v_and_b32_e32 v152, 0x4040404, v152
	v_sub_u16_e32 v165, v148, v152
	v_sub_u16_sdwa v166, v148, v152 dst_sel:BYTE_1 dst_unused:UNUSED_PAD src0_sel:BYTE_1 src1_sel:BYTE_1
	v_sub_u16_sdwa v148, v148, v152 dst_sel:DWORD dst_unused:UNUSED_PAD src0_sel:WORD_1 src1_sel:WORD_1
	v_sub_u16_sdwa v150, v150, v152 dst_sel:BYTE_1 dst_unused:UNUSED_PAD src0_sel:DWORD src1_sel:BYTE_3
	v_bitop3_b16 v165, v165, v166, s8 bitop3:0xec
	v_bitop3_b16 v148, v148, v150, s8 bitop3:0xec
	v_lshlrev_b32_e32 v148, 16, v148
	v_or_b32_sdwa v165, v165, v148 dst_sel:DWORD dst_unused:UNUSED_PAD src0_sel:WORD_0 src1_sel:DWORD
	v_add3_u32 v148, s24, v185, v186
	v_add_u32_e32 v150, 0x1080, v154
	ds_read_b32 v148, v148
	ds_read2_b32 v[170:171], v150 offset1:1
	ds_read2_b32 v[198:199], v169 offset0:6 offset1:7
	ds_read2_b32 v[202:203], v208 offset1:1
	v_mov_b32_e32 v167, 0
	v_mov_b32_e32 v216, 0
	s_waitcnt lgkmcnt(2)
	v_ashrrev_i32_e32 v150, s21, v170
	v_ashrrev_i32_e32 v170, s19, v192
	v_lshlrev_b32_e32 v170, 2, v170
	v_bfe_u32 v152, v150, 24, 2
	v_and_b32_e32 v150, 0x3030303, v150
	v_and_b32_e32 v170, 0x4040404, v170
	v_sub_u16_e32 v191, v150, v170
	v_sub_u16_sdwa v192, v150, v170 dst_sel:BYTE_1 dst_unused:UNUSED_PAD src0_sel:BYTE_1 src1_sel:BYTE_1
	v_sub_u16_sdwa v150, v150, v170 dst_sel:DWORD dst_unused:UNUSED_PAD src0_sel:WORD_1 src1_sel:WORD_1
	v_sub_u16_sdwa v152, v152, v170 dst_sel:BYTE_1 dst_unused:UNUSED_PAD src0_sel:DWORD src1_sel:BYTE_3
	v_bitop3_b16 v191, v191, v192, s8 bitop3:0xec
	v_bitop3_b16 v150, v150, v152, s8 bitop3:0xec
	v_lshlrev_b32_e32 v150, 16, v150
	v_ashrrev_i32_e32 v170, s19, v193
	v_or_b32_sdwa v191, v191, v150 dst_sel:DWORD dst_unused:UNUSED_PAD src0_sel:WORD_0 src1_sel:DWORD
	v_ashrrev_i32_e32 v150, s21, v171
	v_lshlrev_b32_e32 v170, 2, v170
	v_bfe_u32 v152, v150, 24, 2
	v_and_b32_e32 v150, 0x3030303, v150
	v_and_b32_e32 v170, 0x4040404, v170
	v_sub_u16_e32 v171, v150, v170
	v_sub_u16_sdwa v192, v150, v170 dst_sel:BYTE_1 dst_unused:UNUSED_PAD src0_sel:BYTE_1 src1_sel:BYTE_1
	v_sub_u16_sdwa v150, v150, v170 dst_sel:DWORD dst_unused:UNUSED_PAD src0_sel:WORD_1 src1_sel:WORD_1
	v_sub_u16_sdwa v152, v152, v170 dst_sel:BYTE_1 dst_unused:UNUSED_PAD src0_sel:DWORD src1_sel:BYTE_3
	v_bitop3_b16 v171, v171, v192, s8 bitop3:0xec
	v_bitop3_b16 v150, v150, v152, s8 bitop3:0xec
	v_lshlrev_b32_e32 v150, 16, v150
	v_or_b32_sdwa v192, v171, v150 dst_sel:DWORD dst_unused:UNUSED_PAD src0_sel:WORD_0 src1_sel:DWORD
	v_add_u32_e32 v150, 0x1088, v154
	ds_read2_b32 v[170:171], v150 offset1:1
	s_waitcnt lgkmcnt(2)
	v_ashrrev_i32_e32 v169, s19, v198
	v_lshlrev_b32_e32 v169, 2, v169
	v_and_b32_e32 v169, 0x4040404, v169
	v_mov_b32_e32 v221, 0
	s_waitcnt lgkmcnt(0)
	v_ashrrev_i32_e32 v150, s21, v170
	v_ashrrev_i32_e32 v170, s19, v194
	v_lshlrev_b32_e32 v170, 2, v170
	v_bfe_u32 v152, v150, 24, 2
	v_and_b32_e32 v150, 0x3030303, v150
	v_and_b32_e32 v170, 0x4040404, v170
	v_sub_u16_e32 v193, v150, v170
	v_sub_u16_sdwa v194, v150, v170 dst_sel:BYTE_1 dst_unused:UNUSED_PAD src0_sel:BYTE_1 src1_sel:BYTE_1
	v_sub_u16_sdwa v150, v150, v170 dst_sel:DWORD dst_unused:UNUSED_PAD src0_sel:WORD_1 src1_sel:WORD_1
	v_sub_u16_sdwa v152, v152, v170 dst_sel:BYTE_1 dst_unused:UNUSED_PAD src0_sel:DWORD src1_sel:BYTE_3
	v_bitop3_b16 v193, v193, v194, s8 bitop3:0xec
	v_bitop3_b16 v150, v150, v152, s8 bitop3:0xec
	v_lshlrev_b32_e32 v150, 16, v150
	v_ashrrev_i32_e32 v170, s19, v195
	v_or_b32_sdwa v193, v193, v150 dst_sel:DWORD dst_unused:UNUSED_PAD src0_sel:WORD_0 src1_sel:DWORD
	v_ashrrev_i32_e32 v150, s21, v171
	v_lshlrev_b32_e32 v170, 2, v170
	v_bfe_u32 v152, v150, 24, 2
	v_and_b32_e32 v150, 0x3030303, v150
	v_and_b32_e32 v170, 0x4040404, v170
	v_sub_u16_e32 v171, v150, v170
	v_sub_u16_sdwa v194, v150, v170 dst_sel:BYTE_1 dst_unused:UNUSED_PAD src0_sel:BYTE_1 src1_sel:BYTE_1
	v_sub_u16_sdwa v150, v150, v170 dst_sel:DWORD dst_unused:UNUSED_PAD src0_sel:WORD_1 src1_sel:WORD_1
	v_sub_u16_sdwa v152, v152, v170 dst_sel:BYTE_1 dst_unused:UNUSED_PAD src0_sel:DWORD src1_sel:BYTE_3
	v_bitop3_b16 v171, v171, v194, s8 bitop3:0xec
	v_bitop3_b16 v150, v150, v152, s8 bitop3:0xec
	v_lshlrev_b32_e32 v150, 16, v150
	v_or_b32_sdwa v194, v171, v150 dst_sel:DWORD dst_unused:UNUSED_PAD src0_sel:WORD_0 src1_sel:DWORD
	v_add_u32_e32 v150, 0x1090, v154
	ds_read2_b32 v[170:171], v150 offset1:1
	v_mov_b32_e32 v232, 0
	v_dot4c_i32_i8_e32 v167, v158, v36
	v_dot4c_i32_i8_e32 v168, v162, v32
	;; [unrolled: 1-line block ×3, first 2 shown]
	s_waitcnt lgkmcnt(0)
	v_ashrrev_i32_e32 v150, s21, v170
	v_ashrrev_i32_e32 v170, s19, v196
	v_lshlrev_b32_e32 v170, 2, v170
	v_bfe_u32 v152, v150, 24, 2
	v_and_b32_e32 v150, 0x3030303, v150
	v_and_b32_e32 v170, 0x4040404, v170
	v_sub_u16_e32 v195, v150, v170
	v_sub_u16_sdwa v196, v150, v170 dst_sel:BYTE_1 dst_unused:UNUSED_PAD src0_sel:BYTE_1 src1_sel:BYTE_1
	v_sub_u16_sdwa v150, v150, v170 dst_sel:DWORD dst_unused:UNUSED_PAD src0_sel:WORD_1 src1_sel:WORD_1
	v_sub_u16_sdwa v152, v152, v170 dst_sel:BYTE_1 dst_unused:UNUSED_PAD src0_sel:DWORD src1_sel:BYTE_3
	v_bitop3_b16 v195, v195, v196, s8 bitop3:0xec
	v_bitop3_b16 v150, v150, v152, s8 bitop3:0xec
	v_lshlrev_b32_e32 v150, 16, v150
	v_ashrrev_i32_e32 v170, s19, v197
	v_or_b32_sdwa v195, v195, v150 dst_sel:DWORD dst_unused:UNUSED_PAD src0_sel:WORD_0 src1_sel:DWORD
	v_ashrrev_i32_e32 v150, s21, v171
	v_lshlrev_b32_e32 v170, 2, v170
	v_bfe_u32 v152, v150, 24, 2
	v_and_b32_e32 v150, 0x3030303, v150
	v_and_b32_e32 v170, 0x4040404, v170
	v_sub_u16_e32 v171, v150, v170
	v_sub_u16_sdwa v196, v150, v170 dst_sel:BYTE_1 dst_unused:UNUSED_PAD src0_sel:BYTE_1 src1_sel:BYTE_1
	v_sub_u16_sdwa v150, v150, v170 dst_sel:DWORD dst_unused:UNUSED_PAD src0_sel:WORD_1 src1_sel:WORD_1
	v_sub_u16_sdwa v152, v152, v170 dst_sel:BYTE_1 dst_unused:UNUSED_PAD src0_sel:DWORD src1_sel:BYTE_3
	v_bitop3_b16 v171, v171, v196, s8 bitop3:0xec
	v_bitop3_b16 v150, v150, v152, s8 bitop3:0xec
	v_lshlrev_b32_e32 v150, 16, v150
	v_or_b32_sdwa v196, v171, v150 dst_sel:DWORD dst_unused:UNUSED_PAD src0_sel:WORD_0 src1_sel:DWORD
	v_add_u32_e32 v150, 0x1098, v154
	ds_read2_b32 v[170:171], v150 offset1:1
	v_dot4c_i32_i8_e32 v168, v163, v33
	v_dot4c_i32_i8_e32 v167, v160, v38
	;; [unrolled: 1-line block ×4, first 2 shown]
	s_waitcnt lgkmcnt(0)
	v_ashrrev_i32_e32 v150, s21, v170
	v_bfe_u32 v152, v150, 24, 2
	v_and_b32_e32 v150, 0x3030303, v150
	v_sub_u16_e32 v170, v150, v169
	v_sub_u16_sdwa v197, v150, v169 dst_sel:BYTE_1 dst_unused:UNUSED_PAD src0_sel:BYTE_1 src1_sel:BYTE_1
	v_sub_u16_sdwa v150, v150, v169 dst_sel:DWORD dst_unused:UNUSED_PAD src0_sel:WORD_1 src1_sel:WORD_1
	v_sub_u16_sdwa v152, v152, v169 dst_sel:BYTE_1 dst_unused:UNUSED_PAD src0_sel:DWORD src1_sel:BYTE_3
	v_bitop3_b16 v170, v170, v197, s8 bitop3:0xec
	v_bitop3_b16 v150, v150, v152, s8 bitop3:0xec
	v_lshlrev_b32_e32 v150, 16, v150
	v_ashrrev_i32_e32 v169, s19, v199
	v_or_b32_sdwa v197, v170, v150 dst_sel:DWORD dst_unused:UNUSED_PAD src0_sel:WORD_0 src1_sel:DWORD
	v_ashrrev_i32_e32 v150, s21, v171
	v_lshlrev_b32_e32 v169, 2, v169
	v_bfe_u32 v152, v150, 24, 2
	v_and_b32_e32 v150, 0x3030303, v150
	v_and_b32_e32 v169, 0x4040404, v169
	v_sub_u16_e32 v170, v150, v169
	v_sub_u16_sdwa v171, v150, v169 dst_sel:BYTE_1 dst_unused:UNUSED_PAD src0_sel:BYTE_1 src1_sel:BYTE_1
	v_sub_u16_sdwa v150, v150, v169 dst_sel:DWORD dst_unused:UNUSED_PAD src0_sel:WORD_1 src1_sel:WORD_1
	v_sub_u16_sdwa v152, v152, v169 dst_sel:BYTE_1 dst_unused:UNUSED_PAD src0_sel:DWORD src1_sel:BYTE_3
	v_bitop3_b16 v170, v170, v171, s8 bitop3:0xec
	v_bitop3_b16 v150, v150, v152, s8 bitop3:0xec
	v_lshlrev_b32_e32 v150, 16, v150
	v_or_b32_sdwa v198, v170, v150 dst_sel:DWORD dst_unused:UNUSED_PAD src0_sel:WORD_0 src1_sel:DWORD
	v_add3_u32 v150, s24, v151, v117
	v_add_u32_e32 v152, 0x2100, v154
	ds_read_b32 v150, v150
	ds_read2_b32 v[200:201], v152 offset1:1
	v_mov_b32_e32 v170, 0
	v_mov_b32_e32 v171, 0
	v_dot4c_i32_i8_e32 v170, v191, v36
	v_dot4c_i32_i8_e32 v171, v195, v32
	s_waitcnt lgkmcnt(0)
	v_ashrrev_i32_e32 v152, s21, v200
	v_ashrrev_i32_e32 v200, s19, v202
	v_lshlrev_b32_e32 v200, 2, v200
	v_bfe_u32 v199, v152, 24, 2
	v_and_b32_e32 v152, 0x3030303, v152
	v_and_b32_e32 v200, 0x4040404, v200
	v_sub_u16_e32 v202, v152, v200
	v_sub_u16_sdwa v204, v152, v200 dst_sel:BYTE_1 dst_unused:UNUSED_PAD src0_sel:BYTE_1 src1_sel:BYTE_1
	v_sub_u16_sdwa v152, v152, v200 dst_sel:DWORD dst_unused:UNUSED_PAD src0_sel:WORD_1 src1_sel:WORD_1
	v_sub_u16_sdwa v199, v199, v200 dst_sel:BYTE_1 dst_unused:UNUSED_PAD src0_sel:DWORD src1_sel:BYTE_3
	v_bitop3_b16 v202, v202, v204, s8 bitop3:0xec
	v_bitop3_b16 v152, v152, v199, s8 bitop3:0xec
	v_lshlrev_b32_e32 v152, 16, v152
	v_or_b32_sdwa v199, v202, v152 dst_sel:DWORD dst_unused:UNUSED_PAD src0_sel:WORD_0 src1_sel:DWORD
	v_ashrrev_i32_e32 v152, s21, v201
	v_ashrrev_i32_e32 v201, s19, v203
	v_lshlrev_b32_e32 v201, 2, v201
	v_bfe_u32 v200, v152, 24, 2
	v_and_b32_e32 v152, 0x3030303, v152
	v_and_b32_e32 v201, 0x4040404, v201
	v_sub_u16_e32 v202, v152, v201
	v_sub_u16_sdwa v203, v152, v201 dst_sel:BYTE_1 dst_unused:UNUSED_PAD src0_sel:BYTE_1 src1_sel:BYTE_1
	v_sub_u16_sdwa v152, v152, v201 dst_sel:DWORD dst_unused:UNUSED_PAD src0_sel:WORD_1 src1_sel:WORD_1
	v_sub_u16_sdwa v200, v200, v201 dst_sel:BYTE_1 dst_unused:UNUSED_PAD src0_sel:DWORD src1_sel:BYTE_3
	v_bitop3_b16 v202, v202, v203, s8 bitop3:0xec
	v_bitop3_b16 v152, v152, v200, s8 bitop3:0xec
	v_lshlrev_b32_e32 v152, 16, v152
	v_or_b32_sdwa v200, v202, v152 dst_sel:DWORD dst_unused:UNUSED_PAD src0_sel:WORD_0 src1_sel:DWORD
	v_add_u32_e32 v152, 0x2108, v154
	ds_read2_b32 v[202:203], v152 offset1:1
	ds_read2_b32 v[204:205], v208 offset0:2 offset1:3
	v_dot4c_i32_i8_e32 v216, v199, v36
	v_dot4c_i32_i8_e32 v170, v192, v37
	v_dot4c_i32_i8_e32 v171, v196, v33
	s_waitcnt lgkmcnt(1)
	v_ashrrev_i32_e32 v152, s21, v202
	s_waitcnt lgkmcnt(0)
	v_ashrrev_i32_e32 v202, s19, v204
	v_lshlrev_b32_e32 v202, 2, v202
	v_bfe_u32 v201, v152, 24, 2
	v_and_b32_e32 v152, 0x3030303, v152
	v_and_b32_e32 v202, 0x4040404, v202
	v_sub_u16_e32 v204, v152, v202
	v_sub_u16_sdwa v206, v152, v202 dst_sel:BYTE_1 dst_unused:UNUSED_PAD src0_sel:BYTE_1 src1_sel:BYTE_1
	v_sub_u16_sdwa v152, v152, v202 dst_sel:DWORD dst_unused:UNUSED_PAD src0_sel:WORD_1 src1_sel:WORD_1
	v_sub_u16_sdwa v201, v201, v202 dst_sel:BYTE_1 dst_unused:UNUSED_PAD src0_sel:DWORD src1_sel:BYTE_3
	v_bitop3_b16 v204, v204, v206, s8 bitop3:0xec
	v_bitop3_b16 v152, v152, v201, s8 bitop3:0xec
	v_lshlrev_b32_e32 v152, 16, v152
	v_or_b32_sdwa v201, v204, v152 dst_sel:DWORD dst_unused:UNUSED_PAD src0_sel:WORD_0 src1_sel:DWORD
	v_ashrrev_i32_e32 v152, s21, v203
	v_ashrrev_i32_e32 v203, s19, v205
	v_lshlrev_b32_e32 v203, 2, v203
	v_bfe_u32 v202, v152, 24, 2
	v_and_b32_e32 v152, 0x3030303, v152
	v_and_b32_e32 v203, 0x4040404, v203
	v_sub_u16_e32 v204, v152, v203
	v_sub_u16_sdwa v205, v152, v203 dst_sel:BYTE_1 dst_unused:UNUSED_PAD src0_sel:BYTE_1 src1_sel:BYTE_1
	v_sub_u16_sdwa v152, v152, v203 dst_sel:DWORD dst_unused:UNUSED_PAD src0_sel:WORD_1 src1_sel:WORD_1
	v_sub_u16_sdwa v202, v202, v203 dst_sel:BYTE_1 dst_unused:UNUSED_PAD src0_sel:DWORD src1_sel:BYTE_3
	v_bitop3_b16 v204, v204, v205, s8 bitop3:0xec
	v_bitop3_b16 v152, v152, v202, s8 bitop3:0xec
	v_lshlrev_b32_e32 v152, 16, v152
	v_or_b32_sdwa v202, v204, v152 dst_sel:DWORD dst_unused:UNUSED_PAD src0_sel:WORD_0 src1_sel:DWORD
	v_add_u32_e32 v152, 0x2110, v154
	ds_read2_b32 v[204:205], v152 offset1:1
	ds_read2_b32 v[206:207], v208 offset0:4 offset1:5
	v_dot4c_i32_i8_e32 v216, v200, v37
	v_dot4c_i32_i8_e32 v170, v193, v38
	v_dot4c_i32_i8_e32 v171, v197, v34
	s_waitcnt lgkmcnt(1)
	v_ashrrev_i32_e32 v152, s21, v204
	s_waitcnt lgkmcnt(0)
	;; [unrolled: 36-line block ×3, first 2 shown]
	v_ashrrev_i32_e32 v206, s19, v208
	v_lshlrev_b32_e32 v206, 2, v206
	v_bfe_u32 v205, v152, 24, 2
	v_and_b32_e32 v152, 0x3030303, v152
	v_and_b32_e32 v206, 0x4040404, v206
	v_sub_u16_e32 v208, v152, v206
	v_sub_u16_sdwa v210, v152, v206 dst_sel:BYTE_1 dst_unused:UNUSED_PAD src0_sel:BYTE_1 src1_sel:BYTE_1
	v_sub_u16_sdwa v152, v152, v206 dst_sel:DWORD dst_unused:UNUSED_PAD src0_sel:WORD_1 src1_sel:WORD_1
	v_sub_u16_sdwa v205, v205, v206 dst_sel:BYTE_1 dst_unused:UNUSED_PAD src0_sel:DWORD src1_sel:BYTE_3
	v_bitop3_b16 v208, v208, v210, s8 bitop3:0xec
	v_bitop3_b16 v152, v152, v205, s8 bitop3:0xec
	v_lshlrev_b32_e32 v152, 16, v152
	v_or_b32_sdwa v205, v208, v152 dst_sel:DWORD dst_unused:UNUSED_PAD src0_sel:WORD_0 src1_sel:DWORD
	v_ashrrev_i32_e32 v152, s21, v207
	v_ashrrev_i32_e32 v207, s19, v209
	v_lshlrev_b32_e32 v207, 2, v207
	v_bfe_u32 v206, v152, 24, 2
	v_and_b32_e32 v152, 0x3030303, v152
	v_and_b32_e32 v207, 0x4040404, v207
	v_sub_u16_e32 v208, v152, v207
	v_sub_u16_sdwa v209, v152, v207 dst_sel:BYTE_1 dst_unused:UNUSED_PAD src0_sel:BYTE_1 src1_sel:BYTE_1
	v_sub_u16_sdwa v152, v152, v207 dst_sel:DWORD dst_unused:UNUSED_PAD src0_sel:WORD_1 src1_sel:WORD_1
	v_sub_u16_sdwa v206, v206, v207 dst_sel:BYTE_1 dst_unused:UNUSED_PAD src0_sel:DWORD src1_sel:BYTE_3
	v_bitop3_b16 v208, v208, v209, s8 bitop3:0xec
	v_bitop3_b16 v152, v152, v206, s8 bitop3:0xec
	v_lshlrev_b32_e32 v152, 16, v152
	v_add_u32_e32 v207, 0x3180, v154
	v_or_b32_sdwa v206, v208, v152 dst_sel:DWORD dst_unused:UNUSED_PAD src0_sel:WORD_0 src1_sel:DWORD
	ds_read2_b32 v[208:209], v207 offset1:1
	ds_read2_b32 v[210:211], v214 offset1:1
	v_add3_u32 v152, s24, v155, v123
	ds_read_b32 v152, v152
	v_dot4c_i32_i8_e32 v221, v205, v34
	s_waitcnt lgkmcnt(2)
	v_ashrrev_i32_e32 v207, s21, v208
	s_waitcnt lgkmcnt(1)
	v_ashrrev_i32_e32 v210, s19, v210
	v_lshlrev_b32_e32 v210, 2, v210
	v_bfe_u32 v208, v207, 24, 2
	v_and_b32_e32 v207, 0x3030303, v207
	v_and_b32_e32 v210, 0x4040404, v210
	v_sub_u16_e32 v212, v207, v210
	v_sub_u16_sdwa v213, v207, v210 dst_sel:BYTE_1 dst_unused:UNUSED_PAD src0_sel:BYTE_1 src1_sel:BYTE_1
	v_sub_u16_sdwa v207, v207, v210 dst_sel:DWORD dst_unused:UNUSED_PAD src0_sel:WORD_1 src1_sel:WORD_1
	v_sub_u16_sdwa v208, v208, v210 dst_sel:BYTE_1 dst_unused:UNUSED_PAD src0_sel:DWORD src1_sel:BYTE_3
	v_ashrrev_i32_e32 v210, s19, v211
	v_bitop3_b16 v207, v207, v208, s8 bitop3:0xec
	v_ashrrev_i32_e32 v208, s21, v209
	v_lshlrev_b32_e32 v210, 2, v210
	v_bitop3_b16 v212, v212, v213, s8 bitop3:0xec
	v_lshlrev_b32_e32 v207, 16, v207
	v_bfe_u32 v209, v208, 24, 2
	v_and_b32_e32 v208, 0x3030303, v208
	v_and_b32_e32 v210, 0x4040404, v210
	v_or_b32_sdwa v207, v212, v207 dst_sel:DWORD dst_unused:UNUSED_PAD src0_sel:WORD_0 src1_sel:DWORD
	v_sub_u16_e32 v211, v208, v210
	v_sub_u16_sdwa v212, v208, v210 dst_sel:BYTE_1 dst_unused:UNUSED_PAD src0_sel:BYTE_1 src1_sel:BYTE_1
	v_sub_u16_sdwa v208, v208, v210 dst_sel:DWORD dst_unused:UNUSED_PAD src0_sel:WORD_1 src1_sel:WORD_1
	v_sub_u16_sdwa v209, v209, v210 dst_sel:BYTE_1 dst_unused:UNUSED_PAD src0_sel:DWORD src1_sel:BYTE_3
	v_bitop3_b16 v211, v211, v212, s8 bitop3:0xec
	v_bitop3_b16 v208, v208, v209, s8 bitop3:0xec
	v_lshlrev_b32_e32 v208, 16, v208
	v_add_u32_e32 v209, 0x3188, v154
	v_or_b32_sdwa v208, v211, v208 dst_sel:DWORD dst_unused:UNUSED_PAD src0_sel:WORD_0 src1_sel:DWORD
	ds_read2_b32 v[210:211], v209 offset1:1
	ds_read2_b32 v[212:213], v214 offset0:2 offset1:3
	v_dot4c_i32_i8_e32 v168, v165, v35
	v_dot4c_i32_i8_e32 v170, v194, v39
	;; [unrolled: 1-line block ×3, first 2 shown]
	s_waitcnt lgkmcnt(1)
	v_ashrrev_i32_e32 v209, s21, v210
	s_waitcnt lgkmcnt(0)
	v_ashrrev_i32_e32 v212, s19, v212
	v_lshlrev_b32_e32 v212, 2, v212
	v_bfe_u32 v210, v209, 24, 2
	v_and_b32_e32 v209, 0x3030303, v209
	v_and_b32_e32 v212, 0x4040404, v212
	v_sub_u16_e32 v217, v209, v212
	v_sub_u16_sdwa v218, v209, v212 dst_sel:BYTE_1 dst_unused:UNUSED_PAD src0_sel:BYTE_1 src1_sel:BYTE_1
	v_sub_u16_sdwa v209, v209, v212 dst_sel:DWORD dst_unused:UNUSED_PAD src0_sel:WORD_1 src1_sel:WORD_1
	v_sub_u16_sdwa v210, v210, v212 dst_sel:BYTE_1 dst_unused:UNUSED_PAD src0_sel:DWORD src1_sel:BYTE_3
	v_ashrrev_i32_e32 v212, s19, v213
	v_bitop3_b16 v209, v209, v210, s8 bitop3:0xec
	v_ashrrev_i32_e32 v210, s21, v211
	v_lshlrev_b32_e32 v212, 2, v212
	v_bitop3_b16 v217, v217, v218, s8 bitop3:0xec
	v_lshlrev_b32_e32 v209, 16, v209
	v_bfe_u32 v211, v210, 24, 2
	v_and_b32_e32 v210, 0x3030303, v210
	v_and_b32_e32 v212, 0x4040404, v212
	v_or_b32_sdwa v209, v217, v209 dst_sel:DWORD dst_unused:UNUSED_PAD src0_sel:WORD_0 src1_sel:DWORD
	v_sub_u16_e32 v213, v210, v212
	v_sub_u16_sdwa v217, v210, v212 dst_sel:BYTE_1 dst_unused:UNUSED_PAD src0_sel:BYTE_1 src1_sel:BYTE_1
	v_sub_u16_sdwa v210, v210, v212 dst_sel:DWORD dst_unused:UNUSED_PAD src0_sel:WORD_1 src1_sel:WORD_1
	v_sub_u16_sdwa v211, v211, v212 dst_sel:BYTE_1 dst_unused:UNUSED_PAD src0_sel:DWORD src1_sel:BYTE_3
	v_bitop3_b16 v213, v213, v217, s8 bitop3:0xec
	v_bitop3_b16 v210, v210, v211, s8 bitop3:0xec
	v_lshlrev_b32_e32 v210, 16, v210
	v_add_u32_e32 v211, 0x3190, v154
	v_or_b32_sdwa v210, v213, v210 dst_sel:DWORD dst_unused:UNUSED_PAD src0_sel:WORD_0 src1_sel:DWORD
	ds_read2_b32 v[212:213], v211 offset1:1
	ds_read2_b32 v[218:219], v214 offset0:4 offset1:5
	v_add_u32_e32 v154, 0x3198, v154
	v_ashrrev_i32_e32 v214, s19, v222
	v_lshlrev_b32_e32 v214, 2, v214
	s_waitcnt lgkmcnt(1)
	v_ashrrev_i32_e32 v211, s21, v212
	s_waitcnt lgkmcnt(0)
	v_ashrrev_i32_e32 v217, s19, v218
	v_lshlrev_b32_e32 v217, 2, v217
	v_bfe_u32 v212, v211, 24, 2
	v_and_b32_e32 v211, 0x3030303, v211
	v_and_b32_e32 v217, 0x4040404, v217
	v_sub_u16_e32 v218, v211, v217
	v_sub_u16_sdwa v220, v211, v217 dst_sel:BYTE_1 dst_unused:UNUSED_PAD src0_sel:BYTE_1 src1_sel:BYTE_1
	v_sub_u16_sdwa v211, v211, v217 dst_sel:DWORD dst_unused:UNUSED_PAD src0_sel:WORD_1 src1_sel:WORD_1
	v_sub_u16_sdwa v212, v212, v217 dst_sel:BYTE_1 dst_unused:UNUSED_PAD src0_sel:DWORD src1_sel:BYTE_3
	v_ashrrev_i32_e32 v217, s19, v219
	v_bitop3_b16 v211, v211, v212, s8 bitop3:0xec
	v_ashrrev_i32_e32 v212, s21, v213
	v_lshlrev_b32_e32 v217, 2, v217
	v_bitop3_b16 v218, v218, v220, s8 bitop3:0xec
	v_lshlrev_b32_e32 v211, 16, v211
	v_bfe_u32 v213, v212, 24, 2
	v_and_b32_e32 v212, 0x3030303, v212
	v_and_b32_e32 v217, 0x4040404, v217
	v_or_b32_sdwa v211, v218, v211 dst_sel:DWORD dst_unused:UNUSED_PAD src0_sel:WORD_0 src1_sel:DWORD
	v_sub_u16_e32 v218, v212, v217
	v_sub_u16_sdwa v219, v212, v217 dst_sel:BYTE_1 dst_unused:UNUSED_PAD src0_sel:BYTE_1 src1_sel:BYTE_1
	v_sub_u16_sdwa v212, v212, v217 dst_sel:DWORD dst_unused:UNUSED_PAD src0_sel:WORD_1 src1_sel:WORD_1
	v_sub_u16_sdwa v213, v213, v217 dst_sel:BYTE_1 dst_unused:UNUSED_PAD src0_sel:DWORD src1_sel:BYTE_3
	v_bitop3_b16 v218, v218, v219, s8 bitop3:0xec
	v_bitop3_b16 v212, v212, v213, s8 bitop3:0xec
	v_lshlrev_b32_e32 v212, 16, v212
	v_or_b32_sdwa v212, v218, v212 dst_sel:DWORD dst_unused:UNUSED_PAD src0_sel:WORD_0 src1_sel:DWORD
	ds_read2_b32 v[218:219], v154 offset1:1
	v_and_b32_e32 v214, 0x4040404, v214
	v_dot4c_i32_i8_e32 v232, v211, v32
	v_dot4c_i32_i8_e32 v232, v212, v33
	;; [unrolled: 1-line block ×3, first 2 shown]
	s_waitcnt lgkmcnt(0)
	v_ashrrev_i32_e32 v154, s21, v218
	v_bfe_u32 v213, v154, 24, 2
	v_and_b32_e32 v154, 0x3030303, v154
	v_sub_u16_e32 v217, v154, v214
	v_sub_u16_sdwa v218, v154, v214 dst_sel:BYTE_1 dst_unused:UNUSED_PAD src0_sel:BYTE_1 src1_sel:BYTE_1
	v_sub_u16_sdwa v154, v154, v214 dst_sel:DWORD dst_unused:UNUSED_PAD src0_sel:WORD_1 src1_sel:WORD_1
	v_sub_u16_sdwa v213, v213, v214 dst_sel:BYTE_1 dst_unused:UNUSED_PAD src0_sel:DWORD src1_sel:BYTE_3
	v_bitop3_b16 v217, v217, v218, s8 bitop3:0xec
	v_bitop3_b16 v154, v154, v213, s8 bitop3:0xec
	v_lshlrev_b32_e32 v154, 16, v154
	v_or_b32_sdwa v213, v217, v154 dst_sel:DWORD dst_unused:UNUSED_PAD src0_sel:WORD_0 src1_sel:DWORD
	v_ashrrev_i32_e32 v217, s19, v223
	v_ashrrev_i32_e32 v154, s21, v219
	v_lshlrev_b32_e32 v217, 2, v217
	v_bfe_u32 v214, v154, 24, 2
	v_and_b32_e32 v154, 0x3030303, v154
	v_and_b32_e32 v217, 0x4040404, v217
	v_sub_u16_e32 v218, v154, v217
	v_sub_u16_sdwa v219, v154, v217 dst_sel:BYTE_1 dst_unused:UNUSED_PAD src0_sel:BYTE_1 src1_sel:BYTE_1
	v_sub_u16_sdwa v154, v154, v217 dst_sel:DWORD dst_unused:UNUSED_PAD src0_sel:WORD_1 src1_sel:WORD_1
	v_sub_u16_sdwa v214, v214, v217 dst_sel:BYTE_1 dst_unused:UNUSED_PAD src0_sel:DWORD src1_sel:BYTE_3
	v_mov_b32_e32 v223, 0
	v_bitop3_b16 v154, v154, v214, s8 bitop3:0xec
	v_dot4c_i32_i8_e32 v223, v207, v36
	v_bitop3_b16 v218, v218, v219, s8 bitop3:0xec
	v_lshlrev_b32_e32 v154, 16, v154
	v_dot4c_i32_i8_e32 v223, v208, v37
	v_or_b32_sdwa v214, v218, v154 dst_sel:DWORD dst_unused:UNUSED_PAD src0_sel:WORD_0 src1_sel:DWORD
	v_add3_u32 v154, s24, v173, v129
	v_dot4c_i32_i8_e32 v223, v209, v38
	v_dot4c_i32_i8_e32 v232, v213, v34
	;; [unrolled: 1-line block ×3, first 2 shown]
	ds_read_b32 v154, v154
	v_dot4c_i32_i8_e32 v223, v210, v39
	v_dot4c_i32_i8_e32 v232, v214, v35
	ds_read_b128 v[32:35], v189 offset:1024
	ds_read_b128 v[36:39], v189 offset:1040
	v_mov_b32_e32 v217, 0
	v_mov_b32_e32 v228, 0
	v_mov_b32_e32 v238, 0
	v_mov_b32_e32 v239, 0
	v_mov_b32_e32 v240, 0
	v_mov_b32_e32 v241, 0
	v_mov_b32_e32 v242, 0
	v_mov_b32_e32 v243, 0
	s_waitcnt lgkmcnt(1)
	v_dot4c_i32_i8_e32 v217, v158, v32
	s_waitcnt lgkmcnt(0)
	v_dot4c_i32_i8_e32 v228, v162, v36
	v_dot4c_i32_i8_e32 v238, v191, v32
	;; [unrolled: 1-line block ×31, first 2 shown]
	ds_read2_b32 v[218:219], v190 offset0:64 offset1:96
	ds_read_b128 v[32:35], v189 offset:2048
	ds_read_b128 v[36:39], v189 offset:2064
	v_mov_b32_e32 v225, 0
	v_mov_b32_e32 v224, 0
	v_mov_b32_e32 v244, 0
	v_mov_b32_e32 v245, 0
	v_mov_b32_e32 v246, 0
	v_mov_b32_e32 v247, 0
	v_mov_b32_e32 v248, 0
	v_mov_b32_e32 v249, 0
	s_waitcnt lgkmcnt(1)
	v_dot4c_i32_i8_e32 v225, v158, v32
	s_waitcnt lgkmcnt(0)
	v_dot4c_i32_i8_e32 v224, v162, v36
	v_dot4c_i32_i8_e32 v244, v191, v32
	v_dot4c_i32_i8_e32 v245, v195, v36
	v_dot4c_i32_i8_e32 v246, v199, v32
	v_dot4c_i32_i8_e32 v247, v203, v36
	v_dot4c_i32_i8_e32 v248, v207, v32
	v_dot4c_i32_i8_e32 v249, v211, v36
	v_dot4c_i32_i8_e32 v225, v159, v33
	v_dot4c_i32_i8_e32 v224, v163, v37
	v_dot4c_i32_i8_e32 v244, v192, v33
	v_dot4c_i32_i8_e32 v245, v196, v37
	v_dot4c_i32_i8_e32 v246, v200, v33
	v_dot4c_i32_i8_e32 v247, v204, v37
	v_dot4c_i32_i8_e32 v248, v208, v33
	v_dot4c_i32_i8_e32 v249, v212, v37
	v_add_u32_e32 v166, s22, v55
	v_dot4c_i32_i8_e32 v225, v160, v34
	v_dot4c_i32_i8_e32 v224, v164, v38
	v_dot4c_i32_i8_e32 v244, v193, v34
	v_dot4c_i32_i8_e32 v245, v197, v38
	v_dot4c_i32_i8_e32 v246, v201, v34
	v_dot4c_i32_i8_e32 v247, v205, v38
	v_dot4c_i32_i8_e32 v248, v209, v34
	v_dot4c_i32_i8_e32 v249, v213, v38
	v_dot4c_i32_i8_e32 v225, v161, v35
	v_dot4c_i32_i8_e32 v224, v165, v39
	v_dot4c_i32_i8_e32 v244, v194, v35
	v_dot4c_i32_i8_e32 v245, v198, v39
	v_dot4c_i32_i8_e32 v246, v202, v35
	v_dot4c_i32_i8_e32 v247, v206, v39
	v_dot4c_i32_i8_e32 v248, v210, v35
	v_dot4c_i32_i8_e32 v249, v214, v39
	ds_read_b128 v[32:35], v189 offset:3072
	ds_read_b128 v[36:39], v189 offset:3088
	ds_read_u16 v166, v166 offset:33522
	v_add_u32_e32 v169, s22, v57
	v_add_u32_e32 v215, s22, v59
	;; [unrolled: 1-line block ×3, first 2 shown]
	v_mov_b32_e32 v226, 0
	s_waitcnt lgkmcnt(0)
	v_lshrrev_b16_e32 v220, 8, v166
	v_bfe_i32 v166, v166, 0, 8
	v_bfe_i32 v233, v220, 0, 8
	v_mul_lo_u32 v168, v168, v233
	v_mul_lo_u32 v220, v217, v166
	v_mad_u64_u32 v[228:229], s[22:23], v228, v233, v[220:221]
	v_mad_u64_u32 v[230:231], s[22:23], v167, v166, v[168:169]
	v_dot4c_i32_i8_e32 v226, v158, v32
	v_mov_b32_e32 v227, 0
	v_cvt_f32_i32_e32 v229, v230
	v_cvt_f32_i32_e32 v228, v228
	v_dot4c_i32_i8_e32 v226, v159, v33
	v_dot4c_i32_i8_e32 v227, v162, v36
	;; [unrolled: 1-line block ×4, first 2 shown]
	v_mov_b32_e32 v234, v157
	v_mov_b32_e32 v235, v156
	v_dot4c_i32_i8_e32 v226, v161, v35
	v_dot4c_i32_i8_e32 v227, v164, v38
	v_pk_mul_f32 v[156:157], v[148:149], v[234:235] op_sel_hi:[0,1]
	v_dot4c_i32_i8_e32 v227, v165, v39
	v_mul_lo_u32 v224, v224, v233
	v_mul_lo_u32 v226, v226, v166
	v_pk_fma_f32 v[16:17], v[156:157], v[228:229], v[16:17]
	ds_read_u16 v156, v169 offset:34546
	v_mad_u64_u32 v[226:227], s[22:23], v227, v233, v[226:227]
	v_mad_u64_u32 v[224:225], s[22:23], v225, v166, v[224:225]
	v_cvt_f32_i32_e32 v225, v224
	v_cvt_f32_i32_e32 v224, v226
	v_mov_b32_e32 v157, 0
	v_dot4c_i32_i8_e32 v157, v191, v32
	v_mov_b32_e32 v236, v219
	v_mov_b32_e32 v237, v218
	v_dot4c_i32_i8_e32 v157, v192, v33
	v_pk_mul_f32 v[218:219], v[148:149], v[236:237] op_sel_hi:[0,1]
	v_dot4c_i32_i8_e32 v157, v193, v34
	s_waitcnt lgkmcnt(0)
	v_lshrrev_b16_e32 v168, 8, v156
	v_pk_fma_f32 v[18:19], v[218:219], v[224:225], v[18:19]
	v_dot4c_i32_i8_e32 v157, v194, v35
	v_bfe_i32 v219, v156, 0, 8
	v_bfe_i32 v220, v168, 0, 8
	v_mul_lo_u32 v156, v171, v220
	v_mul_lo_u32 v168, v238, v219
	;; [unrolled: 1-line block ×3, first 2 shown]
                                        ; kill: def $vgpr157 killed $sgpr0 killed $exec
	v_mov_b32_e32 v167, 0
	v_mad_u64_u32 v[168:169], s[22:23], v239, v220, v[168:169]
	v_mad_u64_u32 v[156:157], s[22:23], v170, v219, v[156:157]
	v_dot4c_i32_i8_e32 v167, v195, v36
	v_cvt_f32_i32_e32 v157, v156
	v_cvt_f32_i32_e32 v156, v168
	v_dot4c_i32_i8_e32 v167, v196, v37
	v_dot4c_i32_i8_e32 v167, v197, v38
	;; [unrolled: 1-line block ×3, first 2 shown]
	v_mul_lo_u32 v218, v245, v220
	v_pk_mul_f32 v[170:171], v[150:151], v[234:235] op_sel_hi:[0,1]
	v_mad_u64_u32 v[226:227], s[22:23], v244, v219, v[218:219]
	v_mad_u64_u32 v[224:225], s[22:23], v167, v220, v[224:225]
	v_pk_fma_f32 v[28:29], v[170:171], v[156:157], v[28:29]
	ds_read_u16 v156, v215 offset:35570
	v_cvt_f32_i32_e32 v169, v226
	v_cvt_f32_i32_e32 v168, v224
	v_mov_b32_e32 v157, 0
	v_dot4c_i32_i8_e32 v157, v199, v32
	v_pk_mul_f32 v[228:229], v[150:151], v[236:237] op_sel_hi:[0,1]
	v_dot4c_i32_i8_e32 v157, v200, v33
	v_pk_fma_f32 v[30:31], v[228:229], v[168:169], v[30:31]
	v_dot4c_i32_i8_e32 v157, v201, v34
	s_waitcnt lgkmcnt(0)
	v_lshrrev_b16_e32 v168, 8, v156
	v_dot4c_i32_i8_e32 v157, v202, v35
	v_bfe_i32 v217, v156, 0, 8
	v_bfe_i32 v218, v168, 0, 8
	v_mul_lo_u32 v156, v221, v218
	v_mul_lo_u32 v168, v240, v217
	v_mul_lo_u32 v224, v157, v217
                                        ; kill: def $vgpr157 killed $sgpr0 killed $exec
	v_mad_u64_u32 v[168:169], s[22:23], v241, v218, v[168:169]
	v_mad_u64_u32 v[156:157], s[22:23], v216, v217, v[156:157]
	v_cvt_f32_i32_e32 v157, v156
	v_cvt_f32_i32_e32 v156, v168
	v_pk_mul_f32 v[226:227], v[152:153], v[234:235] op_sel_hi:[0,1]
	v_mov_b32_e32 v167, 0
	v_dot4c_i32_i8_e32 v167, v203, v36
	v_pk_fma_f32 v[24:25], v[226:227], v[156:157], v[24:25]
	v_mov_b32_e32 v156, 0
	v_dot4c_i32_i8_e32 v156, v207, v32
	ds_read_u16 v32, v222 offset:36594
	v_dot4c_i32_i8_e32 v156, v208, v33
	v_mov_b32_e32 v33, 0
	v_dot4c_i32_i8_e32 v33, v211, v36
	v_dot4c_i32_i8_e32 v167, v204, v37
	;; [unrolled: 1-line block ×7, first 2 shown]
	s_waitcnt lgkmcnt(0)
	v_lshrrev_b16_e32 v34, 8, v32
	v_bfe_i32 v215, v32, 0, 8
	v_dot4c_i32_i8_e32 v167, v206, v39
	v_mul_lo_u32 v170, v247, v218
	v_dot4c_i32_i8_e32 v33, v214, v39
	v_bfe_i32 v216, v34, 0, 8
	v_mul_lo_u32 v38, v156, v215
	v_mad_u64_u32 v[224:225], s[22:23], v167, v218, v[224:225]
	v_mad_u64_u32 v[170:171], s[22:23], v246, v217, v[170:171]
	v_mul_lo_u32 v32, v232, v216
	v_mul_lo_u32 v34, v242, v215
	v_mul_lo_u32 v36, v249, v216
                                        ; kill: def $vgpr35 killed $sgpr0 killed $exec
	v_mad_u64_u32 v[38:39], s[22:23], v33, v216, v[38:39]
                                        ; kill: def $vgpr33 killed $sgpr0 killed $exec
	v_cvt_f32_i32_e32 v169, v170
	v_cvt_f32_i32_e32 v168, v224
	v_mad_u64_u32 v[36:37], s[22:23], v248, v215, v[36:37]
	v_mad_u64_u32 v[34:35], s[22:23], v243, v216, v[34:35]
	;; [unrolled: 1-line block ×3, first 2 shown]
	v_cvt_f32_i32_e32 v33, v32
	v_cvt_f32_i32_e32 v32, v34
	;; [unrolled: 1-line block ×4, first 2 shown]
	v_pk_mul_f32 v[228:229], v[152:153], v[236:237] op_sel_hi:[0,1]
	v_pk_fma_f32 v[26:27], v[228:229], v[168:169], v[26:27]
	v_pk_mul_f32 v[156:157], v[154:155], v[234:235] op_sel_hi:[0,1]
	v_pk_mul_f32 v[168:169], v[154:155], v[236:237] op_sel_hi:[0,1]
	v_pk_fma_f32 v[22:23], v[168:169], v[34:35], v[22:23]
	v_pk_fma_f32 v[20:21], v[156:157], v[32:33], v[20:21]
	ds_read2_b32 v[156:157], v190 offset0:128 offset1:160
	ds_read_b128 v[32:35], v189 offset:4096
	ds_read_b128 v[36:39], v189 offset:4112
	v_mov_b32_e32 v167, 0
	v_mov_b32_e32 v170, 0
	;; [unrolled: 1-line block ×8, first 2 shown]
	s_waitcnt lgkmcnt(1)
	v_dot4c_i32_i8_e32 v167, v158, v32
	s_waitcnt lgkmcnt(0)
	v_dot4c_i32_i8_e32 v170, v162, v36
	v_dot4c_i32_i8_e32 v229, v191, v32
	;; [unrolled: 1-line block ×31, first 2 shown]
	ds_read_b128 v[32:35], v189 offset:5120
	ds_read_b128 v[36:39], v189 offset:5136
	v_mov_b32_e32 v171, 0
	v_mov_b32_e32 v240, 0
	;; [unrolled: 1-line block ×8, first 2 shown]
	s_waitcnt lgkmcnt(1)
	v_dot4c_i32_i8_e32 v171, v158, v32
	s_waitcnt lgkmcnt(0)
	v_dot4c_i32_i8_e32 v240, v162, v36
	v_dot4c_i32_i8_e32 v232, v191, v32
	;; [unrolled: 1-line block ×31, first 2 shown]
	ds_read2_b32 v[168:169], v190 offset0:192 offset1:224
	ds_read_b128 v[32:35], v189 offset:6144
	ds_read_b128 v[36:39], v189 offset:6160
	v_mov_b32_e32 v241, 0
	v_mov_b32_e32 v242, 0
	;; [unrolled: 1-line block ×8, first 2 shown]
	s_waitcnt lgkmcnt(1)
	v_dot4c_i32_i8_e32 v241, v158, v32
	s_waitcnt lgkmcnt(0)
	v_dot4c_i32_i8_e32 v242, v162, v36
	v_dot4c_i32_i8_e32 v238, v191, v32
	v_dot4c_i32_i8_e32 v239, v195, v36
	v_dot4c_i32_i8_e32 v236, v199, v32
	v_dot4c_i32_i8_e32 v237, v203, v36
	v_dot4c_i32_i8_e32 v234, v207, v32
	v_dot4c_i32_i8_e32 v235, v211, v36
	v_dot4c_i32_i8_e32 v241, v159, v33
	v_dot4c_i32_i8_e32 v242, v163, v37
	v_dot4c_i32_i8_e32 v238, v192, v33
	v_dot4c_i32_i8_e32 v239, v196, v37
	v_dot4c_i32_i8_e32 v236, v200, v33
	v_dot4c_i32_i8_e32 v237, v204, v37
	v_dot4c_i32_i8_e32 v234, v208, v33
	v_dot4c_i32_i8_e32 v235, v212, v37
	v_dot4c_i32_i8_e32 v241, v160, v34
	v_dot4c_i32_i8_e32 v242, v164, v38
	v_dot4c_i32_i8_e32 v238, v193, v34
	v_dot4c_i32_i8_e32 v239, v197, v38
	v_dot4c_i32_i8_e32 v236, v201, v34
	v_dot4c_i32_i8_e32 v237, v205, v38
	v_dot4c_i32_i8_e32 v234, v209, v34
	v_dot4c_i32_i8_e32 v235, v213, v38
	v_dot4c_i32_i8_e32 v241, v161, v35
	v_dot4c_i32_i8_e32 v242, v165, v39
	v_dot4c_i32_i8_e32 v238, v194, v35
	v_dot4c_i32_i8_e32 v239, v198, v39
	v_dot4c_i32_i8_e32 v236, v202, v35
	v_dot4c_i32_i8_e32 v237, v206, v39
	v_dot4c_i32_i8_e32 v234, v210, v35
	v_dot4c_i32_i8_e32 v235, v214, v39
	ds_read_b128 v[36:39], v189 offset:7168
	ds_read_b128 v[32:35], v189 offset:7184
	v_mov_b32_e32 v243, 0
	s_add_i32 s18, s18, 2
	s_add_i32 s19, s19, 1
	s_waitcnt lgkmcnt(1)
	v_dot4c_i32_i8_e32 v243, v158, v36
	v_dot4c_i32_i8_e32 v243, v159, v37
	v_mov_b32_e32 v159, 0
	s_waitcnt lgkmcnt(0)
	v_dot4c_i32_i8_e32 v159, v162, v32
	v_dot4c_i32_i8_e32 v243, v160, v38
	;; [unrolled: 1-line block ×6, first 2 shown]
	v_mul_lo_u32 v160, v242, v233
	v_mul_lo_u32 v158, v243, v166
                                        ; kill: def $vgpr161 killed $sgpr0 killed $exec
	v_mul_lo_u32 v164, v170, v233
	v_mad_u64_u32 v[158:159], s[22:23], v159, v233, v[158:159]
	v_mad_u64_u32 v[160:161], s[22:23], v241, v166, v[160:161]
	v_cvt_f32_i32_e32 v159, v160
	v_cvt_f32_i32_e32 v158, v158
	v_mul_lo_u32 v162, v171, v166
	v_mad_u64_u32 v[164:165], s[22:23], v167, v166, v[164:165]
	v_mov_b32_e32 v166, v157
	v_mov_b32_e32 v167, v156
	;; [unrolled: 1-line block ×4, first 2 shown]
	v_pk_mul_f32 v[168:169], v[148:149], v[156:157] op_sel_hi:[0,1]
	v_mad_u64_u32 v[162:163], s[22:23], v240, v233, v[162:163]
	v_pk_fma_f32 v[14:15], v[168:169], v[158:159], v[14:15]
	v_mov_b32_e32 v159, 0
	v_cvt_f32_i32_e32 v163, v164
	v_cvt_f32_i32_e32 v162, v162
	v_dot4c_i32_i8_e32 v159, v191, v36
	v_dot4c_i32_i8_e32 v159, v192, v37
	v_mov_b32_e32 v161, 0
	v_dot4c_i32_i8_e32 v159, v193, v38
	v_dot4c_i32_i8_e32 v161, v195, v32
	v_pk_mul_f32 v[170:171], v[148:149], v[166:167] op_sel_hi:[0,1]
	v_dot4c_i32_i8_e32 v159, v194, v39
	v_dot4c_i32_i8_e32 v161, v196, v33
	v_pk_fma_f32 v[12:13], v[170:171], v[162:163], v[12:13]
	v_dot4c_i32_i8_e32 v161, v197, v34
	v_mul_lo_u32 v148, v230, v220
	v_mul_lo_u32 v158, v232, v219
	;; [unrolled: 1-line block ×3, first 2 shown]
                                        ; kill: def $vgpr159 killed $sgpr0 killed $exec
	v_dot4c_i32_i8_e32 v161, v198, v35
	v_mul_lo_u32 v160, v239, v220
	v_mad_u64_u32 v[158:159], s[22:23], v231, v220, v[158:159]
	v_mad_u64_u32 v[164:165], s[22:23], v229, v219, v[148:149]
	v_mad_u64_u32 v[162:163], s[22:23], v161, v220, v[162:163]
	v_mad_u64_u32 v[160:161], s[22:23], v238, v219, v[160:161]
	v_cvt_f32_i32_e32 v159, v164
	v_cvt_f32_i32_e32 v158, v158
	;; [unrolled: 1-line block ×4, first 2 shown]
	v_pk_mul_f32 v[168:169], v[150:151], v[166:167] op_sel_hi:[0,1]
	v_mul_lo_u32 v148, v226, v218
	v_pk_mul_f32 v[170:171], v[150:151], v[156:157] op_sel_hi:[0,1]
	v_pk_fma_f32 v[8:9], v[168:169], v[158:159], v[8:9]
	v_mov_b32_e32 v159, 0
	v_mad_u64_u32 v[164:165], s[22:23], v225, v217, v[148:149]
	v_mov_b32_e32 v148, 0
	v_pk_fma_f32 v[10:11], v[170:171], v[160:161], v[10:11]
	v_dot4c_i32_i8_e32 v159, v199, v36
	v_mov_b32_e32 v161, 0
	v_dot4c_i32_i8_e32 v148, v207, v36
	v_dot4c_i32_i8_e32 v159, v200, v37
	;; [unrolled: 1-line block ×4, first 2 shown]
	v_mov_b32_e32 v37, 0
	v_dot4c_i32_i8_e32 v159, v201, v38
	v_dot4c_i32_i8_e32 v161, v204, v33
	;; [unrolled: 1-line block ×8, first 2 shown]
	v_mul_lo_u32 v158, v237, v218
	v_mul_lo_u32 v160, v159, v217
                                        ; kill: def $vgpr159 killed $sgpr0 killed $exec
	v_dot4c_i32_i8_e32 v148, v210, v39
	v_dot4c_i32_i8_e32 v37, v213, v34
	v_mul_lo_u32 v150, v228, v217
	v_mad_u64_u32 v[160:161], s[22:23], v161, v218, v[160:161]
	v_mad_u64_u32 v[158:159], s[22:23], v236, v217, v[158:159]
	v_dot4c_i32_i8_e32 v37, v214, v35
	v_mul_lo_u32 v32, v222, v216
	v_mul_lo_u32 v34, v224, v215
	;; [unrolled: 1-line block ×4, first 2 shown]
                                        ; kill: def $vgpr33 killed $sgpr0 killed $exec
	v_mad_u64_u32 v[162:163], s[22:23], v227, v218, v[150:151]
	v_cvt_f32_i32_e32 v159, v158
	v_cvt_f32_i32_e32 v158, v160
	v_mad_u64_u32 v[38:39], s[22:23], v37, v216, v[38:39]
	v_mad_u64_u32 v[36:37], s[22:23], v234, v215, v[36:37]
	;; [unrolled: 1-line block ×4, first 2 shown]
	v_cvt_f32_i32_e32 v163, v164
	v_cvt_f32_i32_e32 v162, v162
	;; [unrolled: 1-line block ×6, first 2 shown]
	v_pk_mul_f32 v[170:171], v[152:153], v[156:157] op_sel_hi:[0,1]
	v_pk_mul_f32 v[168:169], v[152:153], v[166:167] op_sel_hi:[0,1]
	v_pk_fma_f32 v[6:7], v[170:171], v[158:159], v[6:7]
	v_pk_mul_f32 v[158:159], v[154:155], v[166:167] op_sel_hi:[0,1]
	v_pk_mul_f32 v[156:157], v[154:155], v[156:157] op_sel_hi:[0,1]
	v_pk_fma_f32 v[4:5], v[168:169], v[162:163], v[4:5]
	v_pk_fma_f32 v[2:3], v[156:157], v[34:35], v[2:3]
	;; [unrolled: 1-line block ×3, first 2 shown]
	v_add_u32_e32 v190, 4, v190
	v_add_u32_e32 v189, 32, v189
	s_cmp_lt_u32 s20, 22
	s_mov_b32 s22, s20
	s_cbranch_scc1 .LBB130_12
; %bb.13:                               ;   in Loop: Header=BB130_6 Depth=1
	v_add_u32_e32 v148, s17, v131
	v_add_u32_e32 v150, v148, v97
	v_mad_i64_i32 v[156:157], s[18:19], v150, 36, v[84:85]
	v_add_u32_e32 v150, v148, v99
	v_add_u32_e32 v32, v148, v89
	;; [unrolled: 1-line block ×5, first 2 shown]
	v_mad_i64_i32 v[158:159], s[18:19], v150, 36, v[84:85]
	v_add_u32_e32 v150, v148, v101
	v_add_u32_e32 v148, v148, v103
	v_mad_i64_i32 v[162:163], s[18:19], v148, 36, v[84:85]
	v_add_u32_e32 v148, 12, v187
	v_mad_i64_i32 v[32:33], s[18:19], v32, 36, v[84:85]
	v_mad_i64_i32 v[34:35], s[18:19], v34, 36, v[84:85]
	;; [unrolled: 1-line block ×4, first 2 shown]
	v_mad_u64_u32 v[164:165], s[18:19], v148, 36, s[2:3]
	s_barrier
	v_mad_i64_i32 v[160:161], s[18:19], v150, 36, v[84:85]
	global_load_dword v148, v[164:165], off
	s_nop 0
	global_load_dword v32, v[32:33], off offset:4
	s_nop 0
	global_load_dword v33, v[34:35], off offset:4
	;; [unrolled: 2-line block ×3, first 2 shown]
	global_load_dword v35, v[38:39], off offset:4
	s_nop 0
	global_load_dword v36, v[156:157], off offset:4
	global_load_dword v37, v[158:159], off offset:4
	;; [unrolled: 1-line block ×4, first 2 shown]
	s_mov_b32 s17, 24
	s_mov_b32 s21, 22
	;; [unrolled: 1-line block ×3, first 2 shown]
	v_mov_b32_e32 v187, v183
	s_waitcnt vmcnt(8)
	v_cvt_f32_f16_e32 v148, v148
	s_waitcnt vmcnt(7)
	ds_write_b32 v188, v32
	s_waitcnt vmcnt(6)
	ds_write_b32 v135, v33
	;; [unrolled: 2-line block ×8, first 2 shown]
	ds_write_b32 v87, v148
	v_mov_b32_e32 v188, v133
	s_waitcnt lgkmcnt(0)
	s_barrier
.LBB130_14:                             ;   Parent Loop BB130_6 Depth=1
                                        ; =>  This Inner Loop Header: Depth=2
	s_add_i32 s19, s21, 2
	s_lshr_b32 s24, s19, 4
	s_and_b32 s22, s19, 0x3ffffff8
	v_lshl_add_u32 v154, s22, 2, v177
	s_lshl_b32 s22, s24, 5
	s_addk_i32 s22, 0x4200
	v_add3_u32 v152, s22, v184, v178
	v_add3_u32 v212, s22, v172, v127
	ds_read2_b32 v[156:157], v188 offset1:32
	ds_read_b128 v[36:39], v187
	ds_read_b128 v[32:35], v187 offset:16
	ds_read2_b32 v[158:159], v154 offset1:1
	ds_read2_b32 v[220:221], v212 offset0:6 offset1:7
	ds_read2_b32 v[160:161], v152 offset1:1
	s_sub_i32 s20, s21, 22
	s_and_b32 s23, s17, -16
	s_waitcnt lgkmcnt(2)
	v_ashrrev_i32_e32 v148, s20, v158
	v_bfe_u32 v150, v148, 24, 2
	s_waitcnt lgkmcnt(0)
	v_ashrrev_i32_e32 v158, s18, v160
	v_lshlrev_b32_e32 v158, 2, v158
	v_and_b32_e32 v148, 0x3030303, v148
	v_and_b32_e32 v158, 0x4040404, v158
	v_sub_u16_e32 v160, v148, v158
	v_sub_u16_sdwa v162, v148, v158 dst_sel:BYTE_1 dst_unused:UNUSED_PAD src0_sel:BYTE_1 src1_sel:BYTE_1
	v_sub_u16_sdwa v148, v148, v158 dst_sel:DWORD dst_unused:UNUSED_PAD src0_sel:WORD_1 src1_sel:WORD_1
	v_sub_u16_sdwa v150, v150, v158 dst_sel:BYTE_1 dst_unused:UNUSED_PAD src0_sel:DWORD src1_sel:BYTE_3
	v_bitop3_b16 v160, v160, v162, s8 bitop3:0xec
	v_bitop3_b16 v148, v148, v150, s8 bitop3:0xec
	v_lshlrev_b32_e32 v148, 16, v148
	v_or_b32_sdwa v158, v160, v148 dst_sel:DWORD dst_unused:UNUSED_PAD src0_sel:WORD_0 src1_sel:DWORD
	v_ashrrev_i32_e32 v148, s20, v159
	v_ashrrev_i32_e32 v159, s18, v161
	v_lshlrev_b32_e32 v159, 2, v159
	v_bfe_u32 v150, v148, 24, 2
	v_and_b32_e32 v148, 0x3030303, v148
	v_and_b32_e32 v159, 0x4040404, v159
	v_sub_u16_e32 v160, v148, v159
	v_sub_u16_sdwa v161, v148, v159 dst_sel:BYTE_1 dst_unused:UNUSED_PAD src0_sel:BYTE_1 src1_sel:BYTE_1
	v_sub_u16_sdwa v148, v148, v159 dst_sel:DWORD dst_unused:UNUSED_PAD src0_sel:WORD_1 src1_sel:WORD_1
	v_sub_u16_sdwa v150, v150, v159 dst_sel:BYTE_1 dst_unused:UNUSED_PAD src0_sel:DWORD src1_sel:BYTE_3
	v_bitop3_b16 v160, v160, v161, s8 bitop3:0xec
	v_bitop3_b16 v148, v148, v150, s8 bitop3:0xec
	v_lshlrev_b32_e32 v148, 16, v148
	v_or_b32_sdwa v159, v160, v148 dst_sel:DWORD dst_unused:UNUSED_PAD src0_sel:WORD_0 src1_sel:DWORD
	ds_read2_b32 v[160:161], v154 offset0:2 offset1:3
	ds_read2_b32 v[162:163], v152 offset0:2 offset1:3
	s_add_i32 s21, s21, s23
	s_lshl_b32 s23, s24, 2
	s_add_i32 s23, s23, 0x9380
	s_waitcnt lgkmcnt(1)
	v_ashrrev_i32_e32 v148, s20, v160
	s_waitcnt lgkmcnt(0)
	v_ashrrev_i32_e32 v160, s18, v162
	v_lshlrev_b32_e32 v160, 2, v160
	v_bfe_u32 v150, v148, 24, 2
	v_and_b32_e32 v148, 0x3030303, v148
	v_and_b32_e32 v160, 0x4040404, v160
	v_sub_u16_e32 v162, v148, v160
	v_sub_u16_sdwa v164, v148, v160 dst_sel:BYTE_1 dst_unused:UNUSED_PAD src0_sel:BYTE_1 src1_sel:BYTE_1
	v_sub_u16_sdwa v148, v148, v160 dst_sel:DWORD dst_unused:UNUSED_PAD src0_sel:WORD_1 src1_sel:WORD_1
	v_sub_u16_sdwa v150, v150, v160 dst_sel:BYTE_1 dst_unused:UNUSED_PAD src0_sel:DWORD src1_sel:BYTE_3
	v_bitop3_b16 v162, v162, v164, s8 bitop3:0xec
	v_bitop3_b16 v148, v148, v150, s8 bitop3:0xec
	v_lshlrev_b32_e32 v148, 16, v148
	v_or_b32_sdwa v160, v162, v148 dst_sel:DWORD dst_unused:UNUSED_PAD src0_sel:WORD_0 src1_sel:DWORD
	v_ashrrev_i32_e32 v148, s20, v161
	v_ashrrev_i32_e32 v161, s18, v163
	v_lshlrev_b32_e32 v161, 2, v161
	v_bfe_u32 v150, v148, 24, 2
	v_and_b32_e32 v148, 0x3030303, v148
	v_and_b32_e32 v161, 0x4040404, v161
	v_sub_u16_e32 v162, v148, v161
	v_sub_u16_sdwa v163, v148, v161 dst_sel:BYTE_1 dst_unused:UNUSED_PAD src0_sel:BYTE_1 src1_sel:BYTE_1
	v_sub_u16_sdwa v148, v148, v161 dst_sel:DWORD dst_unused:UNUSED_PAD src0_sel:WORD_1 src1_sel:WORD_1
	v_sub_u16_sdwa v150, v150, v161 dst_sel:BYTE_1 dst_unused:UNUSED_PAD src0_sel:DWORD src1_sel:BYTE_3
	v_bitop3_b16 v162, v162, v163, s8 bitop3:0xec
	v_bitop3_b16 v148, v148, v150, s8 bitop3:0xec
	v_lshlrev_b32_e32 v148, 16, v148
	v_or_b32_sdwa v161, v162, v148 dst_sel:DWORD dst_unused:UNUSED_PAD src0_sel:WORD_0 src1_sel:DWORD
	ds_read2_b32 v[162:163], v154 offset0:4 offset1:5
	ds_read2_b32 v[164:165], v152 offset0:4 offset1:5
	v_add3_u32 v169, s22, v149, v113
	ds_read2_b32 v[190:191], v169 offset1:1
	v_add3_u32 v206, s22, v153, v121
	s_waitcnt lgkmcnt(2)
	v_ashrrev_i32_e32 v148, s20, v162
	s_waitcnt lgkmcnt(1)
	v_ashrrev_i32_e32 v162, s18, v164
	v_lshlrev_b32_e32 v162, 2, v162
	v_bfe_u32 v150, v148, 24, 2
	v_and_b32_e32 v148, 0x3030303, v148
	v_and_b32_e32 v162, 0x4040404, v162
	v_sub_u16_e32 v164, v148, v162
	v_sub_u16_sdwa v166, v148, v162 dst_sel:BYTE_1 dst_unused:UNUSED_PAD src0_sel:BYTE_1 src1_sel:BYTE_1
	v_sub_u16_sdwa v148, v148, v162 dst_sel:DWORD dst_unused:UNUSED_PAD src0_sel:WORD_1 src1_sel:WORD_1
	v_sub_u16_sdwa v150, v150, v162 dst_sel:BYTE_1 dst_unused:UNUSED_PAD src0_sel:DWORD src1_sel:BYTE_3
	v_bitop3_b16 v164, v164, v166, s8 bitop3:0xec
	v_bitop3_b16 v148, v148, v150, s8 bitop3:0xec
	v_lshlrev_b32_e32 v148, 16, v148
	v_or_b32_sdwa v162, v164, v148 dst_sel:DWORD dst_unused:UNUSED_PAD src0_sel:WORD_0 src1_sel:DWORD
	v_ashrrev_i32_e32 v148, s20, v163
	v_ashrrev_i32_e32 v163, s18, v165
	v_lshlrev_b32_e32 v163, 2, v163
	v_bfe_u32 v150, v148, 24, 2
	v_and_b32_e32 v148, 0x3030303, v148
	v_and_b32_e32 v163, 0x4040404, v163
	v_sub_u16_e32 v164, v148, v163
	v_sub_u16_sdwa v165, v148, v163 dst_sel:BYTE_1 dst_unused:UNUSED_PAD src0_sel:BYTE_1 src1_sel:BYTE_1
	v_sub_u16_sdwa v148, v148, v163 dst_sel:DWORD dst_unused:UNUSED_PAD src0_sel:WORD_1 src1_sel:WORD_1
	v_sub_u16_sdwa v150, v150, v163 dst_sel:BYTE_1 dst_unused:UNUSED_PAD src0_sel:DWORD src1_sel:BYTE_3
	v_bitop3_b16 v164, v164, v165, s8 bitop3:0xec
	v_bitop3_b16 v148, v148, v150, s8 bitop3:0xec
	v_lshlrev_b32_e32 v148, 16, v148
	v_or_b32_sdwa v163, v164, v148 dst_sel:DWORD dst_unused:UNUSED_PAD src0_sel:WORD_0 src1_sel:DWORD
	ds_read2_b32 v[164:165], v154 offset0:6 offset1:7
	ds_read2_b32 v[166:167], v152 offset0:6 offset1:7
	;; [unrolled: 1-line block ×4, first 2 shown]
	v_mov_b32_e32 v168, 0
	s_waitcnt lgkmcnt(3)
	v_ashrrev_i32_e32 v148, s20, v164
	s_waitcnt lgkmcnt(2)
	v_ashrrev_i32_e32 v152, s18, v166
	v_lshlrev_b32_e32 v152, 2, v152
	v_bfe_u32 v150, v148, 24, 2
	v_and_b32_e32 v148, 0x3030303, v148
	v_and_b32_e32 v152, 0x4040404, v152
	v_sub_u16_e32 v164, v148, v152
	v_sub_u16_sdwa v166, v148, v152 dst_sel:BYTE_1 dst_unused:UNUSED_PAD src0_sel:BYTE_1 src1_sel:BYTE_1
	v_sub_u16_sdwa v148, v148, v152 dst_sel:DWORD dst_unused:UNUSED_PAD src0_sel:WORD_1 src1_sel:WORD_1
	v_sub_u16_sdwa v150, v150, v152 dst_sel:BYTE_1 dst_unused:UNUSED_PAD src0_sel:DWORD src1_sel:BYTE_3
	v_bitop3_b16 v164, v164, v166, s8 bitop3:0xec
	v_bitop3_b16 v148, v148, v150, s8 bitop3:0xec
	v_lshlrev_b32_e32 v148, 16, v148
	v_ashrrev_i32_e32 v152, s18, v167
	v_or_b32_sdwa v164, v164, v148 dst_sel:DWORD dst_unused:UNUSED_PAD src0_sel:WORD_0 src1_sel:DWORD
	v_ashrrev_i32_e32 v148, s20, v165
	v_lshlrev_b32_e32 v152, 2, v152
	v_bfe_u32 v150, v148, 24, 2
	v_and_b32_e32 v148, 0x3030303, v148
	v_and_b32_e32 v152, 0x4040404, v152
	v_sub_u16_e32 v165, v148, v152
	v_sub_u16_sdwa v166, v148, v152 dst_sel:BYTE_1 dst_unused:UNUSED_PAD src0_sel:BYTE_1 src1_sel:BYTE_1
	v_sub_u16_sdwa v148, v148, v152 dst_sel:DWORD dst_unused:UNUSED_PAD src0_sel:WORD_1 src1_sel:WORD_1
	v_sub_u16_sdwa v150, v150, v152 dst_sel:BYTE_1 dst_unused:UNUSED_PAD src0_sel:DWORD src1_sel:BYTE_3
	v_bitop3_b16 v165, v165, v166, s8 bitop3:0xec
	v_bitop3_b16 v148, v148, v150, s8 bitop3:0xec
	v_lshlrev_b32_e32 v148, 16, v148
	v_or_b32_sdwa v165, v165, v148 dst_sel:DWORD dst_unused:UNUSED_PAD src0_sel:WORD_0 src1_sel:DWORD
	v_add3_u32 v148, s23, v185, v186
	v_add_u32_e32 v150, 0x1080, v154
	ds_read_b32 v148, v148
	ds_read2_b32 v[170:171], v150 offset1:1
	ds_read2_b32 v[196:197], v169 offset0:6 offset1:7
	ds_read2_b32 v[200:201], v206 offset1:1
	v_mov_b32_e32 v167, 0
	v_mov_b32_e32 v214, 0
	s_waitcnt lgkmcnt(2)
	v_ashrrev_i32_e32 v150, s20, v170
	v_ashrrev_i32_e32 v170, s18, v190
	v_lshlrev_b32_e32 v170, 2, v170
	v_bfe_u32 v152, v150, 24, 2
	v_and_b32_e32 v150, 0x3030303, v150
	v_and_b32_e32 v170, 0x4040404, v170
	v_sub_u16_e32 v189, v150, v170
	v_sub_u16_sdwa v190, v150, v170 dst_sel:BYTE_1 dst_unused:UNUSED_PAD src0_sel:BYTE_1 src1_sel:BYTE_1
	v_sub_u16_sdwa v150, v150, v170 dst_sel:DWORD dst_unused:UNUSED_PAD src0_sel:WORD_1 src1_sel:WORD_1
	v_sub_u16_sdwa v152, v152, v170 dst_sel:BYTE_1 dst_unused:UNUSED_PAD src0_sel:DWORD src1_sel:BYTE_3
	v_bitop3_b16 v189, v189, v190, s8 bitop3:0xec
	v_bitop3_b16 v150, v150, v152, s8 bitop3:0xec
	v_lshlrev_b32_e32 v150, 16, v150
	v_ashrrev_i32_e32 v170, s18, v191
	v_or_b32_sdwa v189, v189, v150 dst_sel:DWORD dst_unused:UNUSED_PAD src0_sel:WORD_0 src1_sel:DWORD
	v_ashrrev_i32_e32 v150, s20, v171
	v_lshlrev_b32_e32 v170, 2, v170
	v_bfe_u32 v152, v150, 24, 2
	v_and_b32_e32 v150, 0x3030303, v150
	v_and_b32_e32 v170, 0x4040404, v170
	v_sub_u16_e32 v171, v150, v170
	v_sub_u16_sdwa v190, v150, v170 dst_sel:BYTE_1 dst_unused:UNUSED_PAD src0_sel:BYTE_1 src1_sel:BYTE_1
	v_sub_u16_sdwa v150, v150, v170 dst_sel:DWORD dst_unused:UNUSED_PAD src0_sel:WORD_1 src1_sel:WORD_1
	v_sub_u16_sdwa v152, v152, v170 dst_sel:BYTE_1 dst_unused:UNUSED_PAD src0_sel:DWORD src1_sel:BYTE_3
	v_bitop3_b16 v171, v171, v190, s8 bitop3:0xec
	v_bitop3_b16 v150, v150, v152, s8 bitop3:0xec
	v_lshlrev_b32_e32 v150, 16, v150
	v_or_b32_sdwa v190, v171, v150 dst_sel:DWORD dst_unused:UNUSED_PAD src0_sel:WORD_0 src1_sel:DWORD
	v_add_u32_e32 v150, 0x1088, v154
	ds_read2_b32 v[170:171], v150 offset1:1
	s_waitcnt lgkmcnt(2)
	v_ashrrev_i32_e32 v169, s18, v196
	v_lshlrev_b32_e32 v169, 2, v169
	v_and_b32_e32 v169, 0x4040404, v169
	v_mov_b32_e32 v219, 0
	s_waitcnt lgkmcnt(0)
	v_ashrrev_i32_e32 v150, s20, v170
	v_ashrrev_i32_e32 v170, s18, v192
	v_lshlrev_b32_e32 v170, 2, v170
	v_bfe_u32 v152, v150, 24, 2
	v_and_b32_e32 v150, 0x3030303, v150
	v_and_b32_e32 v170, 0x4040404, v170
	v_sub_u16_e32 v191, v150, v170
	v_sub_u16_sdwa v192, v150, v170 dst_sel:BYTE_1 dst_unused:UNUSED_PAD src0_sel:BYTE_1 src1_sel:BYTE_1
	v_sub_u16_sdwa v150, v150, v170 dst_sel:DWORD dst_unused:UNUSED_PAD src0_sel:WORD_1 src1_sel:WORD_1
	v_sub_u16_sdwa v152, v152, v170 dst_sel:BYTE_1 dst_unused:UNUSED_PAD src0_sel:DWORD src1_sel:BYTE_3
	v_bitop3_b16 v191, v191, v192, s8 bitop3:0xec
	v_bitop3_b16 v150, v150, v152, s8 bitop3:0xec
	v_lshlrev_b32_e32 v150, 16, v150
	v_ashrrev_i32_e32 v170, s18, v193
	v_or_b32_sdwa v191, v191, v150 dst_sel:DWORD dst_unused:UNUSED_PAD src0_sel:WORD_0 src1_sel:DWORD
	v_ashrrev_i32_e32 v150, s20, v171
	v_lshlrev_b32_e32 v170, 2, v170
	v_bfe_u32 v152, v150, 24, 2
	v_and_b32_e32 v150, 0x3030303, v150
	v_and_b32_e32 v170, 0x4040404, v170
	v_sub_u16_e32 v171, v150, v170
	v_sub_u16_sdwa v192, v150, v170 dst_sel:BYTE_1 dst_unused:UNUSED_PAD src0_sel:BYTE_1 src1_sel:BYTE_1
	v_sub_u16_sdwa v150, v150, v170 dst_sel:DWORD dst_unused:UNUSED_PAD src0_sel:WORD_1 src1_sel:WORD_1
	v_sub_u16_sdwa v152, v152, v170 dst_sel:BYTE_1 dst_unused:UNUSED_PAD src0_sel:DWORD src1_sel:BYTE_3
	v_bitop3_b16 v171, v171, v192, s8 bitop3:0xec
	v_bitop3_b16 v150, v150, v152, s8 bitop3:0xec
	v_lshlrev_b32_e32 v150, 16, v150
	v_or_b32_sdwa v192, v171, v150 dst_sel:DWORD dst_unused:UNUSED_PAD src0_sel:WORD_0 src1_sel:DWORD
	v_add_u32_e32 v150, 0x1090, v154
	ds_read2_b32 v[170:171], v150 offset1:1
	v_mov_b32_e32 v230, 0
	v_dot4c_i32_i8_e32 v167, v158, v36
	v_dot4c_i32_i8_e32 v168, v162, v32
	;; [unrolled: 1-line block ×3, first 2 shown]
	s_waitcnt lgkmcnt(0)
	v_ashrrev_i32_e32 v150, s20, v170
	v_ashrrev_i32_e32 v170, s18, v194
	v_lshlrev_b32_e32 v170, 2, v170
	v_bfe_u32 v152, v150, 24, 2
	v_and_b32_e32 v150, 0x3030303, v150
	v_and_b32_e32 v170, 0x4040404, v170
	v_sub_u16_e32 v193, v150, v170
	v_sub_u16_sdwa v194, v150, v170 dst_sel:BYTE_1 dst_unused:UNUSED_PAD src0_sel:BYTE_1 src1_sel:BYTE_1
	v_sub_u16_sdwa v150, v150, v170 dst_sel:DWORD dst_unused:UNUSED_PAD src0_sel:WORD_1 src1_sel:WORD_1
	v_sub_u16_sdwa v152, v152, v170 dst_sel:BYTE_1 dst_unused:UNUSED_PAD src0_sel:DWORD src1_sel:BYTE_3
	v_bitop3_b16 v193, v193, v194, s8 bitop3:0xec
	v_bitop3_b16 v150, v150, v152, s8 bitop3:0xec
	v_lshlrev_b32_e32 v150, 16, v150
	v_ashrrev_i32_e32 v170, s18, v195
	v_or_b32_sdwa v193, v193, v150 dst_sel:DWORD dst_unused:UNUSED_PAD src0_sel:WORD_0 src1_sel:DWORD
	v_ashrrev_i32_e32 v150, s20, v171
	v_lshlrev_b32_e32 v170, 2, v170
	v_bfe_u32 v152, v150, 24, 2
	v_and_b32_e32 v150, 0x3030303, v150
	v_and_b32_e32 v170, 0x4040404, v170
	v_sub_u16_e32 v171, v150, v170
	v_sub_u16_sdwa v194, v150, v170 dst_sel:BYTE_1 dst_unused:UNUSED_PAD src0_sel:BYTE_1 src1_sel:BYTE_1
	v_sub_u16_sdwa v150, v150, v170 dst_sel:DWORD dst_unused:UNUSED_PAD src0_sel:WORD_1 src1_sel:WORD_1
	v_sub_u16_sdwa v152, v152, v170 dst_sel:BYTE_1 dst_unused:UNUSED_PAD src0_sel:DWORD src1_sel:BYTE_3
	v_bitop3_b16 v171, v171, v194, s8 bitop3:0xec
	v_bitop3_b16 v150, v150, v152, s8 bitop3:0xec
	v_lshlrev_b32_e32 v150, 16, v150
	v_or_b32_sdwa v194, v171, v150 dst_sel:DWORD dst_unused:UNUSED_PAD src0_sel:WORD_0 src1_sel:DWORD
	v_add_u32_e32 v150, 0x1098, v154
	ds_read2_b32 v[170:171], v150 offset1:1
	v_dot4c_i32_i8_e32 v168, v163, v33
	v_dot4c_i32_i8_e32 v167, v160, v38
	;; [unrolled: 1-line block ×4, first 2 shown]
	s_waitcnt lgkmcnt(0)
	v_ashrrev_i32_e32 v150, s20, v170
	v_bfe_u32 v152, v150, 24, 2
	v_and_b32_e32 v150, 0x3030303, v150
	v_sub_u16_e32 v170, v150, v169
	v_sub_u16_sdwa v195, v150, v169 dst_sel:BYTE_1 dst_unused:UNUSED_PAD src0_sel:BYTE_1 src1_sel:BYTE_1
	v_sub_u16_sdwa v150, v150, v169 dst_sel:DWORD dst_unused:UNUSED_PAD src0_sel:WORD_1 src1_sel:WORD_1
	v_sub_u16_sdwa v152, v152, v169 dst_sel:BYTE_1 dst_unused:UNUSED_PAD src0_sel:DWORD src1_sel:BYTE_3
	v_bitop3_b16 v170, v170, v195, s8 bitop3:0xec
	v_bitop3_b16 v150, v150, v152, s8 bitop3:0xec
	v_lshlrev_b32_e32 v150, 16, v150
	v_ashrrev_i32_e32 v169, s18, v197
	v_or_b32_sdwa v195, v170, v150 dst_sel:DWORD dst_unused:UNUSED_PAD src0_sel:WORD_0 src1_sel:DWORD
	v_ashrrev_i32_e32 v150, s20, v171
	v_lshlrev_b32_e32 v169, 2, v169
	v_bfe_u32 v152, v150, 24, 2
	v_and_b32_e32 v150, 0x3030303, v150
	v_and_b32_e32 v169, 0x4040404, v169
	v_sub_u16_e32 v170, v150, v169
	v_sub_u16_sdwa v171, v150, v169 dst_sel:BYTE_1 dst_unused:UNUSED_PAD src0_sel:BYTE_1 src1_sel:BYTE_1
	v_sub_u16_sdwa v150, v150, v169 dst_sel:DWORD dst_unused:UNUSED_PAD src0_sel:WORD_1 src1_sel:WORD_1
	v_sub_u16_sdwa v152, v152, v169 dst_sel:BYTE_1 dst_unused:UNUSED_PAD src0_sel:DWORD src1_sel:BYTE_3
	v_bitop3_b16 v170, v170, v171, s8 bitop3:0xec
	v_bitop3_b16 v150, v150, v152, s8 bitop3:0xec
	v_lshlrev_b32_e32 v150, 16, v150
	v_or_b32_sdwa v196, v170, v150 dst_sel:DWORD dst_unused:UNUSED_PAD src0_sel:WORD_0 src1_sel:DWORD
	v_add3_u32 v150, s23, v151, v117
	v_add_u32_e32 v152, 0x2100, v154
	ds_read_b32 v150, v150
	ds_read2_b32 v[198:199], v152 offset1:1
	v_mov_b32_e32 v170, 0
	v_mov_b32_e32 v171, 0
	v_dot4c_i32_i8_e32 v170, v189, v36
	v_dot4c_i32_i8_e32 v171, v193, v32
	s_waitcnt lgkmcnt(0)
	v_ashrrev_i32_e32 v152, s20, v198
	v_ashrrev_i32_e32 v198, s18, v200
	v_lshlrev_b32_e32 v198, 2, v198
	v_bfe_u32 v197, v152, 24, 2
	v_and_b32_e32 v152, 0x3030303, v152
	v_and_b32_e32 v198, 0x4040404, v198
	v_sub_u16_e32 v200, v152, v198
	v_sub_u16_sdwa v202, v152, v198 dst_sel:BYTE_1 dst_unused:UNUSED_PAD src0_sel:BYTE_1 src1_sel:BYTE_1
	v_sub_u16_sdwa v152, v152, v198 dst_sel:DWORD dst_unused:UNUSED_PAD src0_sel:WORD_1 src1_sel:WORD_1
	v_sub_u16_sdwa v197, v197, v198 dst_sel:BYTE_1 dst_unused:UNUSED_PAD src0_sel:DWORD src1_sel:BYTE_3
	v_bitop3_b16 v200, v200, v202, s8 bitop3:0xec
	v_bitop3_b16 v152, v152, v197, s8 bitop3:0xec
	v_lshlrev_b32_e32 v152, 16, v152
	v_or_b32_sdwa v197, v200, v152 dst_sel:DWORD dst_unused:UNUSED_PAD src0_sel:WORD_0 src1_sel:DWORD
	v_ashrrev_i32_e32 v152, s20, v199
	v_ashrrev_i32_e32 v199, s18, v201
	v_lshlrev_b32_e32 v199, 2, v199
	v_bfe_u32 v198, v152, 24, 2
	v_and_b32_e32 v152, 0x3030303, v152
	v_and_b32_e32 v199, 0x4040404, v199
	v_sub_u16_e32 v200, v152, v199
	v_sub_u16_sdwa v201, v152, v199 dst_sel:BYTE_1 dst_unused:UNUSED_PAD src0_sel:BYTE_1 src1_sel:BYTE_1
	v_sub_u16_sdwa v152, v152, v199 dst_sel:DWORD dst_unused:UNUSED_PAD src0_sel:WORD_1 src1_sel:WORD_1
	v_sub_u16_sdwa v198, v198, v199 dst_sel:BYTE_1 dst_unused:UNUSED_PAD src0_sel:DWORD src1_sel:BYTE_3
	v_bitop3_b16 v200, v200, v201, s8 bitop3:0xec
	v_bitop3_b16 v152, v152, v198, s8 bitop3:0xec
	v_lshlrev_b32_e32 v152, 16, v152
	v_or_b32_sdwa v198, v200, v152 dst_sel:DWORD dst_unused:UNUSED_PAD src0_sel:WORD_0 src1_sel:DWORD
	v_add_u32_e32 v152, 0x2108, v154
	ds_read2_b32 v[200:201], v152 offset1:1
	ds_read2_b32 v[202:203], v206 offset0:2 offset1:3
	v_dot4c_i32_i8_e32 v214, v197, v36
	v_dot4c_i32_i8_e32 v170, v190, v37
	v_dot4c_i32_i8_e32 v171, v194, v33
	s_waitcnt lgkmcnt(1)
	v_ashrrev_i32_e32 v152, s20, v200
	s_waitcnt lgkmcnt(0)
	v_ashrrev_i32_e32 v200, s18, v202
	v_lshlrev_b32_e32 v200, 2, v200
	v_bfe_u32 v199, v152, 24, 2
	v_and_b32_e32 v152, 0x3030303, v152
	v_and_b32_e32 v200, 0x4040404, v200
	v_sub_u16_e32 v202, v152, v200
	v_sub_u16_sdwa v204, v152, v200 dst_sel:BYTE_1 dst_unused:UNUSED_PAD src0_sel:BYTE_1 src1_sel:BYTE_1
	v_sub_u16_sdwa v152, v152, v200 dst_sel:DWORD dst_unused:UNUSED_PAD src0_sel:WORD_1 src1_sel:WORD_1
	v_sub_u16_sdwa v199, v199, v200 dst_sel:BYTE_1 dst_unused:UNUSED_PAD src0_sel:DWORD src1_sel:BYTE_3
	v_bitop3_b16 v202, v202, v204, s8 bitop3:0xec
	v_bitop3_b16 v152, v152, v199, s8 bitop3:0xec
	v_lshlrev_b32_e32 v152, 16, v152
	v_or_b32_sdwa v199, v202, v152 dst_sel:DWORD dst_unused:UNUSED_PAD src0_sel:WORD_0 src1_sel:DWORD
	v_ashrrev_i32_e32 v152, s20, v201
	v_ashrrev_i32_e32 v201, s18, v203
	v_lshlrev_b32_e32 v201, 2, v201
	v_bfe_u32 v200, v152, 24, 2
	v_and_b32_e32 v152, 0x3030303, v152
	v_and_b32_e32 v201, 0x4040404, v201
	v_sub_u16_e32 v202, v152, v201
	v_sub_u16_sdwa v203, v152, v201 dst_sel:BYTE_1 dst_unused:UNUSED_PAD src0_sel:BYTE_1 src1_sel:BYTE_1
	v_sub_u16_sdwa v152, v152, v201 dst_sel:DWORD dst_unused:UNUSED_PAD src0_sel:WORD_1 src1_sel:WORD_1
	v_sub_u16_sdwa v200, v200, v201 dst_sel:BYTE_1 dst_unused:UNUSED_PAD src0_sel:DWORD src1_sel:BYTE_3
	v_bitop3_b16 v202, v202, v203, s8 bitop3:0xec
	v_bitop3_b16 v152, v152, v200, s8 bitop3:0xec
	v_lshlrev_b32_e32 v152, 16, v152
	v_or_b32_sdwa v200, v202, v152 dst_sel:DWORD dst_unused:UNUSED_PAD src0_sel:WORD_0 src1_sel:DWORD
	v_add_u32_e32 v152, 0x2110, v154
	ds_read2_b32 v[202:203], v152 offset1:1
	ds_read2_b32 v[204:205], v206 offset0:4 offset1:5
	v_dot4c_i32_i8_e32 v214, v198, v37
	v_dot4c_i32_i8_e32 v170, v191, v38
	v_dot4c_i32_i8_e32 v171, v195, v34
	s_waitcnt lgkmcnt(1)
	v_ashrrev_i32_e32 v152, s20, v202
	s_waitcnt lgkmcnt(0)
	;; [unrolled: 36-line block ×3, first 2 shown]
	v_ashrrev_i32_e32 v204, s18, v206
	v_lshlrev_b32_e32 v204, 2, v204
	v_bfe_u32 v203, v152, 24, 2
	v_and_b32_e32 v152, 0x3030303, v152
	v_and_b32_e32 v204, 0x4040404, v204
	v_sub_u16_e32 v206, v152, v204
	v_sub_u16_sdwa v208, v152, v204 dst_sel:BYTE_1 dst_unused:UNUSED_PAD src0_sel:BYTE_1 src1_sel:BYTE_1
	v_sub_u16_sdwa v152, v152, v204 dst_sel:DWORD dst_unused:UNUSED_PAD src0_sel:WORD_1 src1_sel:WORD_1
	v_sub_u16_sdwa v203, v203, v204 dst_sel:BYTE_1 dst_unused:UNUSED_PAD src0_sel:DWORD src1_sel:BYTE_3
	v_bitop3_b16 v206, v206, v208, s8 bitop3:0xec
	v_bitop3_b16 v152, v152, v203, s8 bitop3:0xec
	v_lshlrev_b32_e32 v152, 16, v152
	v_or_b32_sdwa v203, v206, v152 dst_sel:DWORD dst_unused:UNUSED_PAD src0_sel:WORD_0 src1_sel:DWORD
	v_ashrrev_i32_e32 v152, s20, v205
	v_ashrrev_i32_e32 v205, s18, v207
	v_lshlrev_b32_e32 v205, 2, v205
	v_bfe_u32 v204, v152, 24, 2
	v_and_b32_e32 v152, 0x3030303, v152
	v_and_b32_e32 v205, 0x4040404, v205
	v_sub_u16_e32 v206, v152, v205
	v_sub_u16_sdwa v207, v152, v205 dst_sel:BYTE_1 dst_unused:UNUSED_PAD src0_sel:BYTE_1 src1_sel:BYTE_1
	v_sub_u16_sdwa v152, v152, v205 dst_sel:DWORD dst_unused:UNUSED_PAD src0_sel:WORD_1 src1_sel:WORD_1
	v_sub_u16_sdwa v204, v204, v205 dst_sel:BYTE_1 dst_unused:UNUSED_PAD src0_sel:DWORD src1_sel:BYTE_3
	v_bitop3_b16 v206, v206, v207, s8 bitop3:0xec
	v_bitop3_b16 v152, v152, v204, s8 bitop3:0xec
	v_lshlrev_b32_e32 v152, 16, v152
	v_add_u32_e32 v205, 0x3180, v154
	v_or_b32_sdwa v204, v206, v152 dst_sel:DWORD dst_unused:UNUSED_PAD src0_sel:WORD_0 src1_sel:DWORD
	ds_read2_b32 v[206:207], v205 offset1:1
	ds_read2_b32 v[208:209], v212 offset1:1
	v_add3_u32 v152, s23, v155, v123
	ds_read_b32 v152, v152
	v_dot4c_i32_i8_e32 v219, v203, v34
	s_waitcnt lgkmcnt(2)
	v_ashrrev_i32_e32 v205, s20, v206
	s_waitcnt lgkmcnt(1)
	v_ashrrev_i32_e32 v208, s18, v208
	v_lshlrev_b32_e32 v208, 2, v208
	v_bfe_u32 v206, v205, 24, 2
	v_and_b32_e32 v205, 0x3030303, v205
	v_and_b32_e32 v208, 0x4040404, v208
	v_sub_u16_e32 v210, v205, v208
	v_sub_u16_sdwa v211, v205, v208 dst_sel:BYTE_1 dst_unused:UNUSED_PAD src0_sel:BYTE_1 src1_sel:BYTE_1
	v_sub_u16_sdwa v205, v205, v208 dst_sel:DWORD dst_unused:UNUSED_PAD src0_sel:WORD_1 src1_sel:WORD_1
	v_sub_u16_sdwa v206, v206, v208 dst_sel:BYTE_1 dst_unused:UNUSED_PAD src0_sel:DWORD src1_sel:BYTE_3
	v_ashrrev_i32_e32 v208, s18, v209
	v_bitop3_b16 v205, v205, v206, s8 bitop3:0xec
	v_ashrrev_i32_e32 v206, s20, v207
	v_lshlrev_b32_e32 v208, 2, v208
	v_bitop3_b16 v210, v210, v211, s8 bitop3:0xec
	v_lshlrev_b32_e32 v205, 16, v205
	v_bfe_u32 v207, v206, 24, 2
	v_and_b32_e32 v206, 0x3030303, v206
	v_and_b32_e32 v208, 0x4040404, v208
	v_or_b32_sdwa v205, v210, v205 dst_sel:DWORD dst_unused:UNUSED_PAD src0_sel:WORD_0 src1_sel:DWORD
	v_sub_u16_e32 v209, v206, v208
	v_sub_u16_sdwa v210, v206, v208 dst_sel:BYTE_1 dst_unused:UNUSED_PAD src0_sel:BYTE_1 src1_sel:BYTE_1
	v_sub_u16_sdwa v206, v206, v208 dst_sel:DWORD dst_unused:UNUSED_PAD src0_sel:WORD_1 src1_sel:WORD_1
	v_sub_u16_sdwa v207, v207, v208 dst_sel:BYTE_1 dst_unused:UNUSED_PAD src0_sel:DWORD src1_sel:BYTE_3
	v_bitop3_b16 v209, v209, v210, s8 bitop3:0xec
	v_bitop3_b16 v206, v206, v207, s8 bitop3:0xec
	v_lshlrev_b32_e32 v206, 16, v206
	v_add_u32_e32 v207, 0x3188, v154
	v_or_b32_sdwa v206, v209, v206 dst_sel:DWORD dst_unused:UNUSED_PAD src0_sel:WORD_0 src1_sel:DWORD
	ds_read2_b32 v[208:209], v207 offset1:1
	ds_read2_b32 v[210:211], v212 offset0:2 offset1:3
	v_dot4c_i32_i8_e32 v168, v165, v35
	v_dot4c_i32_i8_e32 v170, v192, v39
	;; [unrolled: 1-line block ×3, first 2 shown]
	s_waitcnt lgkmcnt(1)
	v_ashrrev_i32_e32 v207, s20, v208
	s_waitcnt lgkmcnt(0)
	v_ashrrev_i32_e32 v210, s18, v210
	v_lshlrev_b32_e32 v210, 2, v210
	v_bfe_u32 v208, v207, 24, 2
	v_and_b32_e32 v207, 0x3030303, v207
	v_and_b32_e32 v210, 0x4040404, v210
	v_sub_u16_e32 v215, v207, v210
	v_sub_u16_sdwa v216, v207, v210 dst_sel:BYTE_1 dst_unused:UNUSED_PAD src0_sel:BYTE_1 src1_sel:BYTE_1
	v_sub_u16_sdwa v207, v207, v210 dst_sel:DWORD dst_unused:UNUSED_PAD src0_sel:WORD_1 src1_sel:WORD_1
	v_sub_u16_sdwa v208, v208, v210 dst_sel:BYTE_1 dst_unused:UNUSED_PAD src0_sel:DWORD src1_sel:BYTE_3
	v_ashrrev_i32_e32 v210, s18, v211
	v_bitop3_b16 v207, v207, v208, s8 bitop3:0xec
	v_ashrrev_i32_e32 v208, s20, v209
	v_lshlrev_b32_e32 v210, 2, v210
	v_bitop3_b16 v215, v215, v216, s8 bitop3:0xec
	v_lshlrev_b32_e32 v207, 16, v207
	v_bfe_u32 v209, v208, 24, 2
	v_and_b32_e32 v208, 0x3030303, v208
	v_and_b32_e32 v210, 0x4040404, v210
	v_or_b32_sdwa v207, v215, v207 dst_sel:DWORD dst_unused:UNUSED_PAD src0_sel:WORD_0 src1_sel:DWORD
	v_sub_u16_e32 v211, v208, v210
	v_sub_u16_sdwa v215, v208, v210 dst_sel:BYTE_1 dst_unused:UNUSED_PAD src0_sel:BYTE_1 src1_sel:BYTE_1
	v_sub_u16_sdwa v208, v208, v210 dst_sel:DWORD dst_unused:UNUSED_PAD src0_sel:WORD_1 src1_sel:WORD_1
	v_sub_u16_sdwa v209, v209, v210 dst_sel:BYTE_1 dst_unused:UNUSED_PAD src0_sel:DWORD src1_sel:BYTE_3
	v_bitop3_b16 v211, v211, v215, s8 bitop3:0xec
	v_bitop3_b16 v208, v208, v209, s8 bitop3:0xec
	v_lshlrev_b32_e32 v208, 16, v208
	v_add_u32_e32 v209, 0x3190, v154
	v_or_b32_sdwa v208, v211, v208 dst_sel:DWORD dst_unused:UNUSED_PAD src0_sel:WORD_0 src1_sel:DWORD
	ds_read2_b32 v[210:211], v209 offset1:1
	ds_read2_b32 v[216:217], v212 offset0:4 offset1:5
	v_add_u32_e32 v154, 0x3198, v154
	v_ashrrev_i32_e32 v212, s18, v220
	v_lshlrev_b32_e32 v212, 2, v212
	s_waitcnt lgkmcnt(1)
	v_ashrrev_i32_e32 v209, s20, v210
	s_waitcnt lgkmcnt(0)
	v_ashrrev_i32_e32 v215, s18, v216
	v_lshlrev_b32_e32 v215, 2, v215
	v_bfe_u32 v210, v209, 24, 2
	v_and_b32_e32 v209, 0x3030303, v209
	v_and_b32_e32 v215, 0x4040404, v215
	v_sub_u16_e32 v216, v209, v215
	v_sub_u16_sdwa v218, v209, v215 dst_sel:BYTE_1 dst_unused:UNUSED_PAD src0_sel:BYTE_1 src1_sel:BYTE_1
	v_sub_u16_sdwa v209, v209, v215 dst_sel:DWORD dst_unused:UNUSED_PAD src0_sel:WORD_1 src1_sel:WORD_1
	v_sub_u16_sdwa v210, v210, v215 dst_sel:BYTE_1 dst_unused:UNUSED_PAD src0_sel:DWORD src1_sel:BYTE_3
	v_ashrrev_i32_e32 v215, s18, v217
	v_bitop3_b16 v209, v209, v210, s8 bitop3:0xec
	v_ashrrev_i32_e32 v210, s20, v211
	v_lshlrev_b32_e32 v215, 2, v215
	v_bitop3_b16 v216, v216, v218, s8 bitop3:0xec
	v_lshlrev_b32_e32 v209, 16, v209
	v_bfe_u32 v211, v210, 24, 2
	v_and_b32_e32 v210, 0x3030303, v210
	v_and_b32_e32 v215, 0x4040404, v215
	v_or_b32_sdwa v209, v216, v209 dst_sel:DWORD dst_unused:UNUSED_PAD src0_sel:WORD_0 src1_sel:DWORD
	v_sub_u16_e32 v216, v210, v215
	v_sub_u16_sdwa v217, v210, v215 dst_sel:BYTE_1 dst_unused:UNUSED_PAD src0_sel:BYTE_1 src1_sel:BYTE_1
	v_sub_u16_sdwa v210, v210, v215 dst_sel:DWORD dst_unused:UNUSED_PAD src0_sel:WORD_1 src1_sel:WORD_1
	v_sub_u16_sdwa v211, v211, v215 dst_sel:BYTE_1 dst_unused:UNUSED_PAD src0_sel:DWORD src1_sel:BYTE_3
	v_bitop3_b16 v216, v216, v217, s8 bitop3:0xec
	v_bitop3_b16 v210, v210, v211, s8 bitop3:0xec
	v_lshlrev_b32_e32 v210, 16, v210
	v_or_b32_sdwa v210, v216, v210 dst_sel:DWORD dst_unused:UNUSED_PAD src0_sel:WORD_0 src1_sel:DWORD
	ds_read2_b32 v[216:217], v154 offset1:1
	v_and_b32_e32 v212, 0x4040404, v212
	v_dot4c_i32_i8_e32 v230, v209, v32
	v_dot4c_i32_i8_e32 v230, v210, v33
	;; [unrolled: 1-line block ×3, first 2 shown]
	s_waitcnt lgkmcnt(0)
	v_ashrrev_i32_e32 v154, s20, v216
	v_bfe_u32 v211, v154, 24, 2
	v_and_b32_e32 v154, 0x3030303, v154
	v_sub_u16_e32 v215, v154, v212
	v_sub_u16_sdwa v216, v154, v212 dst_sel:BYTE_1 dst_unused:UNUSED_PAD src0_sel:BYTE_1 src1_sel:BYTE_1
	v_sub_u16_sdwa v154, v154, v212 dst_sel:DWORD dst_unused:UNUSED_PAD src0_sel:WORD_1 src1_sel:WORD_1
	v_sub_u16_sdwa v211, v211, v212 dst_sel:BYTE_1 dst_unused:UNUSED_PAD src0_sel:DWORD src1_sel:BYTE_3
	v_bitop3_b16 v215, v215, v216, s8 bitop3:0xec
	v_bitop3_b16 v154, v154, v211, s8 bitop3:0xec
	v_lshlrev_b32_e32 v154, 16, v154
	v_or_b32_sdwa v211, v215, v154 dst_sel:DWORD dst_unused:UNUSED_PAD src0_sel:WORD_0 src1_sel:DWORD
	v_ashrrev_i32_e32 v215, s18, v221
	v_ashrrev_i32_e32 v154, s20, v217
	v_lshlrev_b32_e32 v215, 2, v215
	v_bfe_u32 v212, v154, 24, 2
	v_and_b32_e32 v154, 0x3030303, v154
	v_and_b32_e32 v215, 0x4040404, v215
	v_sub_u16_e32 v216, v154, v215
	v_sub_u16_sdwa v217, v154, v215 dst_sel:BYTE_1 dst_unused:UNUSED_PAD src0_sel:BYTE_1 src1_sel:BYTE_1
	v_sub_u16_sdwa v154, v154, v215 dst_sel:DWORD dst_unused:UNUSED_PAD src0_sel:WORD_1 src1_sel:WORD_1
	v_sub_u16_sdwa v212, v212, v215 dst_sel:BYTE_1 dst_unused:UNUSED_PAD src0_sel:DWORD src1_sel:BYTE_3
	v_mov_b32_e32 v221, 0
	v_bitop3_b16 v154, v154, v212, s8 bitop3:0xec
	v_dot4c_i32_i8_e32 v221, v205, v36
	v_bitop3_b16 v216, v216, v217, s8 bitop3:0xec
	v_lshlrev_b32_e32 v154, 16, v154
	v_dot4c_i32_i8_e32 v221, v206, v37
	v_or_b32_sdwa v212, v216, v154 dst_sel:DWORD dst_unused:UNUSED_PAD src0_sel:WORD_0 src1_sel:DWORD
	v_add3_u32 v154, s23, v173, v129
	v_dot4c_i32_i8_e32 v221, v207, v38
	v_dot4c_i32_i8_e32 v230, v211, v34
	;; [unrolled: 1-line block ×3, first 2 shown]
	ds_read_b32 v154, v154
	v_dot4c_i32_i8_e32 v221, v208, v39
	v_dot4c_i32_i8_e32 v230, v212, v35
	ds_read_b128 v[32:35], v187 offset:1024
	ds_read_b128 v[36:39], v187 offset:1040
	v_mov_b32_e32 v215, 0
	v_mov_b32_e32 v226, 0
	;; [unrolled: 1-line block ×8, first 2 shown]
	s_waitcnt lgkmcnt(1)
	v_dot4c_i32_i8_e32 v215, v158, v32
	s_waitcnt lgkmcnt(0)
	v_dot4c_i32_i8_e32 v226, v162, v36
	v_dot4c_i32_i8_e32 v236, v189, v32
	;; [unrolled: 1-line block ×31, first 2 shown]
	ds_read2_b32 v[216:217], v188 offset0:64 offset1:96
	ds_read_b128 v[32:35], v187 offset:2048
	ds_read_b128 v[36:39], v187 offset:2064
	v_mov_b32_e32 v223, 0
	v_mov_b32_e32 v222, 0
	;; [unrolled: 1-line block ×8, first 2 shown]
	s_waitcnt lgkmcnt(1)
	v_dot4c_i32_i8_e32 v223, v158, v32
	s_waitcnt lgkmcnt(0)
	v_dot4c_i32_i8_e32 v222, v162, v36
	v_dot4c_i32_i8_e32 v242, v189, v32
	;; [unrolled: 1-line block ×15, first 2 shown]
	v_add_u32_e32 v166, s21, v55
	v_dot4c_i32_i8_e32 v223, v160, v34
	v_dot4c_i32_i8_e32 v222, v164, v38
	;; [unrolled: 1-line block ×16, first 2 shown]
	ds_read_b128 v[32:35], v187 offset:3072
	ds_read_b128 v[36:39], v187 offset:3088
	ds_read_u16 v166, v166 offset:33522
	v_add_u32_e32 v169, s21, v57
	v_add_u32_e32 v213, s21, v59
	;; [unrolled: 1-line block ×3, first 2 shown]
	v_mov_b32_e32 v224, 0
	s_waitcnt lgkmcnt(0)
	v_lshrrev_b16_e32 v218, 8, v166
	v_bfe_i32 v166, v166, 0, 8
	v_bfe_i32 v231, v218, 0, 8
	v_mul_lo_u32 v168, v168, v231
	v_mul_lo_u32 v218, v215, v166
	v_mad_u64_u32 v[226:227], s[20:21], v226, v231, v[218:219]
	v_mad_u64_u32 v[228:229], s[20:21], v167, v166, v[168:169]
	v_dot4c_i32_i8_e32 v224, v158, v32
	v_mov_b32_e32 v225, 0
	v_cvt_f32_i32_e32 v227, v228
	v_cvt_f32_i32_e32 v226, v226
	v_dot4c_i32_i8_e32 v224, v159, v33
	v_dot4c_i32_i8_e32 v225, v162, v36
	;; [unrolled: 1-line block ×4, first 2 shown]
	v_mov_b32_e32 v232, v157
	v_mov_b32_e32 v233, v156
	v_dot4c_i32_i8_e32 v224, v161, v35
	v_dot4c_i32_i8_e32 v225, v164, v38
	v_pk_mul_f32 v[156:157], v[148:149], v[232:233] op_sel_hi:[0,1]
	v_dot4c_i32_i8_e32 v225, v165, v39
	v_mul_lo_u32 v222, v222, v231
	v_mul_lo_u32 v224, v224, v166
	v_pk_fma_f32 v[16:17], v[156:157], v[226:227], v[16:17]
	ds_read_u16 v156, v169 offset:34546
	v_mad_u64_u32 v[224:225], s[20:21], v225, v231, v[224:225]
	v_mad_u64_u32 v[222:223], s[20:21], v223, v166, v[222:223]
	v_cvt_f32_i32_e32 v223, v222
	v_cvt_f32_i32_e32 v222, v224
	v_mov_b32_e32 v157, 0
	v_dot4c_i32_i8_e32 v157, v189, v32
	v_mov_b32_e32 v234, v217
	v_mov_b32_e32 v235, v216
	v_dot4c_i32_i8_e32 v157, v190, v33
	v_pk_mul_f32 v[216:217], v[148:149], v[234:235] op_sel_hi:[0,1]
	v_dot4c_i32_i8_e32 v157, v191, v34
	s_waitcnt lgkmcnt(0)
	v_lshrrev_b16_e32 v168, 8, v156
	v_pk_fma_f32 v[18:19], v[216:217], v[222:223], v[18:19]
	v_dot4c_i32_i8_e32 v157, v192, v35
	v_bfe_i32 v217, v156, 0, 8
	v_bfe_i32 v218, v168, 0, 8
	v_mul_lo_u32 v156, v171, v218
	v_mul_lo_u32 v168, v236, v217
	;; [unrolled: 1-line block ×3, first 2 shown]
                                        ; kill: def $vgpr157 killed $sgpr0 killed $exec
	v_mov_b32_e32 v167, 0
	v_mad_u64_u32 v[168:169], s[20:21], v237, v218, v[168:169]
	v_mad_u64_u32 v[156:157], s[20:21], v170, v217, v[156:157]
	v_dot4c_i32_i8_e32 v167, v193, v36
	v_cvt_f32_i32_e32 v157, v156
	v_cvt_f32_i32_e32 v156, v168
	v_dot4c_i32_i8_e32 v167, v194, v37
	v_dot4c_i32_i8_e32 v167, v195, v38
	;; [unrolled: 1-line block ×3, first 2 shown]
	v_mul_lo_u32 v216, v243, v218
	v_pk_mul_f32 v[170:171], v[150:151], v[232:233] op_sel_hi:[0,1]
	v_mad_u64_u32 v[224:225], s[20:21], v242, v217, v[216:217]
	v_mad_u64_u32 v[222:223], s[20:21], v167, v218, v[222:223]
	v_pk_fma_f32 v[28:29], v[170:171], v[156:157], v[28:29]
	ds_read_u16 v156, v213 offset:35570
	v_cvt_f32_i32_e32 v169, v224
	v_cvt_f32_i32_e32 v168, v222
	v_mov_b32_e32 v157, 0
	v_dot4c_i32_i8_e32 v157, v197, v32
	v_pk_mul_f32 v[226:227], v[150:151], v[234:235] op_sel_hi:[0,1]
	v_dot4c_i32_i8_e32 v157, v198, v33
	v_pk_fma_f32 v[30:31], v[226:227], v[168:169], v[30:31]
	v_dot4c_i32_i8_e32 v157, v199, v34
	s_waitcnt lgkmcnt(0)
	v_lshrrev_b16_e32 v168, 8, v156
	v_dot4c_i32_i8_e32 v157, v200, v35
	v_bfe_i32 v215, v156, 0, 8
	v_bfe_i32 v216, v168, 0, 8
	v_mul_lo_u32 v156, v219, v216
	v_mul_lo_u32 v168, v238, v215
	;; [unrolled: 1-line block ×3, first 2 shown]
                                        ; kill: def $vgpr157 killed $sgpr0 killed $exec
	v_mad_u64_u32 v[168:169], s[20:21], v239, v216, v[168:169]
	v_mad_u64_u32 v[156:157], s[20:21], v214, v215, v[156:157]
	v_cvt_f32_i32_e32 v157, v156
	v_cvt_f32_i32_e32 v156, v168
	v_pk_mul_f32 v[224:225], v[152:153], v[232:233] op_sel_hi:[0,1]
	v_mov_b32_e32 v167, 0
	v_dot4c_i32_i8_e32 v167, v201, v36
	v_pk_fma_f32 v[24:25], v[224:225], v[156:157], v[24:25]
	v_mov_b32_e32 v156, 0
	v_dot4c_i32_i8_e32 v156, v205, v32
	ds_read_u16 v32, v220 offset:36594
	v_dot4c_i32_i8_e32 v156, v206, v33
	v_mov_b32_e32 v33, 0
	v_dot4c_i32_i8_e32 v33, v209, v36
	v_dot4c_i32_i8_e32 v167, v202, v37
	;; [unrolled: 1-line block ×7, first 2 shown]
	s_waitcnt lgkmcnt(0)
	v_lshrrev_b16_e32 v34, 8, v32
	v_bfe_i32 v213, v32, 0, 8
	v_dot4c_i32_i8_e32 v167, v204, v39
	v_mul_lo_u32 v170, v245, v216
	v_dot4c_i32_i8_e32 v33, v212, v39
	v_bfe_i32 v214, v34, 0, 8
	v_mul_lo_u32 v38, v156, v213
	v_mad_u64_u32 v[222:223], s[20:21], v167, v216, v[222:223]
	v_mad_u64_u32 v[170:171], s[20:21], v244, v215, v[170:171]
	v_mul_lo_u32 v32, v230, v214
	v_mul_lo_u32 v34, v240, v213
	;; [unrolled: 1-line block ×3, first 2 shown]
                                        ; kill: def $vgpr35 killed $sgpr0 killed $exec
	v_mad_u64_u32 v[38:39], s[20:21], v33, v214, v[38:39]
                                        ; kill: def $vgpr33 killed $sgpr0 killed $exec
	v_cvt_f32_i32_e32 v169, v170
	v_cvt_f32_i32_e32 v168, v222
	v_mad_u64_u32 v[36:37], s[20:21], v246, v213, v[36:37]
	v_mad_u64_u32 v[34:35], s[20:21], v241, v214, v[34:35]
	;; [unrolled: 1-line block ×3, first 2 shown]
	v_cvt_f32_i32_e32 v33, v32
	v_cvt_f32_i32_e32 v32, v34
	;; [unrolled: 1-line block ×4, first 2 shown]
	v_pk_mul_f32 v[226:227], v[152:153], v[234:235] op_sel_hi:[0,1]
	v_pk_fma_f32 v[26:27], v[226:227], v[168:169], v[26:27]
	v_pk_mul_f32 v[156:157], v[154:155], v[232:233] op_sel_hi:[0,1]
	v_pk_mul_f32 v[168:169], v[154:155], v[234:235] op_sel_hi:[0,1]
	v_pk_fma_f32 v[22:23], v[168:169], v[34:35], v[22:23]
	v_pk_fma_f32 v[20:21], v[156:157], v[32:33], v[20:21]
	ds_read2_b32 v[156:157], v188 offset0:128 offset1:160
	ds_read_b128 v[32:35], v187 offset:4096
	ds_read_b128 v[36:39], v187 offset:4112
	v_mov_b32_e32 v167, 0
	v_mov_b32_e32 v170, 0
	v_mov_b32_e32 v227, 0
	v_mov_b32_e32 v228, 0
	v_mov_b32_e32 v223, 0
	v_mov_b32_e32 v224, 0
	v_mov_b32_e32 v219, 0
	v_mov_b32_e32 v220, 0
	s_waitcnt lgkmcnt(1)
	v_dot4c_i32_i8_e32 v167, v158, v32
	s_waitcnt lgkmcnt(0)
	v_dot4c_i32_i8_e32 v170, v162, v36
	v_dot4c_i32_i8_e32 v227, v189, v32
	;; [unrolled: 1-line block ×31, first 2 shown]
	ds_read_b128 v[32:35], v187 offset:5120
	ds_read_b128 v[36:39], v187 offset:5136
	v_mov_b32_e32 v171, 0
	v_mov_b32_e32 v238, 0
	;; [unrolled: 1-line block ×8, first 2 shown]
	s_waitcnt lgkmcnt(1)
	v_dot4c_i32_i8_e32 v171, v158, v32
	s_waitcnt lgkmcnt(0)
	v_dot4c_i32_i8_e32 v238, v162, v36
	v_dot4c_i32_i8_e32 v230, v189, v32
	;; [unrolled: 1-line block ×31, first 2 shown]
	ds_read2_b32 v[168:169], v188 offset0:192 offset1:224
	ds_read_b128 v[32:35], v187 offset:6144
	ds_read_b128 v[36:39], v187 offset:6160
	v_mov_b32_e32 v239, 0
	v_mov_b32_e32 v240, 0
	;; [unrolled: 1-line block ×8, first 2 shown]
	s_waitcnt lgkmcnt(1)
	v_dot4c_i32_i8_e32 v239, v158, v32
	s_waitcnt lgkmcnt(0)
	v_dot4c_i32_i8_e32 v240, v162, v36
	v_dot4c_i32_i8_e32 v236, v189, v32
	v_dot4c_i32_i8_e32 v237, v193, v36
	v_dot4c_i32_i8_e32 v234, v197, v32
	v_dot4c_i32_i8_e32 v235, v201, v36
	v_dot4c_i32_i8_e32 v232, v205, v32
	v_dot4c_i32_i8_e32 v233, v209, v36
	v_dot4c_i32_i8_e32 v239, v159, v33
	v_dot4c_i32_i8_e32 v240, v163, v37
	v_dot4c_i32_i8_e32 v236, v190, v33
	v_dot4c_i32_i8_e32 v237, v194, v37
	v_dot4c_i32_i8_e32 v234, v198, v33
	v_dot4c_i32_i8_e32 v235, v202, v37
	v_dot4c_i32_i8_e32 v232, v206, v33
	v_dot4c_i32_i8_e32 v233, v210, v37
	v_dot4c_i32_i8_e32 v239, v160, v34
	v_dot4c_i32_i8_e32 v240, v164, v38
	v_dot4c_i32_i8_e32 v236, v191, v34
	v_dot4c_i32_i8_e32 v237, v195, v38
	v_dot4c_i32_i8_e32 v234, v199, v34
	v_dot4c_i32_i8_e32 v235, v203, v38
	v_dot4c_i32_i8_e32 v232, v207, v34
	v_dot4c_i32_i8_e32 v233, v211, v38
	v_dot4c_i32_i8_e32 v239, v161, v35
	v_dot4c_i32_i8_e32 v240, v165, v39
	v_dot4c_i32_i8_e32 v236, v192, v35
	v_dot4c_i32_i8_e32 v237, v196, v39
	v_dot4c_i32_i8_e32 v234, v200, v35
	v_dot4c_i32_i8_e32 v235, v204, v39
	v_dot4c_i32_i8_e32 v232, v208, v35
	v_dot4c_i32_i8_e32 v233, v212, v39
	ds_read_b128 v[36:39], v187 offset:7168
	ds_read_b128 v[32:35], v187 offset:7184
	v_mov_b32_e32 v241, 0
	s_add_i32 s17, s17, 2
	s_add_i32 s18, s18, 1
	s_waitcnt lgkmcnt(1)
	v_dot4c_i32_i8_e32 v241, v158, v36
	v_dot4c_i32_i8_e32 v241, v159, v37
	v_mov_b32_e32 v159, 0
	s_waitcnt lgkmcnt(0)
	v_dot4c_i32_i8_e32 v159, v162, v32
	v_dot4c_i32_i8_e32 v241, v160, v38
	;; [unrolled: 1-line block ×6, first 2 shown]
	v_mul_lo_u32 v160, v240, v231
	v_mul_lo_u32 v158, v241, v166
                                        ; kill: def $vgpr161 killed $sgpr0 killed $exec
	v_mul_lo_u32 v164, v170, v231
	v_mad_u64_u32 v[158:159], s[20:21], v159, v231, v[158:159]
	v_mad_u64_u32 v[160:161], s[20:21], v239, v166, v[160:161]
	v_cvt_f32_i32_e32 v159, v160
	v_cvt_f32_i32_e32 v158, v158
	v_mul_lo_u32 v162, v171, v166
	v_mad_u64_u32 v[164:165], s[20:21], v167, v166, v[164:165]
	v_mov_b32_e32 v166, v157
	v_mov_b32_e32 v167, v156
	;; [unrolled: 1-line block ×4, first 2 shown]
	v_pk_mul_f32 v[168:169], v[148:149], v[156:157] op_sel_hi:[0,1]
	v_mad_u64_u32 v[162:163], s[20:21], v238, v231, v[162:163]
	v_pk_fma_f32 v[14:15], v[168:169], v[158:159], v[14:15]
	v_mov_b32_e32 v159, 0
	v_cvt_f32_i32_e32 v163, v164
	v_cvt_f32_i32_e32 v162, v162
	v_dot4c_i32_i8_e32 v159, v189, v36
	v_dot4c_i32_i8_e32 v159, v190, v37
	v_mov_b32_e32 v161, 0
	v_dot4c_i32_i8_e32 v159, v191, v38
	v_dot4c_i32_i8_e32 v161, v193, v32
	v_pk_mul_f32 v[170:171], v[148:149], v[166:167] op_sel_hi:[0,1]
	v_dot4c_i32_i8_e32 v159, v192, v39
	v_dot4c_i32_i8_e32 v161, v194, v33
	v_pk_fma_f32 v[12:13], v[170:171], v[162:163], v[12:13]
	v_dot4c_i32_i8_e32 v161, v195, v34
	v_mul_lo_u32 v148, v228, v218
	v_mul_lo_u32 v158, v230, v217
	;; [unrolled: 1-line block ×3, first 2 shown]
                                        ; kill: def $vgpr159 killed $sgpr0 killed $exec
	v_dot4c_i32_i8_e32 v161, v196, v35
	v_mul_lo_u32 v160, v237, v218
	v_mad_u64_u32 v[158:159], s[20:21], v229, v218, v[158:159]
	v_mad_u64_u32 v[164:165], s[20:21], v227, v217, v[148:149]
	;; [unrolled: 1-line block ×4, first 2 shown]
	v_cvt_f32_i32_e32 v159, v164
	v_cvt_f32_i32_e32 v158, v158
	;; [unrolled: 1-line block ×4, first 2 shown]
	v_pk_mul_f32 v[168:169], v[150:151], v[166:167] op_sel_hi:[0,1]
	v_mul_lo_u32 v148, v224, v216
	v_pk_mul_f32 v[170:171], v[150:151], v[156:157] op_sel_hi:[0,1]
	v_pk_fma_f32 v[8:9], v[168:169], v[158:159], v[8:9]
	v_mov_b32_e32 v159, 0
	v_mad_u64_u32 v[164:165], s[20:21], v223, v215, v[148:149]
	v_mov_b32_e32 v148, 0
	v_pk_fma_f32 v[10:11], v[170:171], v[160:161], v[10:11]
	v_dot4c_i32_i8_e32 v159, v197, v36
	v_mov_b32_e32 v161, 0
	v_dot4c_i32_i8_e32 v148, v205, v36
	v_dot4c_i32_i8_e32 v159, v198, v37
	;; [unrolled: 1-line block ×4, first 2 shown]
	v_mov_b32_e32 v37, 0
	v_dot4c_i32_i8_e32 v159, v199, v38
	v_dot4c_i32_i8_e32 v161, v202, v33
	;; [unrolled: 1-line block ×8, first 2 shown]
	v_mul_lo_u32 v158, v235, v216
	v_mul_lo_u32 v160, v159, v215
                                        ; kill: def $vgpr159 killed $sgpr0 killed $exec
	v_dot4c_i32_i8_e32 v148, v208, v39
	v_dot4c_i32_i8_e32 v37, v211, v34
	v_mul_lo_u32 v150, v226, v215
	v_mad_u64_u32 v[160:161], s[20:21], v161, v216, v[160:161]
	v_mad_u64_u32 v[158:159], s[20:21], v234, v215, v[158:159]
	v_dot4c_i32_i8_e32 v37, v212, v35
	v_mul_lo_u32 v32, v220, v214
	v_mul_lo_u32 v34, v222, v213
	;; [unrolled: 1-line block ×4, first 2 shown]
                                        ; kill: def $vgpr33 killed $sgpr0 killed $exec
	v_mad_u64_u32 v[162:163], s[20:21], v225, v216, v[150:151]
	v_cvt_f32_i32_e32 v159, v158
	v_cvt_f32_i32_e32 v158, v160
	v_mad_u64_u32 v[38:39], s[20:21], v37, v214, v[38:39]
	v_mad_u64_u32 v[36:37], s[20:21], v232, v213, v[36:37]
	;; [unrolled: 1-line block ×4, first 2 shown]
	v_cvt_f32_i32_e32 v163, v164
	v_cvt_f32_i32_e32 v162, v162
	;; [unrolled: 1-line block ×6, first 2 shown]
	v_pk_mul_f32 v[170:171], v[152:153], v[156:157] op_sel_hi:[0,1]
	v_pk_mul_f32 v[168:169], v[152:153], v[166:167] op_sel_hi:[0,1]
	v_pk_fma_f32 v[6:7], v[170:171], v[158:159], v[6:7]
	v_pk_mul_f32 v[158:159], v[154:155], v[166:167] op_sel_hi:[0,1]
	v_pk_mul_f32 v[156:157], v[154:155], v[156:157] op_sel_hi:[0,1]
	v_pk_fma_f32 v[4:5], v[168:169], v[162:163], v[4:5]
	v_pk_fma_f32 v[2:3], v[156:157], v[34:35], v[2:3]
	;; [unrolled: 1-line block ×3, first 2 shown]
	v_add_u32_e32 v188, 4, v188
	v_add_u32_e32 v187, 32, v187
	s_cmp_lt_u32 s19, 30
	s_mov_b32 s21, s19
	s_cbranch_scc1 .LBB130_14
; %bb.15:                               ;   in Loop: Header=BB130_6 Depth=1
	s_barrier
	s_branch .LBB130_5
.LBB130_16:
	v_mov_b32_e32 v0, 0
	v_mov_b32_e32 v2, v0
	;; [unrolled: 1-line block ×4, first 2 shown]
	v_mov_b64_e32 v[22:23], v[2:3]
	v_mov_b64_e32 v[6:7], v[2:3]
	;; [unrolled: 1-line block ×14, first 2 shown]
	v_cmp_gt_u32_e32 vcc, s10, v47
	s_and_saveexec_b64 s[0:1], vcc
	s_cbranch_execnz .LBB130_19
.LBB130_17:
	s_endpgm
.LBB130_18:
	v_mov_b32_e32 v32, v77
	v_cmp_gt_u32_e32 vcc, s10, v47
	s_and_saveexec_b64 s[0:1], vcc
	s_cbranch_execz .LBB130_17
.LBB130_19:
	v_add_u32_e32 v33, s6, v41
	v_mul_lo_u32 v34, v47, s14
	v_cmp_gt_u32_e32 vcc, s14, v33
	s_and_saveexec_b64 s[0:1], vcc
	s_cbranch_execz .LBB130_21
; %bb.20:
	v_add_u32_e32 v36, v33, v34
	v_mov_b32_e32 v37, 0
	s_waitcnt lgkmcnt(0)
	v_lshl_add_u64 v[36:37], v[36:37], 2, s[12:13]
	global_store_dword v[36:37], v17, off
.LBB130_21:
	s_or_b64 exec, exec, s[0:1]
	v_add_u32_e32 v17, 32, v33
	v_cmp_gt_u32_e64 s[0:1], s14, v17
	s_and_saveexec_b64 s[2:3], s[0:1]
	s_cbranch_execz .LBB130_23
; %bb.22:
	v_add_u32_e32 v36, v17, v34
	v_mov_b32_e32 v37, 0
	s_waitcnt lgkmcnt(0)
	v_lshl_add_u64 v[36:37], v[36:37], 2, s[12:13]
	global_store_dword v[36:37], v29, off
.LBB130_23:
	s_or_b64 exec, exec, s[2:3]
	v_add_u32_e32 v29, 64, v33
	v_cmp_gt_u32_e64 s[2:3], s14, v29
	s_and_saveexec_b64 s[4:5], s[2:3]
	;; [unrolled: 12-line block ×3, first 2 shown]
	s_cbranch_execz .LBB130_27
; %bb.26:
	v_add_u32_e32 v34, v25, v34
	v_mov_b32_e32 v35, 0
	s_waitcnt lgkmcnt(0)
	v_lshl_add_u64 v[34:35], v[34:35], 2, s[12:13]
	global_store_dword v[34:35], v21, off
.LBB130_27:
	s_or_b64 exec, exec, s[6:7]
	v_add3_u32 v21, v32, s15, 8
	v_cmp_gt_u32_e64 s[6:7], s10, v21
	s_and_b64 exec, exec, s[6:7]
	s_cbranch_execz .LBB130_17
; %bb.28:
	v_mul_lo_u32 v21, v21, s14
	s_and_saveexec_b64 s[6:7], vcc
	s_cbranch_execnz .LBB130_68
; %bb.29:
	s_or_b64 exec, exec, s[6:7]
	s_and_saveexec_b64 s[6:7], s[0:1]
	s_cbranch_execnz .LBB130_69
.LBB130_30:
	s_or_b64 exec, exec, s[6:7]
	s_and_saveexec_b64 s[6:7], s[2:3]
	s_cbranch_execnz .LBB130_70
.LBB130_31:
	s_or_b64 exec, exec, s[6:7]
	s_and_saveexec_b64 s[6:7], s[4:5]
	s_cbranch_execz .LBB130_33
.LBB130_32:
	v_add_u32_e32 v34, v21, v25
	v_mov_b32_e32 v35, 0
	s_waitcnt lgkmcnt(0)
	v_lshl_add_u64 v[34:35], v[34:35], 2, s[12:13]
	global_store_dword v[34:35], v20, off
.LBB130_33:
	s_or_b64 exec, exec, s[6:7]
	v_add3_u32 v16, v32, s15, 16
	v_cmp_gt_u32_e64 s[6:7], s10, v16
	s_and_b64 exec, exec, s[6:7]
	s_cbranch_execz .LBB130_17
; %bb.34:
	v_mul_lo_u32 v16, v16, s14
	s_and_saveexec_b64 s[6:7], vcc
	s_cbranch_execnz .LBB130_71
; %bb.35:
	s_or_b64 exec, exec, s[6:7]
	s_and_saveexec_b64 s[6:7], s[0:1]
	s_cbranch_execnz .LBB130_72
.LBB130_36:
	s_or_b64 exec, exec, s[6:7]
	s_and_saveexec_b64 s[6:7], s[2:3]
	s_cbranch_execnz .LBB130_73
.LBB130_37:
	s_or_b64 exec, exec, s[6:7]
	s_and_saveexec_b64 s[6:7], s[4:5]
	s_cbranch_execz .LBB130_39
.LBB130_38:
	v_add_u32_e32 v20, v16, v25
	v_mov_b32_e32 v21, 0
	s_waitcnt lgkmcnt(0)
	v_lshl_add_u64 v[20:21], v[20:21], 2, s[12:13]
	global_store_dword v[20:21], v23, off
.LBB130_39:
	s_or_b64 exec, exec, s[6:7]
	v_add3_u32 v16, v32, s15, 24
	v_cmp_gt_u32_e64 s[6:7], s10, v16
	s_and_b64 exec, exec, s[6:7]
	s_cbranch_execz .LBB130_17
; %bb.40:
	v_mul_lo_u32 v16, v16, s14
	s_and_saveexec_b64 s[6:7], vcc
	s_cbranch_execnz .LBB130_74
; %bb.41:
	s_or_b64 exec, exec, s[6:7]
	s_and_saveexec_b64 s[6:7], s[0:1]
	s_cbranch_execnz .LBB130_75
.LBB130_42:
	s_or_b64 exec, exec, s[6:7]
	s_and_saveexec_b64 s[6:7], s[2:3]
	s_cbranch_execnz .LBB130_76
.LBB130_43:
	s_or_b64 exec, exec, s[6:7]
	s_and_saveexec_b64 s[6:7], s[4:5]
	s_cbranch_execz .LBB130_45
.LBB130_44:
	v_add_u32_e32 v18, v16, v25
	v_mov_b32_e32 v19, 0
	s_waitcnt lgkmcnt(0)
	v_lshl_add_u64 v[18:19], v[18:19], 2, s[12:13]
	global_store_dword v[18:19], v22, off
.LBB130_45:
	s_or_b64 exec, exec, s[6:7]
	v_add3_u32 v16, v32, s15, 32
	v_cmp_gt_u32_e64 s[6:7], s10, v16
	s_and_b64 exec, exec, s[6:7]
	s_cbranch_execz .LBB130_17
; %bb.46:
	v_mul_lo_u32 v16, v16, s14
	s_and_saveexec_b64 s[6:7], vcc
	s_cbranch_execnz .LBB130_77
; %bb.47:
	s_or_b64 exec, exec, s[6:7]
	s_and_saveexec_b64 s[6:7], s[0:1]
	s_cbranch_execnz .LBB130_78
.LBB130_48:
	s_or_b64 exec, exec, s[6:7]
	s_and_saveexec_b64 s[6:7], s[2:3]
	s_cbranch_execnz .LBB130_79
.LBB130_49:
	s_or_b64 exec, exec, s[6:7]
	s_and_saveexec_b64 s[6:7], s[4:5]
	s_cbranch_execz .LBB130_51
.LBB130_50:
	v_add_u32_e32 v18, v16, v25
	v_mov_b32_e32 v19, 0
	s_waitcnt lgkmcnt(0)
	v_lshl_add_u64 v[18:19], v[18:19], 2, s[12:13]
	global_store_dword v[18:19], v1, off
.LBB130_51:
	s_or_b64 exec, exec, s[6:7]
	v_add3_u32 v1, v32, s15, 40
	v_cmp_gt_u32_e64 s[6:7], s10, v1
	s_and_b64 exec, exec, s[6:7]
	s_cbranch_execz .LBB130_17
; %bb.52:
	v_mul_lo_u32 v1, v1, s14
	s_and_saveexec_b64 s[6:7], vcc
	s_cbranch_execnz .LBB130_80
; %bb.53:
	s_or_b64 exec, exec, s[6:7]
	s_and_saveexec_b64 s[6:7], s[0:1]
	s_cbranch_execnz .LBB130_81
.LBB130_54:
	s_or_b64 exec, exec, s[6:7]
	s_and_saveexec_b64 s[6:7], s[2:3]
	s_cbranch_execnz .LBB130_82
.LBB130_55:
	s_or_b64 exec, exec, s[6:7]
	s_and_saveexec_b64 s[6:7], s[4:5]
	s_cbranch_execz .LBB130_57
.LBB130_56:
	v_add_u32_e32 v4, v1, v25
	v_mov_b32_e32 v5, 0
	s_waitcnt lgkmcnt(0)
	v_lshl_add_u64 v[4:5], v[4:5], 2, s[12:13]
	global_store_dword v[4:5], v0, off
.LBB130_57:
	s_or_b64 exec, exec, s[6:7]
	v_add3_u32 v0, v32, s15, 48
	v_cmp_gt_u32_e64 s[6:7], s10, v0
	s_and_b64 exec, exec, s[6:7]
	s_cbranch_execz .LBB130_17
; %bb.58:
	v_mul_lo_u32 v0, v0, s14
	s_and_saveexec_b64 s[6:7], vcc
	s_cbranch_execnz .LBB130_83
; %bb.59:
	s_or_b64 exec, exec, s[6:7]
	s_and_saveexec_b64 s[6:7], s[0:1]
	s_cbranch_execnz .LBB130_84
.LBB130_60:
	s_or_b64 exec, exec, s[6:7]
	s_and_saveexec_b64 s[6:7], s[2:3]
	s_cbranch_execnz .LBB130_85
.LBB130_61:
	s_or_b64 exec, exec, s[6:7]
	s_and_saveexec_b64 s[6:7], s[4:5]
	s_cbranch_execz .LBB130_63
.LBB130_62:
	v_add_u32_e32 v0, v0, v25
	v_mov_b32_e32 v1, 0
	s_waitcnt lgkmcnt(0)
	v_lshl_add_u64 v[0:1], v[0:1], 2, s[12:13]
	global_store_dword v[0:1], v3, off
.LBB130_63:
	s_or_b64 exec, exec, s[6:7]
	v_add3_u32 v0, v32, s15, 56
	v_cmp_gt_u32_e64 s[6:7], s10, v0
	s_and_b64 exec, exec, s[6:7]
	s_cbranch_execz .LBB130_17
; %bb.64:
	v_mul_lo_u32 v0, v0, s14
	s_and_saveexec_b64 s[6:7], vcc
	s_cbranch_execnz .LBB130_86
; %bb.65:
	s_or_b64 exec, exec, s[6:7]
	s_and_saveexec_b64 s[6:7], s[0:1]
	s_cbranch_execnz .LBB130_87
.LBB130_66:
	s_or_b64 exec, exec, s[6:7]
	s_and_saveexec_b64 s[0:1], s[2:3]
	s_cbranch_execnz .LBB130_88
.LBB130_67:
	s_or_b64 exec, exec, s[0:1]
	s_and_b64 exec, exec, s[4:5]
	s_cbranch_execz .LBB130_17
	s_branch .LBB130_89
.LBB130_68:
	v_add_u32_e32 v34, v21, v33
	v_mov_b32_e32 v35, 0
	s_waitcnt lgkmcnt(0)
	v_lshl_add_u64 v[34:35], v[34:35], 2, s[12:13]
	global_store_dword v[34:35], v16, off
	s_or_b64 exec, exec, s[6:7]
	s_and_saveexec_b64 s[6:7], s[0:1]
	s_cbranch_execz .LBB130_30
.LBB130_69:
	v_add_u32_e32 v34, v21, v17
	v_mov_b32_e32 v35, 0
	s_waitcnt lgkmcnt(0)
	v_lshl_add_u64 v[34:35], v[34:35], 2, s[12:13]
	global_store_dword v[34:35], v28, off
	s_or_b64 exec, exec, s[6:7]
	s_and_saveexec_b64 s[6:7], s[2:3]
	s_cbranch_execz .LBB130_31
.LBB130_70:
	v_add_u32_e32 v34, v21, v29
	v_mov_b32_e32 v35, 0
	s_waitcnt lgkmcnt(0)
	v_lshl_add_u64 v[34:35], v[34:35], 2, s[12:13]
	global_store_dword v[34:35], v24, off
	s_or_b64 exec, exec, s[6:7]
	s_and_saveexec_b64 s[6:7], s[4:5]
	s_cbranch_execnz .LBB130_32
	s_branch .LBB130_33
.LBB130_71:
	v_add_u32_e32 v20, v16, v33
	v_mov_b32_e32 v21, 0
	s_waitcnt lgkmcnt(0)
	v_lshl_add_u64 v[20:21], v[20:21], 2, s[12:13]
	global_store_dword v[20:21], v19, off
	s_or_b64 exec, exec, s[6:7]
	s_and_saveexec_b64 s[6:7], s[0:1]
	s_cbranch_execz .LBB130_36
.LBB130_72:
	v_add_u32_e32 v20, v16, v17
	v_mov_b32_e32 v21, 0
	s_waitcnt lgkmcnt(0)
	v_lshl_add_u64 v[20:21], v[20:21], 2, s[12:13]
	global_store_dword v[20:21], v31, off
	s_or_b64 exec, exec, s[6:7]
	s_and_saveexec_b64 s[6:7], s[2:3]
	s_cbranch_execz .LBB130_37
.LBB130_73:
	v_add_u32_e32 v20, v16, v29
	v_mov_b32_e32 v21, 0
	s_waitcnt lgkmcnt(0)
	v_lshl_add_u64 v[20:21], v[20:21], 2, s[12:13]
	global_store_dword v[20:21], v27, off
	s_or_b64 exec, exec, s[6:7]
	s_and_saveexec_b64 s[6:7], s[4:5]
	s_cbranch_execnz .LBB130_38
	s_branch .LBB130_39
.LBB130_74:
	v_add_u32_e32 v20, v16, v33
	v_mov_b32_e32 v21, 0
	s_waitcnt lgkmcnt(0)
	v_lshl_add_u64 v[20:21], v[20:21], 2, s[12:13]
	global_store_dword v[20:21], v18, off
	s_or_b64 exec, exec, s[6:7]
	s_and_saveexec_b64 s[6:7], s[0:1]
	s_cbranch_execz .LBB130_42
.LBB130_75:
	v_add_u32_e32 v18, v16, v17
	v_mov_b32_e32 v19, 0
	s_waitcnt lgkmcnt(0)
	v_lshl_add_u64 v[18:19], v[18:19], 2, s[12:13]
	global_store_dword v[18:19], v30, off
	s_or_b64 exec, exec, s[6:7]
	s_and_saveexec_b64 s[6:7], s[2:3]
	s_cbranch_execz .LBB130_43
.LBB130_76:
	v_add_u32_e32 v18, v16, v29
	v_mov_b32_e32 v19, 0
	s_waitcnt lgkmcnt(0)
	v_lshl_add_u64 v[18:19], v[18:19], 2, s[12:13]
	global_store_dword v[18:19], v26, off
	s_or_b64 exec, exec, s[6:7]
	s_and_saveexec_b64 s[6:7], s[4:5]
	s_cbranch_execnz .LBB130_44
	s_branch .LBB130_45
.LBB130_77:
	v_add_u32_e32 v18, v16, v33
	v_mov_b32_e32 v19, 0
	s_waitcnt lgkmcnt(0)
	v_lshl_add_u64 v[18:19], v[18:19], 2, s[12:13]
	global_store_dword v[18:19], v13, off
	s_or_b64 exec, exec, s[6:7]
	s_and_saveexec_b64 s[6:7], s[0:1]
	s_cbranch_execz .LBB130_48
.LBB130_78:
	v_add_u32_e32 v18, v16, v17
	v_mov_b32_e32 v19, 0
	s_waitcnt lgkmcnt(0)
	v_lshl_add_u64 v[18:19], v[18:19], 2, s[12:13]
	global_store_dword v[18:19], v9, off
	s_or_b64 exec, exec, s[6:7]
	s_and_saveexec_b64 s[6:7], s[2:3]
	s_cbranch_execz .LBB130_49
.LBB130_79:
	v_add_u32_e32 v18, v16, v29
	v_mov_b32_e32 v19, 0
	s_waitcnt lgkmcnt(0)
	v_lshl_add_u64 v[18:19], v[18:19], 2, s[12:13]
	global_store_dword v[18:19], v5, off
	s_or_b64 exec, exec, s[6:7]
	s_and_saveexec_b64 s[6:7], s[4:5]
	s_cbranch_execnz .LBB130_50
	s_branch .LBB130_51
.LBB130_80:
	v_add_u32_e32 v18, v1, v33
	v_mov_b32_e32 v19, 0
	s_waitcnt lgkmcnt(0)
	v_lshl_add_u64 v[18:19], v[18:19], 2, s[12:13]
	global_store_dword v[18:19], v12, off
	s_or_b64 exec, exec, s[6:7]
	s_and_saveexec_b64 s[6:7], s[0:1]
	s_cbranch_execz .LBB130_54
.LBB130_81:
	v_add_u32_e32 v12, v1, v17
	v_mov_b32_e32 v13, 0
	s_waitcnt lgkmcnt(0)
	v_lshl_add_u64 v[12:13], v[12:13], 2, s[12:13]
	global_store_dword v[12:13], v8, off
	s_or_b64 exec, exec, s[6:7]
	s_and_saveexec_b64 s[6:7], s[2:3]
	s_cbranch_execz .LBB130_55
.LBB130_82:
	v_add_u32_e32 v8, v1, v29
	v_mov_b32_e32 v9, 0
	s_waitcnt lgkmcnt(0)
	v_lshl_add_u64 v[8:9], v[8:9], 2, s[12:13]
	global_store_dword v[8:9], v4, off
	s_or_b64 exec, exec, s[6:7]
	s_and_saveexec_b64 s[6:7], s[4:5]
	s_cbranch_execnz .LBB130_56
	s_branch .LBB130_57
.LBB130_83:
	v_add_u32_e32 v4, v0, v33
	v_mov_b32_e32 v5, 0
	s_waitcnt lgkmcnt(0)
	v_lshl_add_u64 v[4:5], v[4:5], 2, s[12:13]
	global_store_dword v[4:5], v15, off
	s_or_b64 exec, exec, s[6:7]
	s_and_saveexec_b64 s[6:7], s[0:1]
	s_cbranch_execz .LBB130_60
.LBB130_84:
	v_add_u32_e32 v4, v0, v17
	v_mov_b32_e32 v5, 0
	s_waitcnt lgkmcnt(0)
	v_lshl_add_u64 v[4:5], v[4:5], 2, s[12:13]
	global_store_dword v[4:5], v11, off
	s_or_b64 exec, exec, s[6:7]
	s_and_saveexec_b64 s[6:7], s[2:3]
	s_cbranch_execz .LBB130_61
.LBB130_85:
	v_add_u32_e32 v4, v0, v29
	v_mov_b32_e32 v5, 0
	s_waitcnt lgkmcnt(0)
	v_lshl_add_u64 v[4:5], v[4:5], 2, s[12:13]
	global_store_dword v[4:5], v7, off
	s_or_b64 exec, exec, s[6:7]
	s_and_saveexec_b64 s[6:7], s[4:5]
	s_cbranch_execnz .LBB130_62
	s_branch .LBB130_63
.LBB130_86:
	v_add_u32_e32 v4, v0, v33
	v_mov_b32_e32 v5, 0
	s_waitcnt lgkmcnt(0)
	v_lshl_add_u64 v[4:5], v[4:5], 2, s[12:13]
	global_store_dword v[4:5], v14, off
	s_or_b64 exec, exec, s[6:7]
	s_and_saveexec_b64 s[6:7], s[0:1]
	s_cbranch_execz .LBB130_66
.LBB130_87:
	v_add_u32_e32 v4, v0, v17
	v_mov_b32_e32 v5, 0
	s_waitcnt lgkmcnt(0)
	v_lshl_add_u64 v[4:5], v[4:5], 2, s[12:13]
	global_store_dword v[4:5], v10, off
	s_or_b64 exec, exec, s[6:7]
	s_and_saveexec_b64 s[0:1], s[2:3]
	s_cbranch_execz .LBB130_67
.LBB130_88:
	v_add_u32_e32 v4, v0, v29
	v_mov_b32_e32 v5, 0
	s_waitcnt lgkmcnt(0)
	v_lshl_add_u64 v[4:5], v[4:5], 2, s[12:13]
	global_store_dword v[4:5], v6, off
	s_or_b64 exec, exec, s[0:1]
	s_and_b64 exec, exec, s[4:5]
	s_cbranch_execz .LBB130_17
.LBB130_89:
	v_add_u32_e32 v0, v0, v25
	v_mov_b32_e32 v1, 0
	s_waitcnt lgkmcnt(0)
	v_lshl_add_u64 v[0:1], v[0:1], 2, s[12:13]
	global_store_dword v[0:1], v2, off
	s_endpgm
	.section	.rodata,"a",@progbits
	.p2align	6, 0x0
	.amdhsa_kernel _ZL12mul_mat_q3_KIfLb1EEvPKvS1_PT_iiiii
		.amdhsa_group_segment_fixed_size 39840
		.amdhsa_private_segment_fixed_size 0
		.amdhsa_kernarg_size 44
		.amdhsa_user_sgpr_count 2
		.amdhsa_user_sgpr_dispatch_ptr 0
		.amdhsa_user_sgpr_queue_ptr 0
		.amdhsa_user_sgpr_kernarg_segment_ptr 1
		.amdhsa_user_sgpr_dispatch_id 0
		.amdhsa_user_sgpr_kernarg_preload_length 0
		.amdhsa_user_sgpr_kernarg_preload_offset 0
		.amdhsa_user_sgpr_private_segment_size 0
		.amdhsa_uses_dynamic_stack 0
		.amdhsa_enable_private_segment 0
		.amdhsa_system_sgpr_workgroup_id_x 1
		.amdhsa_system_sgpr_workgroup_id_y 1
		.amdhsa_system_sgpr_workgroup_id_z 0
		.amdhsa_system_sgpr_workgroup_info 0
		.amdhsa_system_vgpr_workitem_id 1
		.amdhsa_next_free_vgpr 250
		.amdhsa_next_free_sgpr 96
		.amdhsa_accum_offset 252
		.amdhsa_reserve_vcc 1
		.amdhsa_float_round_mode_32 0
		.amdhsa_float_round_mode_16_64 0
		.amdhsa_float_denorm_mode_32 3
		.amdhsa_float_denorm_mode_16_64 3
		.amdhsa_dx10_clamp 1
		.amdhsa_ieee_mode 1
		.amdhsa_fp16_overflow 0
		.amdhsa_tg_split 0
		.amdhsa_exception_fp_ieee_invalid_op 0
		.amdhsa_exception_fp_denorm_src 0
		.amdhsa_exception_fp_ieee_div_zero 0
		.amdhsa_exception_fp_ieee_overflow 0
		.amdhsa_exception_fp_ieee_underflow 0
		.amdhsa_exception_fp_ieee_inexact 0
		.amdhsa_exception_int_div_zero 0
	.end_amdhsa_kernel
	.section	.text._ZL12mul_mat_q3_KIfLb1EEvPKvS1_PT_iiiii,"axG",@progbits,_ZL12mul_mat_q3_KIfLb1EEvPKvS1_PT_iiiii,comdat
.Lfunc_end130:
	.size	_ZL12mul_mat_q3_KIfLb1EEvPKvS1_PT_iiiii, .Lfunc_end130-_ZL12mul_mat_q3_KIfLb1EEvPKvS1_PT_iiiii
                                        ; -- End function
	.set _ZL12mul_mat_q3_KIfLb1EEvPKvS1_PT_iiiii.num_vgpr, 250
	.set _ZL12mul_mat_q3_KIfLb1EEvPKvS1_PT_iiiii.num_agpr, 0
	.set _ZL12mul_mat_q3_KIfLb1EEvPKvS1_PT_iiiii.numbered_sgpr, 26
	.set _ZL12mul_mat_q3_KIfLb1EEvPKvS1_PT_iiiii.num_named_barrier, 0
	.set _ZL12mul_mat_q3_KIfLb1EEvPKvS1_PT_iiiii.private_seg_size, 0
	.set _ZL12mul_mat_q3_KIfLb1EEvPKvS1_PT_iiiii.uses_vcc, 1
	.set _ZL12mul_mat_q3_KIfLb1EEvPKvS1_PT_iiiii.uses_flat_scratch, 0
	.set _ZL12mul_mat_q3_KIfLb1EEvPKvS1_PT_iiiii.has_dyn_sized_stack, 0
	.set _ZL12mul_mat_q3_KIfLb1EEvPKvS1_PT_iiiii.has_recursion, 0
	.set _ZL12mul_mat_q3_KIfLb1EEvPKvS1_PT_iiiii.has_indirect_call, 0
	.section	.AMDGPU.csdata,"",@progbits
; Kernel info:
; codeLenInByte = 31572
; TotalNumSgprs: 32
; NumVgprs: 250
; NumAgprs: 0
; TotalNumVgprs: 250
; ScratchSize: 0
; MemoryBound: 0
; FloatMode: 240
; IeeeMode: 1
; LDSByteSize: 39840 bytes/workgroup (compile time only)
; SGPRBlocks: 12
; VGPRBlocks: 31
; NumSGPRsForWavesPerEU: 102
; NumVGPRsForWavesPerEU: 250
; AccumOffset: 252
; Occupancy: 2
; WaveLimiterHint : 0
; COMPUTE_PGM_RSRC2:SCRATCH_EN: 0
; COMPUTE_PGM_RSRC2:USER_SGPR: 2
; COMPUTE_PGM_RSRC2:TRAP_HANDLER: 0
; COMPUTE_PGM_RSRC2:TGID_X_EN: 1
; COMPUTE_PGM_RSRC2:TGID_Y_EN: 1
; COMPUTE_PGM_RSRC2:TGID_Z_EN: 0
; COMPUTE_PGM_RSRC2:TIDIG_COMP_CNT: 1
; COMPUTE_PGM_RSRC3_GFX90A:ACCUM_OFFSET: 62
; COMPUTE_PGM_RSRC3_GFX90A:TG_SPLIT: 0
	.section	.text._ZL12mul_mat_q4_KIfLb0EEvPKvS1_PT_iiiii,"axG",@progbits,_ZL12mul_mat_q4_KIfLb0EEvPKvS1_PT_iiiii,comdat
	.globl	_ZL12mul_mat_q4_KIfLb0EEvPKvS1_PT_iiiii ; -- Begin function _ZL12mul_mat_q4_KIfLb0EEvPKvS1_PT_iiiii
	.p2align	8
	.type	_ZL12mul_mat_q4_KIfLb0EEvPKvS1_PT_iiiii,@function
_ZL12mul_mat_q4_KIfLb0EEvPKvS1_PT_iiiii: ; @_ZL12mul_mat_q4_KIfLb0EEvPKvS1_PT_iiiii
; %bb.0:
	s_load_dword s7, s[0:1], 0x18
	s_load_dwordx4 s[8:11], s[0:1], 0x20
	s_waitcnt lgkmcnt(0)
	s_lshl_b32 s11, s3, 6
	v_bfe_u32 v47, v0, 10, 10
	s_cmpk_gt_i32 s7, 0xff
	s_cbranch_scc1 .LBB131_2
; %bb.1:
	v_bfe_u32 v1, v0, 10, 10
	v_and_b32_e32 v41, 0x3ff, v0
	v_add_u32_e32 v55, s11, v1
	s_mov_b64 s[4:5], 0
	s_branch .LBB131_3
.LBB131_2:
	s_mov_b64 s[4:5], -1
                                        ; implicit-def: $vgpr1
                                        ; implicit-def: $vgpr41
                                        ; implicit-def: $vgpr55
.LBB131_3:
	s_load_dwordx2 s[12:13], s[0:1], 0x10
	s_lshl_b32 s6, s2, 7
	v_mov_b32_e32 v17, 0
	s_andn2_b64 vcc, exec, s[4:5]
	v_mov_b32_e32 v16, 0
	v_mov_b32_e32 v25, 0
	;; [unrolled: 1-line block ×31, first 2 shown]
	s_cbranch_vccnz .LBB131_11
; %bb.4:
	s_ashr_i32 s4, s7, 31
	s_load_dwordx4 s[0:3], s[0:1], 0x0
	s_lshr_b32 s4, s4, 24
	s_add_i32 s7, s7, s4
	s_ashr_i32 s5, s9, 31
	s_ashr_i32 s4, s7, 8
	s_lshr_b32 s5, s5, 27
	s_add_i32 s5, s9, s5
	s_mul_i32 s7, s4, s6
	s_ashr_i32 s15, s5, 5
	s_mul_hi_i32 s9, s7, 0x90
	s_mulk_i32 s7, 0x90
	s_waitcnt lgkmcnt(0)
	s_add_u32 s7, s0, s7
	s_addc_u32 s9, s1, s9
	s_lshl_b32 s0, s4, 3
	v_and_b32_e32 v41, 0x3ff, v0
	v_mov_b32_e32 v1, s0
	v_lshlrev_b32_e32 v71, 5, v47
	v_mad_i32_i24 v46, s4, v47, v1
	v_add_u32_e32 v1, v71, v41
	v_and_b32_e32 v2, 0x7f, v1
	v_lshrrev_b32_e32 v1, 3, v1
	v_mul_i32_i24_e32 v54, s4, v2
	v_and_b32_e32 v1, 12, v1
	v_lshlrev_b32_e32 v2, 2, v2
	s_movk_i32 s18, 0x6e40
	v_add3_u32 v73, v2, v1, s18
	v_and_b32_e32 v2, 3, v0
	v_add_u32_e32 v4, 0xfe, v2
	v_lshlrev_b32_e32 v1, 3, v47
	v_bfe_u32 v8, v0, 2, 8
	v_and_b32_e32 v4, 0xff, v4
	v_cmp_gt_u32_e32 vcc, 2, v2
	v_add_u32_e32 v17, v8, v1
	v_add_u16_e32 v1, v8, v1
	v_cndmask_b32_e32 v9, v4, v2, vcc
	v_cmp_ne_u32_e32 vcc, 0, v2
	v_lshlrev_b32_e32 v77, 1, v9
	v_lshlrev_b32_e32 v18, 2, v2
	v_addc_co_u32_e32 v4, vcc, 0, v9, vcc
	v_and_b32_e32 v9, 0x7f, v17
	v_lshrrev_b16_e32 v1, 1, v1
	v_mul_i32_i24_e32 v56, s4, v9
	v_lshl_or_b32 v9, v9, 4, v18
	v_and_b32_e32 v1, 60, v1
	s_movk_i32 s16, 0x6200
	v_add3_u32 v79, v9, v1, s16
	v_mov_b32_e32 v1, 0x7f
	v_bitop3_b32 v1, v17, 64, v1 bitop3:0x6c
	v_mul_i32_i24_e32 v58, s4, v1
	v_lshl_or_b32 v8, v1, 4, v18
	v_lshrrev_b32_e32 v1, 1, v1
	v_and_b32_e32 v1, 60, v1
	v_add3_u32 v81, v8, v1, s16
	v_and_b32_e32 v1, 31, v0
	v_mov_b32_e32 v19, 0x4200
	v_lshl_or_b32 v19, v1, 2, v19
	v_and_b32_e32 v1, 63, v17
	s_add_i32 s16, s8, -1
	v_or_b32_e32 v17, s11, v1
	v_lshlrev_b32_e32 v3, 2, v41
	v_min_i32_e32 v17, s16, v17
	v_add_u32_e32 v55, s11, v47
	v_cvt_f64_i32_e32 v[8:9], s16
	v_mad_u64_u32 v[60:61], s[16:17], v17, s15, v[2:3]
	v_lshl_or_b32 v1, v1, 4, v18
	v_bfe_u32 v40, v0, 5, 5
	v_add_u32_e32 v61, 0x6a40, v1
	v_bfe_u32 v83, v0, 3, 7
	v_cvt_f64_u32_e32 v[0:1], v55
	v_min_f64 v[0:1], v[0:1], v[8:9]
	v_cvt_i32_f64_e32 v0, v[0:1]
	v_mul_lo_u32 v85, s15, v0
	v_add_u32_e32 v0, 8, v55
	v_cvt_f64_u32_e32 v[0:1], v0
	v_min_f64 v[0:1], v[0:1], v[8:9]
	v_cvt_i32_f64_e32 v0, v[0:1]
	v_mul_lo_u32 v87, s15, v0
	v_add_u32_e32 v0, 16, v55
	;; [unrolled: 5-line block ×7, first 2 shown]
	v_add_u32_e32 v70, s0, v46
	v_cvt_f64_u32_e32 v[0:1], v0
	v_add_u32_e32 v72, s0, v70
	v_min_f64 v[0:1], v[0:1], v[8:9]
	v_add_u32_e32 v74, s0, v72
	v_cvt_i32_f64_e32 v0, v[0:1]
	v_lshlrev_b32_e32 v1, 2, v40
	v_add_u32_e32 v76, s0, v74
	v_add3_u32 v117, v1, v3, s18
	v_add_u32_e32 v1, 32, v41
	v_add_u32_e32 v78, s0, v76
	v_lshrrev_b32_e32 v119, 3, v1
	v_add_u32_e32 v80, s0, v78
	v_lshlrev_b32_e32 v8, 2, v1
	v_and_b32_e32 v1, 60, v119
	v_add_u32_e32 v82, s0, v80
	v_add3_u32 v121, v3, v1, s18
	v_add_u32_e32 v1, 64, v41
	v_add_u32_e32 v84, s0, v82
	;; [unrolled: 1-line block ×3, first 2 shown]
	v_lshlrev_b32_e32 v9, 2, v1
	v_lshrrev_b32_e32 v1, 3, v1
	v_add_u32_e32 v86, s0, v84
	s_movk_i32 s1, 0x84
	v_lshlrev_b32_e32 v17, 7, v5
	v_and_b32_e32 v24, 60, v1
	v_lshlrev_b32_e32 v127, 5, v5
	v_mov_b32_e32 v5, 0x1080
	v_add_u32_e32 v88, s0, v86
	v_add3_u32 v123, v3, v24, s18
	v_add_u32_e32 v24, 0x60, v41
	v_mad_u32_u24 v144, v41, s1, v5
	v_mov_b32_e32 v5, 0x2100
	v_add_u32_e32 v90, s0, v88
	v_mov_b32_e32 v43, 0
	v_add_u32_e32 v7, 16, v47
	v_add_u32_e32 v12, 24, v47
	;; [unrolled: 1-line block ×6, first 2 shown]
	v_and_b32_e32 v6, 4, v3
	v_cmp_lt_u32_e32 vcc, 1, v2
	v_lshlrev_b32_e32 v25, 2, v24
	v_lshrrev_b32_e32 v24, 3, v24
	v_mad_u32_u24 v145, v41, s1, v5
	v_mov_b32_e32 v5, 0x3180
	v_add_u32_e32 v92, s0, v90
	v_mad_u32_u24 v57, v47, s1, v3
	v_cndmask_b32_e32 v75, 0, v6, vcc
	v_cndmask_b32_e64 v6, 0, 1, vcc
	v_and_b32_e32 v10, 28, v3
	v_mov_b32_e32 v11, v43
	v_lshlrev_b32_e32 v2, 7, v47
	v_lshlrev_b32_e32 v18, 7, v7
	;; [unrolled: 1-line block ×6, first 2 shown]
	v_mul_lo_u32 v115, s15, v0
	v_lshlrev_b32_e32 v0, 7, v16
	v_and_b32_e32 v26, 60, v24
	v_mad_u32_u24 v146, v41, s1, v5
	v_mov_b32_e32 v5, 0x6a40
	v_mov_b32_e32 v50, v43
	v_mov_b32_e32 v51, v43
	v_add_u32_e32 v94, s0, v92
	s_movk_i32 s5, 0x90
	s_mov_b32 s14, 0
	v_and_b32_e32 v42, 0x7c, v3
	v_add_u32_e32 v59, 0x39c0, v57
	v_add_u32_e32 v69, 0x3de0, v57
	v_add3_u32 v125, v3, v26, s18
	v_lshlrev_b32_e32 v129, 5, v7
	v_lshlrev_b32_e32 v138, 5, v12
	;; [unrolled: 1-line block ×6, first 2 shown]
	v_mul_u32_u24_e32 v143, 0x84, v41
	v_lshl_add_u64 v[62:63], s[2:3], 0, v[10:11]
	v_mad_u32_u24 v147, v41, s1, 64
	v_lshl_add_u32 v148, v47, 4, v5
	v_add_u32_e32 v149, 0x4200, v2
	v_lshlrev_b32_e32 v150, 4, v41
	v_lshlrev_b32_e32 v151, 2, v24
	;; [unrolled: 1-line block ×4, first 2 shown]
	v_add_u32_e32 v154, v19, v2
	v_add_u32_e32 v155, v19, v17
	;; [unrolled: 1-line block ×8, first 2 shown]
	v_lshlrev_b32_e32 v64, 2, v4
	v_mov_b32_e32 v65, v43
	v_lshlrev_b32_e32 v66, 2, v6
	v_mov_b32_e32 v67, v43
	s_mov_b32 s15, 0x30303030
	v_lshlrev_b32_e32 v162, 2, v3
	v_lshlrev_b32_e32 v163, 2, v8
	;; [unrolled: 1-line block ×5, first 2 shown]
	v_mul_i32_i24_e32 v68, s4, v47
	v_add_u32_e32 v96, s0, v94
	v_mov_b64_e32 v[38:39], v[50:51]
	v_mov_b64_e32 v[30:31], v[50:51]
	;; [unrolled: 1-line block ×15, first 2 shown]
.LBB131_5:                              ; =>This Loop Header: Depth=1
                                        ;     Child Loop BB131_6 Depth 2
                                        ;     Child Loop BB131_8 Depth 2
	s_mul_i32 s0, s14, 0x90
	s_mul_hi_u32 s1, s14, 0x90
	s_add_u32 s0, s7, s0
	s_addc_u32 s1, s9, s1
	v_mov_b64_e32 v[0:1], s[0:1]
	v_mad_u64_u32 v[2:3], s[0:1], v40, s5, v[0:1]
	v_mad_u64_u32 v[4:5], s[0:1], v68, s5, v[2:3]
	;; [unrolled: 1-line block ×3, first 2 shown]
	v_lshl_add_u64 v[4:5], v[4:5], 0, v[42:43]
	v_mad_u64_u32 v[6:7], s[0:1], v46, s5, v[2:3]
	v_mad_u64_u32 v[8:9], s[0:1], v70, s5, v[2:3]
	;; [unrolled: 1-line block ×6, first 2 shown]
	v_lshl_add_u64 v[100:101], v[100:101], 0, v[42:43]
	v_lshl_add_u64 v[6:7], v[6:7], 0, v[42:43]
	;; [unrolled: 1-line block ×7, first 2 shown]
	global_load_dword v102, v[4:5], off offset:16
	global_load_dword v103, v[6:7], off offset:16
	;; [unrolled: 1-line block ×7, first 2 shown]
	s_nop 0
	global_load_dword v100, v[100:101], off offset:16
	v_mad_u64_u32 v[4:5], s[0:1], v82, s5, v[2:3]
	v_mad_u64_u32 v[98:99], s[0:1], v94, s5, v[2:3]
	v_lshl_add_u64 v[4:5], v[4:5], 0, v[42:43]
	v_mad_u64_u32 v[6:7], s[0:1], v84, s5, v[2:3]
	v_mad_u64_u32 v[8:9], s[0:1], v86, s5, v[2:3]
	;; [unrolled: 1-line block ×5, first 2 shown]
	v_lshl_add_u64 v[98:99], v[98:99], 0, v[42:43]
	v_mad_u64_u32 v[2:3], s[0:1], v96, s5, v[2:3]
	v_lshl_add_u64 v[6:7], v[6:7], 0, v[42:43]
	v_lshl_add_u64 v[8:9], v[8:9], 0, v[42:43]
	;; [unrolled: 1-line block ×6, first 2 shown]
	global_load_dword v101, v[4:5], off offset:16
	global_load_dword v109, v[6:7], off offset:16
	;; [unrolled: 1-line block ×6, first 2 shown]
	s_nop 0
	global_load_dword v98, v[98:99], off offset:16
	s_nop 0
	global_load_dword v99, v[2:3], off offset:16
	v_mad_u64_u32 v[2:3], s[0:1], v54, s5, v[0:1]
	v_mad_u64_u32 v[4:5], s[0:1], v56, s5, v[0:1]
	;; [unrolled: 1-line block ×3, first 2 shown]
	s_lshl_b32 s16, s14, 3
	v_lshl_add_u64 v[6:7], v[4:5], 0, v[64:65]
	v_lshl_add_u64 v[4:5], v[4:5], 0, v[66:67]
	;; [unrolled: 1-line block ×4, first 2 shown]
	global_load_dword v114, v[2:3], off
	global_load_dword v116, v[6:7], off offset:4
	global_load_dword v118, v[4:5], off offset:4
	;; [unrolled: 1-line block ×4, first 2 shown]
	v_add_u32_e32 v14, s16, v83
	v_add_u32_e32 v0, v14, v85
	;; [unrolled: 1-line block ×6, first 2 shown]
	v_mad_i64_i32 v[0:1], s[0:1], v0, 36, v[62:63]
	v_mad_i64_i32 v[2:3], s[0:1], v2, 36, v[62:63]
	;; [unrolled: 1-line block ×5, first 2 shown]
	v_add_u32_e32 v10, v14, v95
	v_add_u32_e32 v12, v14, v97
	;; [unrolled: 1-line block ×3, first 2 shown]
	v_mad_i64_i32 v[10:11], s[0:1], v10, 36, v[62:63]
	v_mad_i64_i32 v[12:13], s[0:1], v12, 36, v[62:63]
	;; [unrolled: 1-line block ×3, first 2 shown]
	global_load_dword v124, v[0:1], off offset:4
	s_nop 0
	global_load_dword v2, v[2:3], off offset:4
	s_nop 0
	;; [unrolled: 2-line block ×3, first 2 shown]
	global_load_dword v4, v[6:7], off offset:4
	global_load_dword v5, v[8:9], off offset:4
	s_nop 0
	global_load_dword v6, v[10:11], off offset:4
	global_load_dword v7, v[12:13], off offset:4
	;; [unrolled: 1-line block ×3, first 2 shown]
	v_add_u32_e32 v167, s16, v60
	v_mad_u64_u32 v[0:1], s[0:1], v167, 36, s[2:3]
	global_load_dword v0, v[0:1], off
	v_add_u32_e32 v1, 0x420, v57
	s_mov_b64 s[0:1], -1
	s_mov_b32 s18, 0
	s_waitcnt vmcnt(29)
	ds_write_b32 v57, v102
	s_waitcnt vmcnt(28)
	ds_write_b32 v1, v103
	v_add_u32_e32 v1, 0x840, v57
	s_waitcnt vmcnt(27)
	ds_write_b32 v1, v104
	v_add_u32_e32 v1, 0xc60, v57
	s_waitcnt vmcnt(26)
	ds_write_b32 v1, v105
	v_add_u32_e32 v1, 0x1080, v57
	s_waitcnt vmcnt(25)
	ds_write_b32 v1, v106
	v_add_u32_e32 v1, 0x14a0, v57
	s_waitcnt vmcnt(24)
	ds_write_b32 v1, v107
	v_add_u32_e32 v1, 0x18c0, v57
	s_waitcnt vmcnt(23)
	ds_write_b32 v1, v108
	v_add_u32_e32 v1, 0x1ce0, v57
	s_waitcnt vmcnt(22)
	ds_write_b32 v1, v100
	v_add_u32_e32 v1, 0x2100, v57
	s_waitcnt vmcnt(21)
	ds_write_b32 v1, v101
	v_add_u32_e32 v1, 0x2520, v57
	s_waitcnt vmcnt(20)
	ds_write_b32 v1, v109
	v_add_u32_e32 v1, 0x2940, v57
	s_waitcnt vmcnt(19)
	ds_write_b32 v1, v110
	v_add_u32_e32 v1, 0x2d60, v57
	s_waitcnt vmcnt(18)
	ds_write_b32 v1, v111
	v_add_u32_e32 v1, 0x3180, v57
	s_waitcnt vmcnt(17)
	ds_write_b32 v1, v112
	v_add_u32_e32 v1, 0x35a0, v57
	s_waitcnt vmcnt(16)
	ds_write_b32 v1, v113
	s_waitcnt vmcnt(15)
	ds_write_b32 v59, v98
	;; [unrolled: 2-line block ×4, first 2 shown]
	s_waitcnt vmcnt(12)
	v_ashrrev_i32_e32 v1, v75, v116
	v_and_b32_e32 v1, 0xf0f0f0f, v1
	s_waitcnt vmcnt(11)
	v_ashrrev_i32_e32 v9, v77, v118
	v_and_or_b32 v1, v9, s15, v1
	ds_write_b32 v79, v1
	s_waitcnt vmcnt(10)
	v_ashrrev_i32_e32 v1, v75, v120
	v_and_b32_e32 v1, 0xf0f0f0f, v1
	s_waitcnt vmcnt(9)
	v_ashrrev_i32_e32 v9, v77, v122
	v_and_or_b32 v1, v9, s15, v1
	ds_write_b32 v81, v1
	s_waitcnt vmcnt(8)
	ds_write_b32 v154, v124
	s_waitcnt vmcnt(7)
	;; [unrolled: 2-line block ×9, first 2 shown]
	ds_write_b32 v61, v0
	s_waitcnt lgkmcnt(0)
	s_barrier
	ds_read_b32 v0, v117
	ds_read_b32 v1, v121 offset:128
	ds_read_b32 v2, v123 offset:256
	;; [unrolled: 1-line block ×3, first 2 shown]
	s_waitcnt lgkmcnt(3)
	v_cvt_f32_f16_e32 v98, v0
	v_cvt_f32_f16_sdwa v100, v0 dst_sel:DWORD dst_unused:UNUSED_PAD src0_sel:WORD_1
	s_waitcnt lgkmcnt(2)
	v_cvt_f32_f16_e32 v102, v1
	v_cvt_f32_f16_sdwa v104, v1 dst_sel:DWORD dst_unused:UNUSED_PAD src0_sel:WORD_1
	;; [unrolled: 3-line block ×4, first 2 shown]
	v_mov_b32_e32 v99, v98
	v_mov_b32_e32 v101, v100
	;; [unrolled: 1-line block ×8, first 2 shown]
.LBB131_6:                              ;   Parent Loop BB131_5 Depth=1
                                        ; =>  This Inner Loop Header: Depth=2
	s_lshl_b32 s17, s18, 1
	s_lshr_b32 s19, s18, 2
	v_or_b32_e32 v0, s17, v71
	s_lshl_b32 s18, s18, 2
	v_lshlrev_b32_e32 v1, 2, v0
	v_add_u32_e32 v116, s18, v143
	s_addk_i32 s19, 0x6200
	v_lshrrev_b32_e32 v130, 1, v0
	ds_read_b128 v[12:15], v1 offset:16896
	ds_read_b128 v[8:11], v1 offset:16912
	;; [unrolled: 1-line block ×4, first 2 shown]
	ds_read2_b32 v[132:133], v116 offset1:1
	ds_read2_b32 v[134:135], v116 offset0:2 offset1:3
	ds_read2_b32 v[136:137], v116 offset0:4 offset1:5
	ds_read2_b32 v[168:169], v116 offset0:6 offset1:7
	v_add3_u32 v114, s19, v166, v162
	ds_read_u16 v116, v114
	ds_read_u16 v114, v114 offset:8
	s_waitcnt lgkmcnt(5)
	v_lshrrev_b32_e32 v120, 4, v132
	v_and_b32_e32 v190, 0xf0f0f0f, v120
	v_lshrrev_b32_e32 v120, 4, v133
	s_waitcnt lgkmcnt(1)
	v_and_b32_e32 v180, 0xff, v116
	v_lshrrev_b16_e32 v181, 8, v116
	v_add_u32_e32 v116, s18, v144
	v_and_b32_e32 v182, 0xf0f0f0f, v132
	v_and_b32_e32 v183, 0xf0f0f0f, v133
	;; [unrolled: 1-line block ×3, first 2 shown]
	v_lshrrev_b32_e32 v120, 4, v134
	ds_read2_b32 v[132:133], v116 offset1:1
	v_and_b32_e32 v193, 0xf0f0f0f, v120
	v_lshrrev_b32_e32 v120, 4, v135
	v_and_b32_e32 v184, 0xf0f0f0f, v134
	v_and_b32_e32 v185, 0xf0f0f0f, v135
	v_and_b32_e32 v194, 0xf0f0f0f, v120
	v_lshrrev_b32_e32 v120, 4, v136
	ds_read2_b32 v[134:135], v116 offset0:2 offset1:3
	v_and_b32_e32 v195, 0xf0f0f0f, v120
	v_lshrrev_b32_e32 v120, 4, v137
	v_and_b32_e32 v186, 0xf0f0f0f, v136
	v_and_b32_e32 v187, 0xf0f0f0f, v137
	;; [unrolled: 1-line block ×3, first 2 shown]
	v_lshrrev_b32_e32 v120, 4, v168
	ds_read2_b32 v[136:137], v116 offset0:4 offset1:5
	v_and_b32_e32 v188, 0xf0f0f0f, v168
	v_and_b32_e32 v189, 0xf0f0f0f, v169
	;; [unrolled: 1-line block ×3, first 2 shown]
	v_lshrrev_b32_e32 v120, 4, v169
	ds_read2_b32 v[168:169], v116 offset0:6 offset1:7
	s_waitcnt lgkmcnt(3)
	v_lshrrev_b32_e32 v124, 4, v132
	v_and_b32_e32 v207, 0xf0f0f0f, v124
	v_lshrrev_b32_e32 v124, 4, v133
	v_cvt_f32_ubyte0_e32 v118, v114
	v_and_b32_e32 v198, 0xf0f0f0f, v120
	v_cvt_f32_ubyte1_e32 v120, v114
	v_add3_u32 v114, s19, v153, v163
	v_and_b32_e32 v208, 0xf0f0f0f, v124
	s_waitcnt lgkmcnt(2)
	v_lshrrev_b32_e32 v124, 4, v134
	ds_read_u16 v116, v114
	ds_read_u16 v114, v114 offset:8
	v_and_b32_e32 v209, 0xf0f0f0f, v124
	v_lshrrev_b32_e32 v124, 4, v135
	v_and_b32_e32 v210, 0xf0f0f0f, v124
	s_waitcnt lgkmcnt(3)
	v_lshrrev_b32_e32 v124, 4, v136
	v_and_b32_e32 v211, 0xf0f0f0f, v124
	v_lshrrev_b32_e32 v124, 4, v137
	v_and_b32_e32 v213, 0xf0f0f0f, v124
	s_waitcnt lgkmcnt(2)
	v_lshrrev_b32_e32 v124, 4, v168
	s_waitcnt lgkmcnt(1)
	v_and_b32_e32 v201, 0xff, v116
	v_and_b32_e32 v214, 0xf0f0f0f, v124
	v_lshrrev_b32_e32 v124, 4, v169
	v_lshrrev_b16_e32 v212, 8, v116
	v_add_u32_e32 v116, s18, v145
	v_and_b32_e32 v178, 0xf0f0f0f, v132
	v_and_b32_e32 v199, 0xf0f0f0f, v133
	s_waitcnt lgkmcnt(0)
	v_cvt_f32_ubyte0_e32 v122, v114
	v_and_b32_e32 v215, 0xf0f0f0f, v124
	v_cvt_f32_ubyte1_e32 v124, v114
	v_add3_u32 v114, s19, v152, v164
	ds_read2_b32 v[132:133], v116 offset1:1
	v_and_b32_e32 v200, 0xf0f0f0f, v134
	v_and_b32_e32 v202, 0xf0f0f0f, v135
	;; [unrolled: 1-line block ×6, first 2 shown]
	ds_read2_b32 v[134:135], v116 offset0:2 offset1:3
	ds_read2_b32 v[136:137], v116 offset0:4 offset1:5
	;; [unrolled: 1-line block ×3, first 2 shown]
	ds_read_u16 v116, v114
	ds_read_u16 v114, v114 offset:8
	s_waitcnt lgkmcnt(5)
	v_lshrrev_b32_e32 v128, 4, v132
	v_and_b32_e32 v179, 0xf0f0f0f, v132
	v_and_b32_e32 v216, 0xf0f0f0f, v133
	s_waitcnt lgkmcnt(1)
	v_and_b32_e32 v218, 0xff, v116
	v_lshrrev_b16_e32 v229, 8, v116
	v_add_u32_e32 v116, s18, v146
	v_and_b32_e32 v224, 0xf0f0f0f, v128
	v_lshrrev_b32_e32 v128, 4, v133
	ds_read2_b32 v[132:133], v116 offset1:1
	v_mov_b32_e32 v240, 0
	v_mov_b32_e32 v242, 0
	;; [unrolled: 1-line block ×4, first 2 shown]
	s_waitcnt lgkmcnt(0)
	v_and_b32_e32 v192, 0xf0f0f0f, v132
	v_dot4c_i32_i8_e32 v240, v182, v12
	v_dot4c_i32_i8_e32 v242, v178, v12
	;; [unrolled: 1-line block ×4, first 2 shown]
	v_and_b32_e32 v236, 0xf0f0f0f, v133
	v_dot4c_i32_i8_e32 v240, v183, v13
	v_dot4c_i32_i8_e32 v242, v199, v13
	v_dot4c_i32_i8_e32 v244, v216, v13
	v_dot4c_i32_i8_e32 v246, v236, v13
	ds_read2_b32 v[12:13], v116 offset0:2 offset1:3
	v_and_b32_e32 v217, 0xf0f0f0f, v134
	v_dot4c_i32_i8_e32 v240, v184, v14
	v_dot4c_i32_i8_e32 v242, v200, v14
	;; [unrolled: 1-line block ×3, first 2 shown]
	s_waitcnt lgkmcnt(0)
	v_and_b32_e32 v234, 0xf0f0f0f, v12
	v_and_b32_e32 v219, 0xf0f0f0f, v135
	v_dot4c_i32_i8_e32 v246, v234, v14
	v_and_b32_e32 v233, 0xf0f0f0f, v13
	v_dot4c_i32_i8_e32 v240, v185, v15
	v_dot4c_i32_i8_e32 v242, v202, v15
	;; [unrolled: 1-line block ×4, first 2 shown]
	ds_read2_b32 v[14:15], v116 offset0:4 offset1:5
	v_and_b32_e32 v220, 0xf0f0f0f, v136
	v_dot4c_i32_i8_e32 v240, v186, v8
	v_dot4c_i32_i8_e32 v242, v203, v8
	;; [unrolled: 1-line block ×3, first 2 shown]
	s_waitcnt lgkmcnt(0)
	v_and_b32_e32 v235, 0xf0f0f0f, v14
	v_and_b32_e32 v221, 0xf0f0f0f, v137
	v_dot4c_i32_i8_e32 v246, v235, v8
	v_and_b32_e32 v237, 0xf0f0f0f, v15
	v_dot4c_i32_i8_e32 v240, v187, v9
	v_dot4c_i32_i8_e32 v242, v204, v9
	;; [unrolled: 1-line block ×3, first 2 shown]
	v_and_b32_e32 v225, 0xf0f0f0f, v128
	v_lshrrev_b32_e32 v128, 4, v134
	v_dot4c_i32_i8_e32 v246, v237, v9
	ds_read2_b32 v[8:9], v116 offset0:6 offset1:7
	v_and_b32_e32 v226, 0xf0f0f0f, v128
	v_lshrrev_b32_e32 v128, 4, v135
	v_and_b32_e32 v227, 0xf0f0f0f, v128
	v_lshrrev_b32_e32 v128, 4, v136
	;; [unrolled: 2-line block ×4, first 2 shown]
	v_and_b32_e32 v222, 0xf0f0f0f, v168
	v_and_b32_e32 v231, 0xf0f0f0f, v128
	v_lshrrev_b32_e32 v128, 4, v169
	s_waitcnt lgkmcnt(0)
	v_and_b32_e32 v238, 0xf0f0f0f, v8
	v_dot4c_i32_i8_e32 v240, v188, v10
	v_dot4c_i32_i8_e32 v242, v205, v10
	;; [unrolled: 1-line block ×3, first 2 shown]
	v_and_b32_e32 v223, 0xf0f0f0f, v169
	v_cvt_f32_ubyte0_e32 v126, v114
	v_and_b32_e32 v232, 0xf0f0f0f, v128
	v_cvt_f32_ubyte1_e32 v128, v114
	v_add3_u32 v114, s19, v151, v165
	v_dot4c_i32_i8_e32 v246, v238, v10
	v_and_b32_e32 v239, 0xf0f0f0f, v9
	v_dot4c_i32_i8_e32 v240, v189, v11
	v_dot4c_i32_i8_e32 v242, v206, v11
	;; [unrolled: 1-line block ×4, first 2 shown]
	ds_read_u16 v10, v114
	ds_read_u16 v11, v114 offset:8
	v_lshrrev_b32_e32 v114, 4, v132
	v_mov_b32_e32 v241, 0
	v_mov_b32_e32 v243, 0
	;; [unrolled: 1-line block ×3, first 2 shown]
	v_and_b32_e32 v177, 0xf0f0f0f, v114
	v_mov_b32_e32 v247, 0
	v_dot4c_i32_i8_e32 v241, v190, v4
	v_dot4c_i32_i8_e32 v243, v207, v4
	;; [unrolled: 1-line block ×4, first 2 shown]
	v_lshrrev_b32_e32 v4, 4, v133
	v_and_b32_e32 v176, 0xf0f0f0f, v4
	v_lshrrev_b32_e32 v4, 4, v12
	v_dot4c_i32_i8_e32 v241, v191, v5
	v_dot4c_i32_i8_e32 v243, v208, v5
	v_dot4c_i32_i8_e32 v245, v225, v5
	v_dot4c_i32_i8_e32 v247, v176, v5
	v_and_b32_e32 v175, 0xf0f0f0f, v4
	v_lshrrev_b32_e32 v4, 4, v13
	v_dot4c_i32_i8_e32 v241, v193, v6
	v_dot4c_i32_i8_e32 v243, v209, v6
	v_dot4c_i32_i8_e32 v245, v226, v6
	v_dot4c_i32_i8_e32 v247, v175, v6
	;; [unrolled: 6-line block ×3, first 2 shown]
	v_and_b32_e32 v173, 0xf0f0f0f, v4
	v_dot4c_i32_i8_e32 v241, v195, v0
	v_dot4c_i32_i8_e32 v243, v211, v0
	;; [unrolled: 1-line block ×4, first 2 shown]
	v_lshrrev_b32_e32 v0, 4, v15
	v_and_b32_e32 v172, 0xf0f0f0f, v0
	v_lshrrev_b32_e32 v0, 4, v8
	v_and_b32_e32 v171, 0xf0f0f0f, v0
	v_lshrrev_b32_e32 v0, 4, v9
	v_dot4c_i32_i8_e32 v241, v196, v1
	v_dot4c_i32_i8_e32 v243, v213, v1
	;; [unrolled: 1-line block ×4, first 2 shown]
	v_and_b32_e32 v170, 0xf0f0f0f, v0
	v_or_b32_e32 v0, s17, v127
	v_dot4c_i32_i8_e32 v241, v197, v2
	v_dot4c_i32_i8_e32 v243, v214, v2
	;; [unrolled: 1-line block ×4, first 2 shown]
	v_lshlrev_b32_e32 v1, 2, v0
	v_dot4c_i32_i8_e32 v241, v198, v3
	v_dot4c_i32_i8_e32 v243, v215, v3
	;; [unrolled: 1-line block ×3, first 2 shown]
	s_waitcnt lgkmcnt(1)
	v_and_b32_e32 v169, 0xff, v10
	s_waitcnt lgkmcnt(0)
	v_cvt_f32_ubyte0_e32 v116, v11
	v_dot4c_i32_i8_e32 v247, v170, v3
	v_lshrrev_b16_e32 v168, 8, v10
	v_cvt_f32_ubyte1_e32 v114, v11
	v_lshrrev_b32_e32 v131, 1, v0
	ds_read_b128 v[12:15], v1 offset:16896
	ds_read_b128 v[8:11], v1 offset:16912
	;; [unrolled: 1-line block ×4, first 2 shown]
	v_mov_b32_e32 v250, 0
	s_waitcnt lgkmcnt(3)
	v_dot4c_i32_i8_e32 v250, v182, v12
	v_mov_b32_e32 v252, 0
	v_dot4c_i32_i8_e32 v250, v183, v13
	s_waitcnt lgkmcnt(1)
	v_dot4c_i32_i8_e32 v252, v190, v4
	v_dot4c_i32_i8_e32 v250, v184, v14
	;; [unrolled: 1-line block ×7, first 2 shown]
	ds_read_b64 v[248:249], v130 offset:27200
	ds_read_b64 v[132:133], v131 offset:27200
	v_dot4c_i32_i8_e32 v250, v187, v9
	s_waitcnt lgkmcnt(2)
	v_dot4c_i32_i8_e32 v252, v195, v0
	v_dot4c_i32_i8_e32 v250, v188, v10
	;; [unrolled: 1-line block ×6, first 2 shown]
	s_waitcnt lgkmcnt(1)
	v_cvt_f32_f16_e32 v134, v248
	v_cvt_f32_f16_sdwa v136, v248 dst_sel:DWORD dst_unused:UNUSED_PAD src0_sel:WORD_1
	v_mul_lo_u32 v240, v240, v180
	v_mul_lo_u32 v248, v250, v180
	s_waitcnt lgkmcnt(0)
	v_cvt_f32_f16_e32 v135, v132
	v_cvt_f32_f16_sdwa v137, v132 dst_sel:DWORD dst_unused:UNUSED_PAD src0_sel:WORD_1
	v_cvt_f32_f16_e32 v130, v249
	v_cvt_f32_f16_sdwa v132, v249 dst_sel:DWORD dst_unused:UNUSED_PAD src0_sel:WORD_1
	v_cvt_f32_i32_e32 v249, v248
	v_cvt_f32_i32_e32 v248, v240
	v_mul_lo_u32 v240, v241, v181
	v_mul_lo_u32 v241, v252, v181
	v_cvt_f32_f16_e32 v131, v133
	v_cvt_f32_f16_sdwa v133, v133 dst_sel:DWORD dst_unused:UNUSED_PAD src0_sel:WORD_1
	v_cvt_f32_i32_e32 v241, v241
	v_cvt_f32_i32_e32 v240, v240
	v_pk_fma_f32 v[248:249], v[134:135], v[248:249], 0 op_sel_hi:[1,1,0]
	v_pk_fma_f32 v[250:251], v[118:119], v[136:137], 0 op_sel_hi:[0,1,0]
	v_mul_lo_u32 v242, v242, v201
	v_pk_fma_f32 v[240:241], v[130:131], v[240:241], v[248:249]
	v_pk_fma_f32 v[248:249], v[120:121], v[132:133], v[250:251] op_sel_hi:[0,1,1]
	v_pk_mul_f32 v[248:249], v[248:249], v[100:101]
	v_mov_b32_e32 v250, 0
	v_pk_fma_f32 v[240:241], v[240:241], v[98:99], v[248:249] neg_lo:[0,0,1] neg_hi:[0,0,1]
	v_dot4c_i32_i8_e32 v250, v207, v4
	v_pk_add_f32 v[50:51], v[50:51], v[240:241]
	v_mov_b32_e32 v240, 0
	v_dot4c_i32_i8_e32 v240, v178, v12
	v_dot4c_i32_i8_e32 v240, v199, v13
	;; [unrolled: 1-line block ×15, first 2 shown]
	v_pk_fma_f32 v[248:249], v[122:123], v[136:137], 0 op_sel_hi:[0,1,0]
	v_mul_lo_u32 v240, v240, v201
	v_cvt_f32_i32_e32 v241, v240
	v_cvt_f32_i32_e32 v240, v242
	v_mul_lo_u32 v242, v243, v212
	v_mul_lo_u32 v243, v250, v212
	v_cvt_f32_i32_e32 v243, v243
	v_cvt_f32_i32_e32 v242, v242
	v_pk_fma_f32 v[240:241], v[134:135], v[240:241], 0 op_sel_hi:[1,1,0]
	v_mov_b32_e32 v250, 0
	v_mov_b32_e32 v251, 0
	v_pk_fma_f32 v[240:241], v[130:131], v[242:243], v[240:241]
	v_pk_fma_f32 v[242:243], v[124:125], v[132:133], v[248:249] op_sel_hi:[0,1,1]
	v_pk_mul_f32 v[242:243], v[242:243], v[104:105]
	v_mov_b32_e32 v248, 0
	v_pk_fma_f32 v[240:241], v[240:241], v[102:103], v[242:243] neg_lo:[0,0,1] neg_hi:[0,0,1]
	v_dot4c_i32_i8_e32 v248, v224, v4
	v_pk_add_f32 v[52:53], v[52:53], v[240:241]
	v_mov_b32_e32 v240, 0
	v_dot4c_i32_i8_e32 v240, v179, v12
	v_dot4c_i32_i8_e32 v240, v216, v13
	;; [unrolled: 1-line block ×15, first 2 shown]
	v_mul_lo_u32 v242, v244, v218
	v_mul_lo_u32 v240, v240, v218
	v_cvt_f32_i32_e32 v241, v240
	v_cvt_f32_i32_e32 v240, v242
	v_mul_lo_u32 v244, v245, v229
	v_mul_lo_u32 v245, v248, v229
	v_cvt_f32_i32_e32 v245, v245
	v_cvt_f32_i32_e32 v244, v244
	v_pk_fma_f32 v[242:243], v[126:127], v[136:137], 0 op_sel_hi:[0,1,0]
	v_pk_fma_f32 v[240:241], v[134:135], v[240:241], 0 op_sel_hi:[1,1,0]
	;; [unrolled: 1-line block ×3, first 2 shown]
	v_pk_fma_f32 v[240:241], v[130:131], v[244:245], v[240:241]
	v_pk_mul_f32 v[242:243], v[242:243], v[108:109]
	v_mov_b32_e32 v248, 0
	v_pk_fma_f32 v[240:241], v[240:241], v[106:107], v[242:243] neg_lo:[0,0,1] neg_hi:[0,0,1]
	v_mov_b32_e32 v244, 0
	v_pk_add_f32 v[48:49], v[48:49], v[240:241]
	v_mov_b32_e32 v240, 0
	v_dot4c_i32_i8_e32 v240, v192, v12
	v_dot4c_i32_i8_e32 v240, v236, v13
	;; [unrolled: 1-line block ×5, first 2 shown]
	v_mov_b32_e32 v8, 0
	v_dot4c_i32_i8_e32 v8, v177, v4
	v_dot4c_i32_i8_e32 v8, v176, v5
	;; [unrolled: 1-line block ×11, first 2 shown]
	v_mul_lo_u32 v0, v246, v169
	v_mul_lo_u32 v1, v240, v169
	v_cvt_f32_i32_e32 v1, v1
	v_cvt_f32_i32_e32 v0, v0
	v_mul_lo_u32 v4, v247, v168
	v_mul_lo_u32 v5, v8, v168
	v_cvt_f32_i32_e32 v5, v5
	v_cvt_f32_i32_e32 v4, v4
	v_pk_fma_f32 v[2:3], v[116:117], v[136:137], 0 op_sel_hi:[0,1,0]
	v_pk_fma_f32 v[0:1], v[134:135], v[0:1], 0 op_sel_hi:[1,1,0]
	;; [unrolled: 1-line block ×3, first 2 shown]
	v_pk_fma_f32 v[0:1], v[130:131], v[4:5], v[0:1]
	v_pk_mul_f32 v[2:3], v[2:3], v[112:113]
	v_mov_b32_e32 v245, 0
	v_pk_fma_f32 v[0:1], v[0:1], v[110:111], v[2:3] neg_lo:[0,0,1] neg_hi:[0,0,1]
	v_mov_b32_e32 v242, 0
	v_pk_add_f32 v[44:45], v[44:45], v[0:1]
	v_or_b32_e32 v0, s17, v129
	v_lshlrev_b32_e32 v1, 2, v0
	v_lshrrev_b32_e32 v130, 1, v0
	ds_read_b128 v[12:15], v1 offset:16896
	ds_read_b128 v[8:11], v1 offset:16912
	;; [unrolled: 1-line block ×4, first 2 shown]
	v_mov_b32_e32 v243, 0
	v_mov_b32_e32 v240, 0
	v_mov_b32_e32 v241, 0
	s_waitcnt lgkmcnt(3)
	v_dot4c_i32_i8_e32 v248, v182, v12
	s_waitcnt lgkmcnt(1)
	v_dot4c_i32_i8_e32 v250, v190, v4
	v_dot4c_i32_i8_e32 v244, v178, v12
	;; [unrolled: 1-line block ×32, first 2 shown]
	s_waitcnt lgkmcnt(0)
	v_dot4c_i32_i8_e32 v250, v195, v0
	v_dot4c_i32_i8_e32 v244, v203, v8
	;; [unrolled: 1-line block ×15, first 2 shown]
	v_or_b32_e32 v0, s17, v138
	v_dot4c_i32_i8_e32 v248, v188, v10
	v_dot4c_i32_i8_e32 v250, v197, v2
	;; [unrolled: 1-line block ×8, first 2 shown]
	v_lshlrev_b32_e32 v1, 2, v0
	v_dot4c_i32_i8_e32 v248, v189, v11
	v_dot4c_i32_i8_e32 v250, v198, v3
	;; [unrolled: 1-line block ×8, first 2 shown]
	v_lshrrev_b32_e32 v131, 1, v0
	ds_read_b128 v[12:15], v1 offset:16896
	ds_read_b128 v[8:11], v1 offset:16912
	;; [unrolled: 1-line block ×4, first 2 shown]
	v_mov_b32_e32 v249, 0
	s_waitcnt lgkmcnt(3)
	v_dot4c_i32_i8_e32 v249, v182, v12
	v_dot4c_i32_i8_e32 v249, v183, v13
	s_waitcnt lgkmcnt(1)
	v_dot4c_i32_i8_e32 v251, v190, v4
	v_dot4c_i32_i8_e32 v249, v184, v14
	;; [unrolled: 1-line block ×5, first 2 shown]
	ds_read_b64 v[246:247], v130 offset:27200
	ds_read_b64 v[132:133], v131 offset:27200
	v_dot4c_i32_i8_e32 v249, v186, v8
	v_dot4c_i32_i8_e32 v251, v194, v7
	;; [unrolled: 1-line block ×3, first 2 shown]
	s_waitcnt lgkmcnt(2)
	v_dot4c_i32_i8_e32 v251, v195, v0
	v_dot4c_i32_i8_e32 v249, v188, v10
	;; [unrolled: 1-line block ×6, first 2 shown]
	s_waitcnt lgkmcnt(0)
	v_cvt_f32_f16_e32 v135, v132
	v_cvt_f32_f16_e32 v134, v246
	v_cvt_f32_f16_sdwa v137, v132 dst_sel:DWORD dst_unused:UNUSED_PAD src0_sel:WORD_1
	v_cvt_f32_f16_sdwa v136, v246 dst_sel:DWORD dst_unused:UNUSED_PAD src0_sel:WORD_1
	v_cvt_f32_f16_e32 v130, v247
	v_cvt_f32_f16_sdwa v132, v247 dst_sel:DWORD dst_unused:UNUSED_PAD src0_sel:WORD_1
	v_mul_lo_u32 v246, v248, v180
	v_mul_lo_u32 v247, v249, v180
	v_cvt_f32_f16_e32 v131, v133
	v_cvt_f32_f16_sdwa v133, v133 dst_sel:DWORD dst_unused:UNUSED_PAD src0_sel:WORD_1
	v_cvt_f32_i32_e32 v247, v247
	v_cvt_f32_i32_e32 v246, v246
	v_mul_lo_u32 v250, v250, v181
	v_mul_lo_u32 v251, v251, v181
	v_cvt_f32_i32_e32 v251, v251
	v_cvt_f32_i32_e32 v250, v250
	v_pk_fma_f32 v[248:249], v[118:119], v[136:137], 0 op_sel_hi:[0,1,0]
	v_pk_fma_f32 v[246:247], v[246:247], v[134:135], 0 op_sel_hi:[1,1,0]
	;; [unrolled: 1-line block ×3, first 2 shown]
	v_pk_fma_f32 v[246:247], v[250:251], v[130:131], v[246:247]
	v_pk_mul_f32 v[248:249], v[248:249], v[100:101]
	v_mov_b32_e32 v250, 0
	v_pk_fma_f32 v[246:247], v[246:247], v[98:99], v[248:249] neg_lo:[0,0,1] neg_hi:[0,0,1]
	v_dot4c_i32_i8_e32 v250, v207, v4
	v_pk_add_f32 v[38:39], v[38:39], v[246:247]
	v_mov_b32_e32 v246, 0
	v_dot4c_i32_i8_e32 v246, v178, v12
	v_dot4c_i32_i8_e32 v246, v199, v13
	;; [unrolled: 1-line block ×15, first 2 shown]
	v_mul_lo_u32 v244, v244, v201
	v_mul_lo_u32 v246, v246, v201
	v_cvt_f32_i32_e32 v247, v246
	v_cvt_f32_i32_e32 v246, v244
	v_mul_lo_u32 v244, v245, v212
	v_mul_lo_u32 v245, v250, v212
	v_cvt_f32_i32_e32 v245, v245
	v_cvt_f32_i32_e32 v244, v244
	v_pk_fma_f32 v[246:247], v[246:247], v[134:135], 0 op_sel_hi:[1,1,0]
	v_pk_fma_f32 v[248:249], v[122:123], v[136:137], 0 op_sel_hi:[0,1,0]
	v_mul_lo_u32 v242, v242, v218
	v_pk_fma_f32 v[244:245], v[244:245], v[130:131], v[246:247]
	v_pk_fma_f32 v[246:247], v[124:125], v[132:133], v[248:249] op_sel_hi:[0,1,1]
	v_pk_mul_f32 v[246:247], v[246:247], v[104:105]
	v_mov_b32_e32 v248, 0
	v_pk_fma_f32 v[244:245], v[244:245], v[102:103], v[246:247] neg_lo:[0,0,1] neg_hi:[0,0,1]
	v_dot4c_i32_i8_e32 v248, v224, v4
	v_pk_add_f32 v[36:37], v[36:37], v[244:245]
	v_mov_b32_e32 v244, 0
	v_dot4c_i32_i8_e32 v244, v179, v12
	v_dot4c_i32_i8_e32 v244, v216, v13
	;; [unrolled: 1-line block ×15, first 2 shown]
	v_pk_fma_f32 v[246:247], v[126:127], v[136:137], 0 op_sel_hi:[0,1,0]
	v_mul_lo_u32 v244, v244, v218
	v_cvt_f32_i32_e32 v245, v244
	v_cvt_f32_i32_e32 v244, v242
	v_mul_lo_u32 v242, v243, v229
	v_mul_lo_u32 v243, v248, v229
	v_cvt_f32_i32_e32 v243, v243
	v_cvt_f32_i32_e32 v242, v242
	v_pk_fma_f32 v[244:245], v[244:245], v[134:135], 0 op_sel_hi:[1,1,0]
	v_mov_b32_e32 v250, 0
	v_mov_b32_e32 v252, 0
	v_pk_fma_f32 v[242:243], v[242:243], v[130:131], v[244:245]
	v_pk_fma_f32 v[244:245], v[128:129], v[132:133], v[246:247] op_sel_hi:[0,1,1]
	v_pk_mul_f32 v[244:245], v[244:245], v[108:109]
	v_mov_b32_e32 v246, 0
	v_pk_fma_f32 v[242:243], v[242:243], v[106:107], v[244:245] neg_lo:[0,0,1] neg_hi:[0,0,1]
	v_mov_b32_e32 v245, 0
	v_pk_add_f32 v[34:35], v[34:35], v[242:243]
	v_mov_b32_e32 v242, 0
	v_dot4c_i32_i8_e32 v242, v192, v12
	v_dot4c_i32_i8_e32 v242, v236, v13
	;; [unrolled: 1-line block ×5, first 2 shown]
	v_mov_b32_e32 v8, 0
	v_dot4c_i32_i8_e32 v8, v177, v4
	v_dot4c_i32_i8_e32 v8, v176, v5
	;; [unrolled: 1-line block ×11, first 2 shown]
	v_mul_lo_u32 v0, v240, v169
	v_mul_lo_u32 v1, v242, v169
	v_cvt_f32_i32_e32 v1, v1
	v_cvt_f32_i32_e32 v0, v0
	v_mul_lo_u32 v4, v241, v168
	v_mul_lo_u32 v5, v8, v168
	v_cvt_f32_i32_e32 v5, v5
	v_cvt_f32_i32_e32 v4, v4
	v_pk_fma_f32 v[2:3], v[116:117], v[136:137], 0 op_sel_hi:[0,1,0]
	v_pk_fma_f32 v[0:1], v[0:1], v[134:135], 0 op_sel_hi:[1,1,0]
	;; [unrolled: 1-line block ×3, first 2 shown]
	v_pk_fma_f32 v[0:1], v[4:5], v[130:131], v[0:1]
	v_pk_mul_f32 v[2:3], v[2:3], v[112:113]
	v_mov_b32_e32 v241, 0
	v_pk_fma_f32 v[0:1], v[0:1], v[110:111], v[2:3] neg_lo:[0,0,1] neg_hi:[0,0,1]
	v_mov_b32_e32 v247, 0
	v_pk_add_f32 v[32:33], v[32:33], v[0:1]
	v_or_b32_e32 v0, s17, v139
	v_lshlrev_b32_e32 v1, 2, v0
	v_lshrrev_b32_e32 v130, 1, v0
	ds_read_b128 v[12:15], v1 offset:16896
	ds_read_b128 v[8:11], v1 offset:16912
	ds_read_b128 v[4:7], v1 offset:16928
	ds_read_b128 v[0:3], v1 offset:16944
	v_mov_b32_e32 v243, 0
	v_mov_b32_e32 v244, 0
	;; [unrolled: 1-line block ×4, first 2 shown]
	s_waitcnt lgkmcnt(3)
	v_dot4c_i32_i8_e32 v241, v182, v12
	s_waitcnt lgkmcnt(1)
	v_dot4c_i32_i8_e32 v245, v190, v4
	v_dot4c_i32_i8_e32 v246, v178, v12
	;; [unrolled: 1-line block ×32, first 2 shown]
	s_waitcnt lgkmcnt(0)
	v_dot4c_i32_i8_e32 v245, v195, v0
	v_dot4c_i32_i8_e32 v246, v203, v8
	;; [unrolled: 1-line block ×15, first 2 shown]
	v_or_b32_e32 v0, s17, v140
	v_dot4c_i32_i8_e32 v241, v188, v10
	v_dot4c_i32_i8_e32 v245, v197, v2
	v_dot4c_i32_i8_e32 v246, v205, v10
	v_dot4c_i32_i8_e32 v247, v214, v2
	v_dot4c_i32_i8_e32 v243, v222, v10
	v_dot4c_i32_i8_e32 v244, v231, v2
	v_dot4c_i32_i8_e32 v240, v238, v10
	v_dot4c_i32_i8_e32 v242, v171, v2
	v_lshlrev_b32_e32 v1, 2, v0
	v_dot4c_i32_i8_e32 v241, v189, v11
	v_dot4c_i32_i8_e32 v245, v198, v3
	;; [unrolled: 1-line block ×8, first 2 shown]
	v_lshrrev_b32_e32 v131, 1, v0
	ds_read_b128 v[12:15], v1 offset:16896
	ds_read_b128 v[8:11], v1 offset:16912
	;; [unrolled: 1-line block ×4, first 2 shown]
	ds_read_b64 v[248:249], v130 offset:27200
	ds_read_b64 v[132:133], v131 offset:27200
	s_waitcnt lgkmcnt(5)
	v_dot4c_i32_i8_e32 v250, v182, v12
	v_dot4c_i32_i8_e32 v250, v183, v13
	;; [unrolled: 1-line block ×3, first 2 shown]
	s_waitcnt lgkmcnt(3)
	v_dot4c_i32_i8_e32 v252, v190, v4
	v_dot4c_i32_i8_e32 v250, v185, v15
	;; [unrolled: 1-line block ×8, first 2 shown]
	s_waitcnt lgkmcnt(2)
	v_dot4c_i32_i8_e32 v252, v195, v0
	v_dot4c_i32_i8_e32 v250, v189, v11
	v_dot4c_i32_i8_e32 v252, v196, v1
	v_dot4c_i32_i8_e32 v252, v197, v2
	s_waitcnt lgkmcnt(1)
	v_cvt_f32_f16_e32 v134, v248
	v_cvt_f32_f16_sdwa v136, v248 dst_sel:DWORD dst_unused:UNUSED_PAD src0_sel:WORD_1
	v_mul_lo_u32 v241, v241, v180
	v_mul_lo_u32 v248, v250, v180
	v_dot4c_i32_i8_e32 v252, v198, v3
	s_waitcnt lgkmcnt(0)
	v_cvt_f32_f16_e32 v135, v132
	v_cvt_f32_f16_sdwa v137, v132 dst_sel:DWORD dst_unused:UNUSED_PAD src0_sel:WORD_1
	v_cvt_f32_f16_e32 v130, v249
	v_cvt_f32_f16_sdwa v132, v249 dst_sel:DWORD dst_unused:UNUSED_PAD src0_sel:WORD_1
	v_cvt_f32_i32_e32 v249, v248
	v_cvt_f32_i32_e32 v248, v241
	v_mul_lo_u32 v241, v245, v181
	v_mul_lo_u32 v245, v252, v181
	v_cvt_f32_i32_e32 v252, v241
	v_mov_b32_e32 v241, 0
	v_dot4c_i32_i8_e32 v241, v178, v12
	v_dot4c_i32_i8_e32 v241, v199, v13
	v_cvt_f32_f16_e32 v131, v133
	v_cvt_f32_f16_sdwa v133, v133 dst_sel:DWORD dst_unused:UNUSED_PAD src0_sel:WORD_1
	v_dot4c_i32_i8_e32 v241, v200, v14
	v_cvt_f32_i32_e32 v253, v245
	v_dot4c_i32_i8_e32 v241, v202, v15
	v_mov_b32_e32 v245, 0
	v_dot4c_i32_i8_e32 v241, v203, v8
	v_dot4c_i32_i8_e32 v245, v207, v4
	v_pk_fma_f32 v[250:251], v[118:119], v[136:137], 0 op_sel_hi:[0,1,0]
	v_dot4c_i32_i8_e32 v241, v204, v9
	v_dot4c_i32_i8_e32 v245, v208, v5
	v_pk_fma_f32 v[248:249], v[248:249], v[134:135], 0 op_sel_hi:[1,1,0]
	v_pk_fma_f32 v[250:251], v[120:121], v[132:133], v[250:251] op_sel_hi:[0,1,1]
	v_dot4c_i32_i8_e32 v241, v205, v10
	v_dot4c_i32_i8_e32 v245, v209, v6
	v_pk_fma_f32 v[248:249], v[252:253], v[130:131], v[248:249]
	v_pk_mul_f32 v[250:251], v[250:251], v[100:101]
	v_dot4c_i32_i8_e32 v241, v206, v11
	v_dot4c_i32_i8_e32 v245, v210, v7
	v_pk_fma_f32 v[248:249], v[248:249], v[98:99], v[250:251] neg_lo:[0,0,1] neg_hi:[0,0,1]
	v_dot4c_i32_i8_e32 v245, v211, v0
	v_mul_lo_u32 v241, v241, v201
	v_pk_add_f32 v[30:31], v[30:31], v[248:249]
	v_dot4c_i32_i8_e32 v245, v213, v1
	v_mul_lo_u32 v246, v246, v201
	v_cvt_f32_i32_e32 v249, v241
	v_mul_lo_u32 v241, v247, v212
	v_dot4c_i32_i8_e32 v245, v214, v2
	v_cvt_f32_i32_e32 v248, v246
	v_cvt_f32_i32_e32 v246, v241
	v_mov_b32_e32 v241, 0
	v_dot4c_i32_i8_e32 v245, v215, v3
	v_dot4c_i32_i8_e32 v241, v179, v12
	;; [unrolled: 1-line block ×4, first 2 shown]
	v_mul_lo_u32 v245, v245, v212
	v_cvt_f32_i32_e32 v247, v245
	v_dot4c_i32_i8_e32 v241, v219, v15
	v_dot4c_i32_i8_e32 v241, v220, v8
	v_pk_fma_f32 v[248:249], v[248:249], v[134:135], 0 op_sel_hi:[1,1,0]
	v_pk_fma_f32 v[250:251], v[122:123], v[136:137], 0 op_sel_hi:[0,1,0]
	v_dot4c_i32_i8_e32 v241, v221, v9
	v_pk_fma_f32 v[246:247], v[246:247], v[130:131], v[248:249]
	v_pk_fma_f32 v[248:249], v[124:125], v[132:133], v[250:251] op_sel_hi:[0,1,1]
	v_dot4c_i32_i8_e32 v241, v222, v10
	v_pk_mul_f32 v[248:249], v[248:249], v[104:105]
	v_dot4c_i32_i8_e32 v241, v223, v11
	v_pk_fma_f32 v[246:247], v[246:247], v[102:103], v[248:249] neg_lo:[0,0,1] neg_hi:[0,0,1]
	v_mov_b32_e32 v245, 0
	v_pk_add_f32 v[28:29], v[28:29], v[246:247]
	v_mul_lo_u32 v241, v241, v218
	v_cvt_f32_i32_e32 v247, v241
	v_mul_lo_u32 v241, v244, v229
	v_cvt_f32_i32_e32 v244, v241
	v_mov_b32_e32 v241, 0
	v_dot4c_i32_i8_e32 v241, v192, v12
	v_dot4c_i32_i8_e32 v241, v236, v13
	;; [unrolled: 1-line block ×5, first 2 shown]
	v_mov_b32_e32 v8, 0
	v_dot4c_i32_i8_e32 v8, v177, v4
	v_dot4c_i32_i8_e32 v8, v176, v5
	;; [unrolled: 1-line block ×17, first 2 shown]
	v_mul_lo_u32 v0, v240, v169
	v_mul_lo_u32 v1, v241, v169
	v_cvt_f32_i32_e32 v1, v1
	v_cvt_f32_i32_e32 v0, v0
	v_mul_lo_u32 v4, v242, v168
	v_mul_lo_u32 v5, v8, v168
	v_cvt_f32_i32_e32 v5, v5
	v_cvt_f32_i32_e32 v4, v4
	v_dot4c_i32_i8_e32 v245, v231, v2
	v_dot4c_i32_i8_e32 v245, v232, v3
	v_mul_lo_u32 v243, v243, v218
	v_pk_fma_f32 v[2:3], v[116:117], v[136:137], 0 op_sel_hi:[0,1,0]
	v_cvt_f32_i32_e32 v246, v243
	v_mul_lo_u32 v243, v245, v229
	v_pk_fma_f32 v[0:1], v[0:1], v[134:135], 0 op_sel_hi:[1,1,0]
	v_pk_fma_f32 v[2:3], v[114:115], v[132:133], v[2:3] op_sel_hi:[0,1,1]
	v_cvt_f32_i32_e32 v245, v243
	v_pk_fma_f32 v[0:1], v[4:5], v[130:131], v[0:1]
	v_pk_mul_f32 v[2:3], v[2:3], v[112:113]
	v_pk_fma_f32 v[246:247], v[246:247], v[134:135], 0 op_sel_hi:[1,1,0]
	v_pk_fma_f32 v[0:1], v[0:1], v[110:111], v[2:3] neg_lo:[0,0,1] neg_hi:[0,0,1]
	v_pk_fma_f32 v[248:249], v[126:127], v[136:137], 0 op_sel_hi:[0,1,0]
	v_pk_add_f32 v[24:25], v[24:25], v[0:1]
	v_or_b32_e32 v0, s17, v141
	v_lshlrev_b32_e32 v1, 2, v0
	v_pk_fma_f32 v[244:245], v[244:245], v[130:131], v[246:247]
	v_pk_fma_f32 v[246:247], v[128:129], v[132:133], v[248:249] op_sel_hi:[0,1,1]
	v_lshrrev_b32_e32 v130, 1, v0
	ds_read_b128 v[12:15], v1 offset:16896
	ds_read_b128 v[8:11], v1 offset:16912
	ds_read_b128 v[4:7], v1 offset:16928
	ds_read_b128 v[0:3], v1 offset:16944
	v_pk_mul_f32 v[246:247], v[246:247], v[108:109]
	v_mov_b32_e32 v242, 0
	v_pk_fma_f32 v[244:245], v[244:245], v[106:107], v[246:247] neg_lo:[0,0,1] neg_hi:[0,0,1]
	v_mov_b32_e32 v246, 0
	v_pk_add_f32 v[26:27], v[26:27], v[244:245]
	v_mov_b32_e32 v247, 0
	v_mov_b32_e32 v244, 0
	v_mov_b32_e32 v245, 0
	v_mov_b32_e32 v243, 0
	v_mov_b32_e32 v241, 0
	v_mov_b32_e32 v240, 0
	s_waitcnt lgkmcnt(3)
	v_dot4c_i32_i8_e32 v246, v182, v12
	s_waitcnt lgkmcnt(1)
	v_dot4c_i32_i8_e32 v247, v190, v4
	v_dot4c_i32_i8_e32 v244, v178, v12
	;; [unrolled: 1-line block ×32, first 2 shown]
	s_waitcnt lgkmcnt(0)
	v_dot4c_i32_i8_e32 v247, v195, v0
	v_dot4c_i32_i8_e32 v244, v203, v8
	;; [unrolled: 1-line block ×15, first 2 shown]
	v_or_b32_e32 v0, s17, v142
	v_dot4c_i32_i8_e32 v246, v188, v10
	v_dot4c_i32_i8_e32 v247, v197, v2
	;; [unrolled: 1-line block ×8, first 2 shown]
	v_lshlrev_b32_e32 v1, 2, v0
	v_dot4c_i32_i8_e32 v246, v189, v11
	v_dot4c_i32_i8_e32 v247, v198, v3
	;; [unrolled: 1-line block ×8, first 2 shown]
	v_lshrrev_b32_e32 v131, 1, v0
	ds_read_b128 v[12:15], v1 offset:16896
	ds_read_b128 v[8:11], v1 offset:16912
	;; [unrolled: 1-line block ×4, first 2 shown]
	v_mov_b32_e32 v248, 0
	s_waitcnt lgkmcnt(3)
	v_dot4c_i32_i8_e32 v248, v182, v12
	v_dot4c_i32_i8_e32 v248, v183, v13
	;; [unrolled: 1-line block ×4, first 2 shown]
	s_waitcnt lgkmcnt(2)
	v_dot4c_i32_i8_e32 v248, v186, v8
	v_mov_b32_e32 v186, 0
	ds_read_b64 v[182:183], v130 offset:27200
	ds_read_b64 v[130:131], v131 offset:27200
	s_waitcnt lgkmcnt(3)
	v_dot4c_i32_i8_e32 v186, v190, v4
	v_dot4c_i32_i8_e32 v186, v191, v5
	;; [unrolled: 1-line block ×5, first 2 shown]
	s_waitcnt lgkmcnt(2)
	v_dot4c_i32_i8_e32 v186, v195, v0
	s_waitcnt lgkmcnt(0)
	v_cvt_f32_f16_sdwa v135, v130 dst_sel:DWORD dst_unused:UNUSED_PAD src0_sel:WORD_1
	v_cvt_f32_f16_sdwa v134, v182 dst_sel:DWORD dst_unused:UNUSED_PAD src0_sel:WORD_1
	v_dot4c_i32_i8_e32 v248, v188, v10
	v_dot4c_i32_i8_e32 v186, v196, v1
	;; [unrolled: 1-line block ×5, first 2 shown]
	v_cvt_f32_f16_e32 v136, v182
	v_mul_lo_u32 v182, v246, v180
	v_mul_lo_u32 v180, v248, v180
	v_cvt_f32_f16_e32 v137, v130
	v_cvt_f32_f16_e32 v132, v183
	v_cvt_f32_f16_sdwa v130, v183 dst_sel:DWORD dst_unused:UNUSED_PAD src0_sel:WORD_1
	v_cvt_f32_i32_e32 v183, v180
	v_pk_fma_f32 v[184:185], v[118:119], v[134:135], 0 op_sel_hi:[0,1,0]
	v_mul_lo_u32 v118, v247, v181
	v_mul_lo_u32 v180, v186, v181
	v_cvt_f32_i32_e32 v181, v180
	v_cvt_f32_i32_e32 v180, v118
	v_mov_b32_e32 v118, 0
	v_dot4c_i32_i8_e32 v118, v178, v12
	v_cvt_f32_i32_e32 v182, v182
	v_dot4c_i32_i8_e32 v118, v199, v13
	v_cvt_f32_f16_e32 v133, v131
	v_cvt_f32_f16_sdwa v131, v131 dst_sel:DWORD dst_unused:UNUSED_PAD src0_sel:WORD_1
	v_dot4c_i32_i8_e32 v118, v200, v14
	v_dot4c_i32_i8_e32 v118, v202, v15
	;; [unrolled: 1-line block ×3, first 2 shown]
	v_pk_fma_f32 v[182:183], v[182:183], v[136:137], 0 op_sel_hi:[1,1,0]
	v_dot4c_i32_i8_e32 v118, v204, v9
	v_pk_fma_f32 v[180:181], v[180:181], v[132:133], v[182:183]
	v_pk_fma_f32 v[182:183], v[120:121], v[130:131], v[184:185] op_sel_hi:[0,1,1]
	v_dot4c_i32_i8_e32 v118, v205, v10
	v_mov_b32_e32 v120, 0
	v_pk_mul_f32 v[182:183], v[182:183], v[100:101]
	v_dot4c_i32_i8_e32 v118, v206, v11
	v_dot4c_i32_i8_e32 v120, v207, v4
	v_pk_fma_f32 v[180:181], v[180:181], v[98:99], v[182:183] neg_lo:[0,0,1] neg_hi:[0,0,1]
	v_dot4c_i32_i8_e32 v120, v208, v5
	v_mul_lo_u32 v118, v118, v201
	v_pk_add_f32 v[22:23], v[22:23], v[180:181]
	v_dot4c_i32_i8_e32 v120, v209, v6
	v_cvt_f32_i32_e32 v181, v118
	v_mul_lo_u32 v118, v245, v212
	v_dot4c_i32_i8_e32 v120, v210, v7
	v_cvt_f32_i32_e32 v184, v118
	v_mov_b32_e32 v118, 0
	v_dot4c_i32_i8_e32 v120, v211, v0
	v_dot4c_i32_i8_e32 v118, v179, v12
	;; [unrolled: 1-line block ×7, first 2 shown]
	v_mul_lo_u32 v178, v244, v201
	v_dot4c_i32_i8_e32 v118, v219, v15
	v_cvt_f32_i32_e32 v180, v178
	v_mul_lo_u32 v120, v120, v212
	v_dot4c_i32_i8_e32 v118, v220, v8
	v_cvt_f32_i32_e32 v185, v120
	v_dot4c_i32_i8_e32 v118, v221, v9
	v_dot4c_i32_i8_e32 v118, v222, v10
	v_pk_fma_f32 v[182:183], v[122:123], v[134:135], 0 op_sel_hi:[0,1,0]
	v_dot4c_i32_i8_e32 v118, v223, v11
	v_pk_fma_f32 v[180:181], v[180:181], v[136:137], 0 op_sel_hi:[1,1,0]
	v_pk_fma_f32 v[182:183], v[124:125], v[130:131], v[182:183] op_sel_hi:[0,1,1]
	v_pk_fma_f32 v[180:181], v[184:185], v[132:133], v[180:181]
	v_mul_lo_u32 v118, v118, v218
	v_pk_mul_f32 v[182:183], v[182:183], v[104:105]
	v_cvt_f32_i32_e32 v179, v118
	v_mul_lo_u32 v118, v243, v229
	v_pk_fma_f32 v[180:181], v[180:181], v[102:103], v[182:183] neg_lo:[0,0,1] neg_hi:[0,0,1]
	v_cvt_f32_i32_e32 v182, v118
	v_mov_b32_e32 v118, 0
	v_dot4c_i32_i8_e32 v118, v192, v12
	v_dot4c_i32_i8_e32 v118, v236, v13
	;; [unrolled: 1-line block ×4, first 2 shown]
	v_mov_b32_e32 v120, 0
	v_dot4c_i32_i8_e32 v118, v235, v8
	v_mov_b32_e32 v8, 0
	v_dot4c_i32_i8_e32 v120, v224, v4
	v_dot4c_i32_i8_e32 v8, v177, v4
	;; [unrolled: 1-line block ×18, first 2 shown]
	v_mul_lo_u32 v122, v242, v218
	v_dot4c_i32_i8_e32 v8, v170, v3
	v_mul_lo_u32 v0, v241, v169
	v_mul_lo_u32 v1, v118, v169
	v_cvt_f32_i32_e32 v178, v122
	v_mul_lo_u32 v120, v120, v229
	v_cvt_f32_i32_e32 v1, v1
	v_cvt_f32_i32_e32 v0, v0
	v_mul_lo_u32 v4, v240, v168
	v_mul_lo_u32 v5, v8, v168
	v_cvt_f32_i32_e32 v183, v120
	v_cvt_f32_i32_e32 v5, v5
	;; [unrolled: 1-line block ×3, first 2 shown]
	v_pk_add_f32 v[20:21], v[20:21], v[180:181]
	v_pk_fma_f32 v[180:181], v[126:127], v[134:135], 0 op_sel_hi:[0,1,0]
	v_pk_fma_f32 v[2:3], v[116:117], v[134:135], 0 op_sel_hi:[0,1,0]
	v_pk_fma_f32 v[178:179], v[178:179], v[136:137], 0 op_sel_hi:[1,1,0]
	v_pk_fma_f32 v[180:181], v[128:129], v[130:131], v[180:181] op_sel_hi:[0,1,1]
	v_pk_fma_f32 v[0:1], v[0:1], v[136:137], 0 op_sel_hi:[1,1,0]
	v_pk_fma_f32 v[2:3], v[114:115], v[130:131], v[2:3] op_sel_hi:[0,1,1]
	v_pk_fma_f32 v[178:179], v[182:183], v[132:133], v[178:179]
	v_pk_mul_f32 v[180:181], v[180:181], v[108:109]
	v_pk_fma_f32 v[0:1], v[4:5], v[132:133], v[0:1]
	v_pk_mul_f32 v[2:3], v[2:3], v[112:113]
	v_pk_fma_f32 v[178:179], v[178:179], v[106:107], v[180:181] neg_lo:[0,0,1] neg_hi:[0,0,1]
	v_pk_fma_f32 v[0:1], v[0:1], v[110:111], v[2:3] neg_lo:[0,0,1] neg_hi:[0,0,1]
	v_pk_add_f32 v[18:19], v[18:19], v[178:179]
	v_pk_add_f32 v[16:17], v[16:17], v[0:1]
	s_mov_b32 s18, 8
	s_and_b64 vcc, exec, s[0:1]
	s_mov_b64 s[0:1], 0
	s_cbranch_vccnz .LBB131_6
; %bb.7:                                ;   in Loop: Header=BB131_5 Depth=1
	v_add_u32_e32 v14, s16, v119
	v_add_u32_e32 v0, v14, v85
	;; [unrolled: 1-line block ×6, first 2 shown]
	v_mad_i64_i32 v[0:1], s[0:1], v0, 36, v[62:63]
	v_mad_i64_i32 v[2:3], s[0:1], v2, 36, v[62:63]
	;; [unrolled: 1-line block ×4, first 2 shown]
	v_add_u32_e32 v8, v14, v93
	v_add_u32_e32 v10, v14, v95
	;; [unrolled: 1-line block ×4, first 2 shown]
	v_mad_u64_u32 v[98:99], s[0:1], v98, 36, s[2:3]
	s_barrier
	v_mad_i64_i32 v[8:9], s[0:1], v8, 36, v[62:63]
	v_mad_i64_i32 v[10:11], s[0:1], v10, 36, v[62:63]
	;; [unrolled: 1-line block ×4, first 2 shown]
	global_load_dword v98, v[98:99], off
	s_nop 0
	global_load_dword v0, v[0:1], off offset:4
	s_nop 0
	global_load_dword v1, v[2:3], off offset:4
	s_nop 0
	global_load_dword v2, v[4:5], off offset:4
	global_load_dword v3, v[6:7], off offset:4
	s_nop 0
	global_load_dword v4, v[8:9], off offset:4
	global_load_dword v5, v[10:11], off offset:4
	;; [unrolled: 1-line block ×4, first 2 shown]
	s_mov_b32 s0, 16
	s_mov_b32 s1, 0
	v_mov_b32_e32 v167, v149
	v_mov_b32_e32 v168, v148
	;; [unrolled: 1-line block ×3, first 2 shown]
	s_mov_b32 s16, 0
	s_waitcnt vmcnt(8)
	ds_write_b32 v61, v98
	s_waitcnt vmcnt(7)
	ds_write_b32 v154, v0
	;; [unrolled: 2-line block ×9, first 2 shown]
	s_waitcnt lgkmcnt(0)
	s_barrier
	ds_read_b32 v0, v117
	ds_read_b32 v1, v121 offset:128
	ds_read_b32 v2, v123 offset:256
	;; [unrolled: 1-line block ×3, first 2 shown]
	s_waitcnt lgkmcnt(2)
	v_cvt_f32_f16_e32 v102, v1
	v_cvt_f32_f16_e32 v98, v0
	v_cvt_f32_f16_sdwa v100, v0 dst_sel:DWORD dst_unused:UNUSED_PAD src0_sel:WORD_1
	v_cvt_f32_f16_sdwa v104, v1 dst_sel:DWORD dst_unused:UNUSED_PAD src0_sel:WORD_1
	s_waitcnt lgkmcnt(1)
	v_cvt_f32_f16_e32 v106, v2
	v_cvt_f32_f16_sdwa v108, v2 dst_sel:DWORD dst_unused:UNUSED_PAD src0_sel:WORD_1
	s_waitcnt lgkmcnt(0)
	v_cvt_f32_f16_e32 v110, v3
	v_cvt_f32_f16_sdwa v112, v3 dst_sel:DWORD dst_unused:UNUSED_PAD src0_sel:WORD_1
	v_mov_b32_e32 v99, v98
	v_mov_b32_e32 v101, v100
	;; [unrolled: 1-line block ×8, first 2 shown]
.LBB131_8:                              ;   Parent Loop BB131_5 Depth=1
                                        ; =>  This Inner Loop Header: Depth=2
	ds_read_b128 v[12:15], v167
	ds_read_b128 v[8:11], v167 offset:16
	ds_read_b128 v[4:7], v167 offset:32
	;; [unrolled: 1-line block ×3, first 2 shown]
	ds_read2_b32 v[130:131], v169 offset1:1
	ds_read2_b32 v[132:133], v169 offset0:2 offset1:3
	ds_read2_b32 v[134:135], v169 offset0:4 offset1:5
	;; [unrolled: 1-line block ×3, first 2 shown]
	s_lshr_b32 s17, s0, 2
	s_and_b32 s17, s17, 0x3ffffffc
	v_add_u32_e32 v114, s1, v150
	v_add3_u32 v116, v166, s17, v114
	s_waitcnt lgkmcnt(3)
	v_lshrrev_b32_e32 v122, 4, v130
	ds_read_u16 v120, v116 offset:25088
	ds_read_u16 v116, v116 offset:25096
	v_and_b32_e32 v202, 0xf0f0f0f, v122
	v_lshrrev_b32_e32 v122, 4, v131
	v_and_b32_e32 v210, 0xf0f0f0f, v122
	s_waitcnt lgkmcnt(4)
	v_lshrrev_b32_e32 v122, 4, v132
	v_and_b32_e32 v211, 0xf0f0f0f, v122
	v_lshrrev_b32_e32 v122, 4, v133
	v_and_b32_e32 v212, 0xf0f0f0f, v122
	s_waitcnt lgkmcnt(3)
	v_lshrrev_b32_e32 v122, 4, v134
	s_waitcnt lgkmcnt(1)
	v_and_b32_e32 v197, 0xff, v120
	v_and_b32_e32 v214, 0xf0f0f0f, v122
	v_lshrrev_b32_e32 v122, 4, v135
	v_lshrrev_b16_e32 v209, 8, v120
	v_add_u32_e32 v120, 0x1080, v169
	v_and_b32_e32 v188, 0xf0f0f0f, v130
	v_and_b32_e32 v186, 0xf0f0f0f, v131
	;; [unrolled: 1-line block ×3, first 2 shown]
	v_lshrrev_b32_e32 v122, 4, v136
	ds_read2_b32 v[130:131], v120 offset1:1
	v_add_u32_e32 v120, 0x1088, v169
	v_and_b32_e32 v190, 0xf0f0f0f, v132
	v_and_b32_e32 v191, 0xf0f0f0f, v133
	;; [unrolled: 1-line block ×3, first 2 shown]
	v_lshrrev_b32_e32 v122, 4, v137
	ds_read2_b32 v[132:133], v120 offset1:1
	v_add_u32_e32 v120, 0x1090, v169
	v_and_b32_e32 v195, 0xf0f0f0f, v134
	v_and_b32_e32 v196, 0xf0f0f0f, v135
	s_waitcnt lgkmcnt(2)
	v_cvt_f32_ubyte0_e32 v118, v116
	v_and_b32_e32 v218, 0xf0f0f0f, v122
	v_cvt_f32_ubyte1_e32 v122, v116
	v_add3_u32 v116, v153, s17, v114
	ds_read2_b32 v[134:135], v120 offset1:1
	v_add_u32_e32 v120, 0x1098, v169
	v_and_b32_e32 v198, 0xf0f0f0f, v136
	v_and_b32_e32 v199, 0xf0f0f0f, v137
	ds_read2_b32 v[136:137], v120 offset1:1
	ds_read_u16 v124, v116 offset:25600
	ds_read_u16 v116, v116 offset:25608
	s_waitcnt lgkmcnt(5)
	v_lshrrev_b32_e32 v126, 4, v130
	v_and_b32_e32 v207, 0xf0f0f0f, v126
	v_lshrrev_b32_e32 v126, 4, v131
	s_waitcnt lgkmcnt(1)
	v_and_b32_e32 v203, 0xff, v124
	v_lshrrev_b16_e32 v228, 8, v124
	v_add_u32_e32 v124, 0x2100, v169
	v_and_b32_e32 v187, 0xf0f0f0f, v130
	v_and_b32_e32 v192, 0xf0f0f0f, v131
	v_and_b32_e32 v220, 0xf0f0f0f, v126
	v_lshrrev_b32_e32 v126, 4, v132
	ds_read2_b32 v[130:131], v124 offset1:1
	v_and_b32_e32 v223, 0xf0f0f0f, v126
	v_lshrrev_b32_e32 v126, 4, v133
	v_add_u32_e32 v124, 0x2108, v169
	v_and_b32_e32 v193, 0xf0f0f0f, v132
	v_and_b32_e32 v194, 0xf0f0f0f, v133
	v_and_b32_e32 v224, 0xf0f0f0f, v126
	v_lshrrev_b32_e32 v126, 4, v134
	ds_read2_b32 v[132:133], v124 offset1:1
	v_and_b32_e32 v227, 0xf0f0f0f, v126
	v_lshrrev_b32_e32 v126, 4, v135
	;; [unrolled: 8-line block ×3, first 2 shown]
	s_waitcnt lgkmcnt(2)
	v_and_b32_e32 v206, 0xf0f0f0f, v130
	v_add_u32_e32 v124, 0x2118, v169
	v_lshrrev_b32_e32 v130, 4, v130
	v_and_b32_e32 v204, 0xf0f0f0f, v136
	v_and_b32_e32 v205, 0xf0f0f0f, v137
	v_cvt_f32_ubyte0_e32 v120, v116
	v_and_b32_e32 v232, 0xf0f0f0f, v126
	v_cvt_f32_ubyte1_e32 v126, v116
	v_add3_u32 v116, v152, s17, v114
	ds_read2_b32 v[136:137], v124 offset1:1
	v_and_b32_e32 v231, 0xf0f0f0f, v130
	v_lshrrev_b32_e32 v130, 4, v131
	ds_read_u16 v128, v116 offset:26112
	ds_read_u16 v116, v116 offset:26120
	v_and_b32_e32 v234, 0xf0f0f0f, v130
	s_waitcnt lgkmcnt(4)
	v_lshrrev_b32_e32 v130, 4, v132
	v_and_b32_e32 v235, 0xf0f0f0f, v130
	v_lshrrev_b32_e32 v130, 4, v133
	v_and_b32_e32 v236, 0xf0f0f0f, v130
	s_waitcnt lgkmcnt(3)
	v_lshrrev_b32_e32 v130, 4, v134
	v_and_b32_e32 v237, 0xf0f0f0f, v130
	v_lshrrev_b32_e32 v130, 4, v135
	v_and_b32_e32 v239, 0xf0f0f0f, v130
	s_waitcnt lgkmcnt(2)
	v_lshrrev_b32_e32 v130, 4, v136
	s_waitcnt lgkmcnt(1)
	v_and_b32_e32 v219, 0xff, v128
	s_waitcnt lgkmcnt(0)
	v_cvt_f32_ubyte0_e32 v124, v116
	v_and_b32_e32 v240, 0xf0f0f0f, v130
	v_lshrrev_b32_e32 v130, 4, v137
	v_lshrrev_b16_e32 v238, 8, v128
	v_cvt_f32_ubyte1_e32 v128, v116
	v_add_u32_e32 v116, 0x3180, v169
	v_and_b32_e32 v208, 0xf0f0f0f, v131
	v_and_b32_e32 v241, 0xf0f0f0f, v130
	ds_read2_b32 v[130:131], v116 offset1:1
	v_mov_b32_e32 v242, 0
	v_mov_b32_e32 v243, 0
	;; [unrolled: 1-line block ×4, first 2 shown]
	s_waitcnt lgkmcnt(0)
	v_and_b32_e32 v233, 0xf0f0f0f, v130
	v_dot4c_i32_i8_e32 v242, v188, v12
	v_dot4c_i32_i8_e32 v243, v187, v12
	;; [unrolled: 1-line block ×4, first 2 shown]
	v_and_b32_e32 v189, 0xf0f0f0f, v131
	v_add_u32_e32 v12, 0x3188, v169
	v_dot4c_i32_i8_e32 v242, v186, v13
	v_dot4c_i32_i8_e32 v243, v192, v13
	;; [unrolled: 1-line block ×4, first 2 shown]
	ds_read2_b32 v[12:13], v12 offset1:1
	v_and_b32_e32 v213, 0xf0f0f0f, v132
	v_dot4c_i32_i8_e32 v242, v190, v14
	v_dot4c_i32_i8_e32 v243, v193, v14
	;; [unrolled: 1-line block ×3, first 2 shown]
	s_waitcnt lgkmcnt(0)
	v_and_b32_e32 v181, 0xf0f0f0f, v12
	v_and_b32_e32 v215, 0xf0f0f0f, v133
	v_dot4c_i32_i8_e32 v247, v181, v14
	v_and_b32_e32 v180, 0xf0f0f0f, v13
	v_add_u32_e32 v14, 0x3190, v169
	v_dot4c_i32_i8_e32 v242, v191, v15
	v_dot4c_i32_i8_e32 v243, v194, v15
	;; [unrolled: 1-line block ×4, first 2 shown]
	ds_read2_b32 v[14:15], v14 offset1:1
	v_and_b32_e32 v221, 0xf0f0f0f, v134
	v_dot4c_i32_i8_e32 v242, v195, v8
	v_dot4c_i32_i8_e32 v243, v200, v8
	;; [unrolled: 1-line block ×3, first 2 shown]
	s_waitcnt lgkmcnt(0)
	v_and_b32_e32 v182, 0xf0f0f0f, v14
	v_and_b32_e32 v222, 0xf0f0f0f, v135
	v_dot4c_i32_i8_e32 v247, v182, v8
	v_and_b32_e32 v183, 0xf0f0f0f, v15
	v_add_u32_e32 v8, 0x3198, v169
	v_dot4c_i32_i8_e32 v242, v196, v9
	v_dot4c_i32_i8_e32 v243, v201, v9
	;; [unrolled: 1-line block ×4, first 2 shown]
	ds_read2_b32 v[8:9], v8 offset1:1
	v_and_b32_e32 v225, 0xf0f0f0f, v136
	v_dot4c_i32_i8_e32 v242, v198, v10
	v_dot4c_i32_i8_e32 v243, v204, v10
	;; [unrolled: 1-line block ×3, first 2 shown]
	s_waitcnt lgkmcnt(0)
	v_and_b32_e32 v184, 0xf0f0f0f, v8
	v_and_b32_e32 v226, 0xf0f0f0f, v137
	v_add3_u32 v114, v151, s17, v114
	v_dot4c_i32_i8_e32 v247, v184, v10
	v_and_b32_e32 v185, 0xf0f0f0f, v9
	v_dot4c_i32_i8_e32 v242, v199, v11
	v_dot4c_i32_i8_e32 v243, v205, v11
	;; [unrolled: 1-line block ×4, first 2 shown]
	ds_read_u16 v10, v114 offset:26624
	ds_read_u16 v11, v114 offset:26632
	v_lshrrev_b32_e32 v114, 4, v130
	v_mov_b32_e32 v244, 0
	v_mov_b32_e32 v246, 0
	;; [unrolled: 1-line block ×3, first 2 shown]
	v_and_b32_e32 v177, 0xf0f0f0f, v114
	v_mov_b32_e32 v249, 0
	v_dot4c_i32_i8_e32 v244, v202, v4
	v_dot4c_i32_i8_e32 v246, v207, v4
	;; [unrolled: 1-line block ×4, first 2 shown]
	v_lshrrev_b32_e32 v4, 4, v131
	v_and_b32_e32 v179, 0xf0f0f0f, v4
	v_lshrrev_b32_e32 v4, 4, v12
	v_dot4c_i32_i8_e32 v244, v210, v5
	v_dot4c_i32_i8_e32 v246, v220, v5
	v_dot4c_i32_i8_e32 v248, v234, v5
	v_dot4c_i32_i8_e32 v249, v179, v5
	v_and_b32_e32 v178, 0xf0f0f0f, v4
	v_lshrrev_b32_e32 v4, 4, v13
	v_dot4c_i32_i8_e32 v244, v211, v6
	v_dot4c_i32_i8_e32 v246, v223, v6
	v_dot4c_i32_i8_e32 v248, v235, v6
	v_dot4c_i32_i8_e32 v249, v178, v6
	;; [unrolled: 6-line block ×3, first 2 shown]
	v_and_b32_e32 v173, 0xf0f0f0f, v4
	v_dot4c_i32_i8_e32 v244, v214, v0
	v_dot4c_i32_i8_e32 v246, v227, v0
	;; [unrolled: 1-line block ×4, first 2 shown]
	v_lshrrev_b32_e32 v0, 4, v15
	v_and_b32_e32 v174, 0xf0f0f0f, v0
	v_lshrrev_b32_e32 v0, 4, v8
	v_dot4c_i32_i8_e32 v244, v216, v1
	v_dot4c_i32_i8_e32 v246, v229, v1
	;; [unrolled: 1-line block ×4, first 2 shown]
	v_and_b32_e32 v175, 0xf0f0f0f, v0
	v_lshrrev_b32_e32 v0, 4, v9
	v_dot4c_i32_i8_e32 v244, v217, v2
	v_dot4c_i32_i8_e32 v246, v230, v2
	;; [unrolled: 1-line block ×4, first 2 shown]
	v_and_b32_e32 v176, 0xf0f0f0f, v0
	v_dot4c_i32_i8_e32 v244, v218, v3
	v_dot4c_i32_i8_e32 v246, v232, v3
	;; [unrolled: 1-line block ×3, first 2 shown]
	s_waitcnt lgkmcnt(1)
	v_and_b32_e32 v171, 0xff, v10
	s_waitcnt lgkmcnt(0)
	v_cvt_f32_ubyte0_e32 v116, v11
	v_dot4c_i32_i8_e32 v249, v176, v3
	v_lshrrev_b16_e32 v170, 8, v10
	v_cvt_f32_ubyte1_e32 v114, v11
	ds_read_b128 v[12:15], v167 offset:1024
	ds_read_b128 v[8:11], v167 offset:1040
	;; [unrolled: 1-line block ×4, first 2 shown]
	v_mov_b32_e32 v254, 0
	s_waitcnt lgkmcnt(3)
	v_dot4c_i32_i8_e32 v254, v188, v12
	v_dot4c_i32_i8_e32 v254, v186, v13
	v_mov_b32_e32 v255, 0
	v_dot4c_i32_i8_e32 v254, v190, v14
	s_waitcnt lgkmcnt(1)
	v_dot4c_i32_i8_e32 v255, v202, v4
	v_dot4c_i32_i8_e32 v254, v191, v15
	;; [unrolled: 1-line block ×3, first 2 shown]
	ds_read2_b64 v[250:253], v168 offset1:16
	v_dot4c_i32_i8_e32 v254, v195, v8
	v_dot4c_i32_i8_e32 v255, v211, v6
	;; [unrolled: 1-line block ×5, first 2 shown]
	s_waitcnt lgkmcnt(1)
	v_dot4c_i32_i8_e32 v255, v214, v0
	v_dot4c_i32_i8_e32 v254, v199, v11
	;; [unrolled: 1-line block ×4, first 2 shown]
	s_waitcnt lgkmcnt(0)
	v_cvt_f32_f16_e32 v134, v250
	v_cvt_f32_f16_sdwa v136, v250 dst_sel:DWORD dst_unused:UNUSED_PAD src0_sel:WORD_1
	v_mul_lo_u32 v242, v242, v197
	v_mul_lo_u32 v250, v254, v197
	v_dot4c_i32_i8_e32 v255, v218, v3
	v_cvt_f32_f16_e32 v130, v251
	v_cvt_f32_f16_sdwa v132, v251 dst_sel:DWORD dst_unused:UNUSED_PAD src0_sel:WORD_1
	v_cvt_f32_i32_e32 v251, v250
	v_cvt_f32_i32_e32 v250, v242
	v_mul_lo_u32 v242, v244, v209
	v_mul_lo_u32 v244, v255, v209
	v_cvt_f32_i32_e32 v254, v242
	v_mov_b32_e32 v242, 0
	v_cvt_f32_f16_sdwa v137, v252 dst_sel:DWORD dst_unused:UNUSED_PAD src0_sel:WORD_1
	v_cvt_f32_i32_e32 v255, v244
	v_dot4c_i32_i8_e32 v242, v187, v12
	v_mov_b32_e32 v244, 0
	v_cvt_f32_f16_e32 v135, v252
	v_cvt_f32_f16_sdwa v133, v253 dst_sel:DWORD dst_unused:UNUSED_PAD src0_sel:WORD_1
	v_dot4c_i32_i8_e32 v242, v192, v13
	v_dot4c_i32_i8_e32 v244, v207, v4
	v_cvt_f32_f16_e32 v131, v253
	v_dot4c_i32_i8_e32 v242, v193, v14
	v_dot4c_i32_i8_e32 v244, v220, v5
	;; [unrolled: 1-line block ×4, first 2 shown]
	v_pk_fma_f32 v[252:253], v[118:119], v[136:137], 0 op_sel_hi:[0,1,0]
	v_dot4c_i32_i8_e32 v242, v200, v8
	v_dot4c_i32_i8_e32 v244, v224, v7
	v_pk_fma_f32 v[250:251], v[134:135], v[250:251], 0 op_sel_hi:[1,1,0]
	v_pk_fma_f32 v[252:253], v[122:123], v[132:133], v[252:253] op_sel_hi:[0,1,1]
	v_dot4c_i32_i8_e32 v242, v201, v9
	v_dot4c_i32_i8_e32 v244, v227, v0
	v_pk_fma_f32 v[250:251], v[130:131], v[254:255], v[250:251]
	v_pk_mul_f32 v[252:253], v[252:253], v[100:101]
	v_dot4c_i32_i8_e32 v242, v204, v10
	v_dot4c_i32_i8_e32 v244, v229, v1
	v_pk_fma_f32 v[250:251], v[250:251], v[98:99], v[252:253] neg_lo:[0,0,1] neg_hi:[0,0,1]
	v_dot4c_i32_i8_e32 v242, v205, v11
	v_dot4c_i32_i8_e32 v244, v230, v2
	v_pk_add_f32 v[50:51], v[50:51], v[250:251]
	v_dot4c_i32_i8_e32 v244, v232, v3
	v_mul_lo_u32 v250, v243, v203
	v_mul_lo_u32 v242, v242, v203
	v_cvt_f32_i32_e32 v243, v242
	v_cvt_f32_i32_e32 v242, v250
	v_mul_lo_u32 v246, v246, v228
	v_mul_lo_u32 v244, v244, v228
	v_cvt_f32_i32_e32 v253, v244
	v_cvt_f32_i32_e32 v252, v246
	v_pk_fma_f32 v[250:251], v[120:121], v[136:137], 0 op_sel_hi:[0,1,0]
	v_pk_fma_f32 v[242:243], v[134:135], v[242:243], 0 op_sel_hi:[1,1,0]
	v_pk_fma_f32 v[250:251], v[126:127], v[132:133], v[250:251] op_sel_hi:[0,1,1]
	v_pk_fma_f32 v[242:243], v[130:131], v[252:253], v[242:243]
	v_pk_mul_f32 v[250:251], v[250:251], v[104:105]
	v_mov_b32_e32 v246, 0
	v_pk_fma_f32 v[242:243], v[242:243], v[102:103], v[250:251] neg_lo:[0,0,1] neg_hi:[0,0,1]
	v_dot4c_i32_i8_e32 v246, v231, v4
	v_pk_add_f32 v[52:53], v[52:53], v[242:243]
	v_mov_b32_e32 v242, 0
	v_dot4c_i32_i8_e32 v242, v206, v12
	v_dot4c_i32_i8_e32 v242, v208, v13
	;; [unrolled: 1-line block ×15, first 2 shown]
	v_mul_lo_u32 v244, v245, v219
	v_mul_lo_u32 v242, v242, v219
	v_cvt_f32_i32_e32 v243, v242
	v_cvt_f32_i32_e32 v242, v244
	v_mul_lo_u32 v248, v248, v238
	v_mul_lo_u32 v246, v246, v238
	v_cvt_f32_i32_e32 v251, v246
	v_cvt_f32_i32_e32 v250, v248
	v_pk_fma_f32 v[244:245], v[124:125], v[136:137], 0 op_sel_hi:[0,1,0]
	v_pk_fma_f32 v[242:243], v[134:135], v[242:243], 0 op_sel_hi:[1,1,0]
	;; [unrolled: 1-line block ×3, first 2 shown]
	v_pk_fma_f32 v[242:243], v[130:131], v[250:251], v[242:243]
	v_pk_mul_f32 v[244:245], v[244:245], v[108:109]
	v_mov_b32_e32 v252, 0
	v_pk_fma_f32 v[242:243], v[242:243], v[106:107], v[244:245] neg_lo:[0,0,1] neg_hi:[0,0,1]
	v_mov_b32_e32 v246, 0
	v_pk_add_f32 v[48:49], v[48:49], v[242:243]
	v_mov_b32_e32 v242, 0
	v_dot4c_i32_i8_e32 v242, v233, v12
	v_dot4c_i32_i8_e32 v242, v189, v13
	;; [unrolled: 1-line block ×5, first 2 shown]
	v_mov_b32_e32 v8, 0
	v_dot4c_i32_i8_e32 v8, v177, v4
	v_dot4c_i32_i8_e32 v8, v179, v5
	;; [unrolled: 1-line block ×11, first 2 shown]
	v_mul_lo_u32 v0, v247, v171
	v_mul_lo_u32 v1, v242, v171
	v_cvt_f32_i32_e32 v1, v1
	v_cvt_f32_i32_e32 v0, v0
	v_mul_lo_u32 v4, v249, v170
	v_mul_lo_u32 v5, v8, v170
	v_cvt_f32_i32_e32 v5, v5
	v_cvt_f32_i32_e32 v4, v4
	v_pk_fma_f32 v[2:3], v[116:117], v[136:137], 0 op_sel_hi:[0,1,0]
	v_pk_fma_f32 v[0:1], v[134:135], v[0:1], 0 op_sel_hi:[1,1,0]
	;; [unrolled: 1-line block ×3, first 2 shown]
	v_pk_fma_f32 v[0:1], v[130:131], v[4:5], v[0:1]
	v_pk_mul_f32 v[2:3], v[2:3], v[112:113]
	v_mov_b32_e32 v247, 0
	v_pk_fma_f32 v[0:1], v[0:1], v[110:111], v[2:3] neg_lo:[0,0,1] neg_hi:[0,0,1]
	v_mov_b32_e32 v254, 0
	v_pk_add_f32 v[44:45], v[44:45], v[0:1]
	ds_read_b128 v[12:15], v167 offset:2048
	ds_read_b128 v[8:11], v167 offset:2064
	ds_read_b128 v[4:7], v167 offset:2080
	ds_read_b128 v[0:3], v167 offset:2096
	v_mov_b32_e32 v244, 0
	v_mov_b32_e32 v245, 0
	;; [unrolled: 1-line block ×4, first 2 shown]
	s_waitcnt lgkmcnt(3)
	v_dot4c_i32_i8_e32 v247, v188, v12
	s_waitcnt lgkmcnt(1)
	v_dot4c_i32_i8_e32 v252, v202, v4
	v_dot4c_i32_i8_e32 v246, v187, v12
	;; [unrolled: 1-line block ×32, first 2 shown]
	s_waitcnt lgkmcnt(0)
	v_dot4c_i32_i8_e32 v252, v214, v0
	v_dot4c_i32_i8_e32 v246, v200, v8
	;; [unrolled: 1-line block ×31, first 2 shown]
	ds_read_b128 v[12:15], v167 offset:3072
	ds_read_b128 v[8:11], v167 offset:3088
	;; [unrolled: 1-line block ×4, first 2 shown]
	v_mov_b32_e32 v253, 0
	s_waitcnt lgkmcnt(3)
	v_dot4c_i32_i8_e32 v253, v188, v12
	v_mov_b32_e32 v255, 0
	v_dot4c_i32_i8_e32 v253, v186, v13
	s_waitcnt lgkmcnt(1)
	v_dot4c_i32_i8_e32 v255, v202, v4
	v_dot4c_i32_i8_e32 v253, v190, v14
	;; [unrolled: 1-line block ×5, first 2 shown]
	ds_read2_b64 v[248:251], v168 offset0:32 offset1:48
	v_dot4c_i32_i8_e32 v253, v195, v8
	v_dot4c_i32_i8_e32 v255, v212, v7
	;; [unrolled: 1-line block ×3, first 2 shown]
	s_waitcnt lgkmcnt(1)
	v_dot4c_i32_i8_e32 v255, v214, v0
	v_dot4c_i32_i8_e32 v253, v198, v10
	v_dot4c_i32_i8_e32 v255, v216, v1
	v_dot4c_i32_i8_e32 v253, v199, v11
	v_dot4c_i32_i8_e32 v255, v217, v2
	v_dot4c_i32_i8_e32 v255, v218, v3
	s_waitcnt lgkmcnt(0)
	v_cvt_f32_f16_e32 v134, v248
	v_cvt_f32_f16_sdwa v137, v250 dst_sel:DWORD dst_unused:UNUSED_PAD src0_sel:WORD_1
	v_cvt_f32_f16_sdwa v136, v248 dst_sel:DWORD dst_unused:UNUSED_PAD src0_sel:WORD_1
	v_mul_lo_u32 v247, v247, v197
	v_mul_lo_u32 v248, v253, v197
	v_cvt_f32_f16_e32 v135, v250
	v_cvt_f32_f16_e32 v130, v249
	v_cvt_f32_f16_sdwa v133, v251 dst_sel:DWORD dst_unused:UNUSED_PAD src0_sel:WORD_1
	v_cvt_f32_f16_sdwa v132, v249 dst_sel:DWORD dst_unused:UNUSED_PAD src0_sel:WORD_1
	v_cvt_f32_i32_e32 v249, v248
	v_cvt_f32_i32_e32 v248, v247
	v_mul_lo_u32 v247, v252, v209
	v_mul_lo_u32 v252, v255, v209
	v_cvt_f32_f16_e32 v131, v251
	v_cvt_f32_i32_e32 v253, v252
	v_cvt_f32_i32_e32 v252, v247
	v_pk_fma_f32 v[250:251], v[118:119], v[136:137], 0 op_sel_hi:[0,1,0]
	v_pk_fma_f32 v[248:249], v[248:249], v[134:135], 0 op_sel_hi:[1,1,0]
	;; [unrolled: 1-line block ×3, first 2 shown]
	v_pk_fma_f32 v[248:249], v[252:253], v[130:131], v[248:249]
	v_pk_mul_f32 v[250:251], v[250:251], v[100:101]
	v_mov_b32_e32 v247, 0
	v_pk_fma_f32 v[248:249], v[248:249], v[98:99], v[250:251] neg_lo:[0,0,1] neg_hi:[0,0,1]
	v_dot4c_i32_i8_e32 v247, v187, v12
	v_mov_b32_e32 v250, 0
	v_dot4c_i32_i8_e32 v247, v192, v13
	v_dot4c_i32_i8_e32 v250, v207, v4
	;; [unrolled: 1-line block ×15, first 2 shown]
	v_mul_lo_u32 v246, v246, v203
	v_mul_lo_u32 v247, v247, v203
	v_cvt_f32_i32_e32 v247, v247
	v_cvt_f32_i32_e32 v246, v246
	v_mul_lo_u32 v252, v254, v228
	v_mul_lo_u32 v250, v250, v228
	v_cvt_f32_i32_e32 v251, v250
	v_cvt_f32_i32_e32 v250, v252
	v_pk_add_f32 v[38:39], v[38:39], v[248:249]
	v_pk_fma_f32 v[248:249], v[120:121], v[136:137], 0 op_sel_hi:[0,1,0]
	v_pk_fma_f32 v[246:247], v[246:247], v[134:135], 0 op_sel_hi:[1,1,0]
	;; [unrolled: 1-line block ×3, first 2 shown]
	v_pk_fma_f32 v[246:247], v[250:251], v[130:131], v[246:247]
	v_pk_mul_f32 v[248:249], v[248:249], v[104:105]
	v_mov_b32_e32 v250, 0
	v_pk_fma_f32 v[246:247], v[246:247], v[102:103], v[248:249] neg_lo:[0,0,1] neg_hi:[0,0,1]
	v_dot4c_i32_i8_e32 v250, v231, v4
	v_pk_add_f32 v[36:37], v[36:37], v[246:247]
	v_mov_b32_e32 v246, 0
	v_dot4c_i32_i8_e32 v246, v206, v12
	v_dot4c_i32_i8_e32 v246, v208, v13
	v_dot4c_i32_i8_e32 v246, v213, v14
	v_dot4c_i32_i8_e32 v250, v234, v5
	v_dot4c_i32_i8_e32 v246, v215, v15
	v_dot4c_i32_i8_e32 v250, v235, v6
	v_dot4c_i32_i8_e32 v246, v221, v8
	v_dot4c_i32_i8_e32 v250, v236, v7
	v_dot4c_i32_i8_e32 v246, v222, v9
	v_dot4c_i32_i8_e32 v250, v237, v0
	v_dot4c_i32_i8_e32 v246, v225, v10
	v_dot4c_i32_i8_e32 v250, v239, v1
	v_dot4c_i32_i8_e32 v246, v226, v11
	v_dot4c_i32_i8_e32 v250, v240, v2
	v_dot4c_i32_i8_e32 v250, v241, v3
	v_mul_lo_u32 v244, v244, v219
	v_mul_lo_u32 v246, v246, v219
	v_cvt_f32_i32_e32 v247, v246
	v_cvt_f32_i32_e32 v246, v244
	v_mul_lo_u32 v244, v245, v238
	v_mul_lo_u32 v245, v250, v238
	v_cvt_f32_i32_e32 v245, v245
	v_cvt_f32_i32_e32 v244, v244
	v_pk_fma_f32 v[246:247], v[246:247], v[134:135], 0 op_sel_hi:[1,1,0]
	v_pk_fma_f32 v[248:249], v[124:125], v[136:137], 0 op_sel_hi:[0,1,0]
	v_mov_b32_e32 v254, 0
	v_pk_fma_f32 v[244:245], v[244:245], v[130:131], v[246:247]
	v_pk_fma_f32 v[246:247], v[128:129], v[132:133], v[248:249] op_sel_hi:[0,1,1]
	v_pk_mul_f32 v[246:247], v[246:247], v[108:109]
	v_mov_b32_e32 v248, 0
	v_pk_fma_f32 v[244:245], v[244:245], v[106:107], v[246:247] neg_lo:[0,0,1] neg_hi:[0,0,1]
	v_mov_b32_e32 v249, 0
	v_pk_add_f32 v[34:35], v[34:35], v[244:245]
	v_mov_b32_e32 v244, 0
	v_dot4c_i32_i8_e32 v244, v233, v12
	v_dot4c_i32_i8_e32 v244, v189, v13
	;; [unrolled: 1-line block ×5, first 2 shown]
	v_mov_b32_e32 v8, 0
	v_dot4c_i32_i8_e32 v8, v177, v4
	v_dot4c_i32_i8_e32 v8, v179, v5
	;; [unrolled: 1-line block ×11, first 2 shown]
	v_mul_lo_u32 v0, v242, v171
	v_mul_lo_u32 v1, v244, v171
	v_cvt_f32_i32_e32 v1, v1
	v_cvt_f32_i32_e32 v0, v0
	v_mul_lo_u32 v4, v243, v170
	v_mul_lo_u32 v5, v8, v170
	v_cvt_f32_i32_e32 v5, v5
	v_cvt_f32_i32_e32 v4, v4
	v_pk_fma_f32 v[2:3], v[116:117], v[136:137], 0 op_sel_hi:[0,1,0]
	v_pk_fma_f32 v[0:1], v[0:1], v[134:135], 0 op_sel_hi:[1,1,0]
	;; [unrolled: 1-line block ×3, first 2 shown]
	v_pk_fma_f32 v[0:1], v[4:5], v[130:131], v[0:1]
	v_pk_mul_f32 v[2:3], v[2:3], v[112:113]
	v_mov_b32_e32 v246, 0
	v_pk_fma_f32 v[0:1], v[0:1], v[110:111], v[2:3] neg_lo:[0,0,1] neg_hi:[0,0,1]
	v_mov_b32_e32 v247, 0
	v_pk_add_f32 v[32:33], v[32:33], v[0:1]
	ds_read_b128 v[12:15], v167 offset:4096
	ds_read_b128 v[8:11], v167 offset:4112
	ds_read_b128 v[4:7], v167 offset:4128
	ds_read_b128 v[0:3], v167 offset:4144
	v_mov_b32_e32 v244, 0
	v_mov_b32_e32 v245, 0
	;; [unrolled: 1-line block ×4, first 2 shown]
	s_waitcnt lgkmcnt(3)
	v_dot4c_i32_i8_e32 v248, v188, v12
	s_waitcnt lgkmcnt(1)
	v_dot4c_i32_i8_e32 v249, v202, v4
	v_dot4c_i32_i8_e32 v246, v187, v12
	;; [unrolled: 1-line block ×32, first 2 shown]
	s_waitcnt lgkmcnt(0)
	v_dot4c_i32_i8_e32 v249, v214, v0
	v_dot4c_i32_i8_e32 v246, v200, v8
	;; [unrolled: 1-line block ×31, first 2 shown]
	ds_read_b128 v[12:15], v167 offset:5120
	ds_read_b128 v[8:11], v167 offset:5136
	;; [unrolled: 1-line block ×4, first 2 shown]
	v_mov_b32_e32 v255, 0
	s_waitcnt lgkmcnt(3)
	v_dot4c_i32_i8_e32 v254, v188, v12
	v_dot4c_i32_i8_e32 v254, v186, v13
	s_waitcnt lgkmcnt(1)
	v_dot4c_i32_i8_e32 v255, v202, v4
	v_dot4c_i32_i8_e32 v254, v190, v14
	;; [unrolled: 1-line block ×5, first 2 shown]
	ds_read2_b64 v[250:253], v168 offset0:64 offset1:80
	v_dot4c_i32_i8_e32 v254, v195, v8
	v_dot4c_i32_i8_e32 v255, v212, v7
	;; [unrolled: 1-line block ×3, first 2 shown]
	s_waitcnt lgkmcnt(1)
	v_dot4c_i32_i8_e32 v255, v214, v0
	v_dot4c_i32_i8_e32 v254, v198, v10
	;; [unrolled: 1-line block ×6, first 2 shown]
	s_waitcnt lgkmcnt(0)
	v_cvt_f32_f16_e32 v134, v250
	v_cvt_f32_f16_sdwa v136, v250 dst_sel:DWORD dst_unused:UNUSED_PAD src0_sel:WORD_1
	v_mul_lo_u32 v248, v248, v197
	v_mul_lo_u32 v250, v254, v197
	v_cvt_f32_f16_e32 v135, v252
	v_cvt_f32_f16_sdwa v137, v252 dst_sel:DWORD dst_unused:UNUSED_PAD src0_sel:WORD_1
	v_cvt_f32_f16_e32 v130, v251
	v_cvt_f32_f16_sdwa v132, v251 dst_sel:DWORD dst_unused:UNUSED_PAD src0_sel:WORD_1
	v_cvt_f32_i32_e32 v251, v250
	v_cvt_f32_i32_e32 v250, v248
	v_mul_lo_u32 v248, v249, v209
	v_mul_lo_u32 v249, v255, v209
	v_cvt_f32_f16_e32 v131, v253
	v_cvt_f32_f16_sdwa v133, v253 dst_sel:DWORD dst_unused:UNUSED_PAD src0_sel:WORD_1
	v_cvt_f32_i32_e32 v249, v249
	v_cvt_f32_i32_e32 v248, v248
	v_pk_fma_f32 v[250:251], v[250:251], v[134:135], 0 op_sel_hi:[1,1,0]
	v_pk_fma_f32 v[252:253], v[118:119], v[136:137], 0 op_sel_hi:[0,1,0]
	v_mul_lo_u32 v246, v246, v203
	v_pk_fma_f32 v[248:249], v[248:249], v[130:131], v[250:251]
	v_pk_fma_f32 v[250:251], v[122:123], v[132:133], v[252:253] op_sel_hi:[0,1,1]
	v_pk_mul_f32 v[250:251], v[250:251], v[100:101]
	v_mov_b32_e32 v252, 0
	v_pk_fma_f32 v[248:249], v[248:249], v[98:99], v[250:251] neg_lo:[0,0,1] neg_hi:[0,0,1]
	v_dot4c_i32_i8_e32 v252, v207, v4
	v_pk_add_f32 v[30:31], v[30:31], v[248:249]
	v_mov_b32_e32 v248, 0
	v_dot4c_i32_i8_e32 v248, v187, v12
	v_dot4c_i32_i8_e32 v248, v192, v13
	;; [unrolled: 1-line block ×15, first 2 shown]
	v_pk_fma_f32 v[250:251], v[120:121], v[136:137], 0 op_sel_hi:[0,1,0]
	v_mul_lo_u32 v248, v248, v203
	v_cvt_f32_i32_e32 v249, v248
	v_cvt_f32_i32_e32 v248, v246
	v_mul_lo_u32 v246, v247, v228
	v_mul_lo_u32 v247, v252, v228
	v_cvt_f32_i32_e32 v247, v247
	v_cvt_f32_i32_e32 v246, v246
	v_pk_fma_f32 v[248:249], v[248:249], v[134:135], 0 op_sel_hi:[1,1,0]
	v_mul_lo_u32 v244, v244, v219
	v_mov_b32_e32 v254, 0
	v_pk_fma_f32 v[246:247], v[246:247], v[130:131], v[248:249]
	v_pk_fma_f32 v[248:249], v[126:127], v[132:133], v[250:251] op_sel_hi:[0,1,1]
	v_pk_mul_f32 v[248:249], v[248:249], v[104:105]
	v_mov_b32_e32 v250, 0
	v_pk_fma_f32 v[246:247], v[246:247], v[102:103], v[248:249] neg_lo:[0,0,1] neg_hi:[0,0,1]
	v_dot4c_i32_i8_e32 v250, v231, v4
	v_pk_add_f32 v[28:29], v[28:29], v[246:247]
	v_mov_b32_e32 v246, 0
	v_dot4c_i32_i8_e32 v246, v206, v12
	v_dot4c_i32_i8_e32 v246, v208, v13
	;; [unrolled: 1-line block ×15, first 2 shown]
	v_pk_fma_f32 v[248:249], v[124:125], v[136:137], 0 op_sel_hi:[0,1,0]
	v_mul_lo_u32 v246, v246, v219
	v_cvt_f32_i32_e32 v247, v246
	v_cvt_f32_i32_e32 v246, v244
	v_mul_lo_u32 v244, v245, v238
	v_mul_lo_u32 v245, v250, v238
	v_cvt_f32_i32_e32 v245, v245
	v_cvt_f32_i32_e32 v244, v244
	v_pk_fma_f32 v[246:247], v[246:247], v[134:135], 0 op_sel_hi:[1,1,0]
	s_add_i32 s0, s0, 8
	s_add_i32 s17, s16, 8
	v_pk_fma_f32 v[244:245], v[244:245], v[130:131], v[246:247]
	v_pk_fma_f32 v[246:247], v[128:129], v[132:133], v[248:249] op_sel_hi:[0,1,1]
	v_pk_mul_f32 v[246:247], v[246:247], v[108:109]
	v_mov_b32_e32 v248, 0
	v_pk_fma_f32 v[244:245], v[244:245], v[106:107], v[246:247] neg_lo:[0,0,1] neg_hi:[0,0,1]
	v_mov_b32_e32 v249, 0
	v_pk_add_f32 v[26:27], v[26:27], v[244:245]
	v_mov_b32_e32 v244, 0
	v_dot4c_i32_i8_e32 v244, v233, v12
	v_dot4c_i32_i8_e32 v244, v189, v13
	v_dot4c_i32_i8_e32 v244, v181, v14
	v_dot4c_i32_i8_e32 v244, v180, v15
	v_dot4c_i32_i8_e32 v244, v182, v8
	v_mov_b32_e32 v8, 0
	v_dot4c_i32_i8_e32 v8, v177, v4
	v_dot4c_i32_i8_e32 v8, v179, v5
	;; [unrolled: 1-line block ×11, first 2 shown]
	v_mul_lo_u32 v0, v242, v171
	v_mul_lo_u32 v1, v244, v171
	v_cvt_f32_i32_e32 v1, v1
	v_cvt_f32_i32_e32 v0, v0
	v_mul_lo_u32 v4, v243, v170
	v_mul_lo_u32 v5, v8, v170
	v_cvt_f32_i32_e32 v5, v5
	v_cvt_f32_i32_e32 v4, v4
	v_pk_fma_f32 v[2:3], v[116:117], v[136:137], 0 op_sel_hi:[0,1,0]
	v_pk_fma_f32 v[0:1], v[0:1], v[134:135], 0 op_sel_hi:[1,1,0]
	;; [unrolled: 1-line block ×3, first 2 shown]
	v_pk_fma_f32 v[0:1], v[4:5], v[130:131], v[0:1]
	v_pk_mul_f32 v[2:3], v[2:3], v[112:113]
	v_mov_b32_e32 v246, 0
	v_pk_fma_f32 v[0:1], v[0:1], v[110:111], v[2:3] neg_lo:[0,0,1] neg_hi:[0,0,1]
	v_mov_b32_e32 v247, 0
	v_pk_add_f32 v[24:25], v[24:25], v[0:1]
	ds_read_b128 v[8:11], v167 offset:6144
	ds_read_b128 v[12:15], v167 offset:6160
	;; [unrolled: 1-line block ×4, first 2 shown]
	v_mov_b32_e32 v244, 0
	v_mov_b32_e32 v245, 0
	;; [unrolled: 1-line block ×4, first 2 shown]
	s_waitcnt lgkmcnt(3)
	v_dot4c_i32_i8_e32 v248, v188, v8
	s_waitcnt lgkmcnt(1)
	v_dot4c_i32_i8_e32 v249, v202, v4
	v_dot4c_i32_i8_e32 v246, v187, v8
	;; [unrolled: 1-line block ×32, first 2 shown]
	s_waitcnt lgkmcnt(0)
	v_dot4c_i32_i8_e32 v249, v214, v0
	v_dot4c_i32_i8_e32 v246, v200, v12
	;; [unrolled: 1-line block ×31, first 2 shown]
	ds_read_b128 v[8:11], v167 offset:7168
	ds_read_b128 v[12:15], v167 offset:7184
	;; [unrolled: 1-line block ×4, first 2 shown]
	ds_read2_b64 v[250:253], v168 offset0:96 offset1:112
	s_waitcnt lgkmcnt(4)
	v_dot4c_i32_i8_e32 v254, v188, v8
	v_dot4c_i32_i8_e32 v254, v186, v9
	;; [unrolled: 1-line block ×4, first 2 shown]
	s_waitcnt lgkmcnt(3)
	v_dot4c_i32_i8_e32 v254, v195, v12
	s_waitcnt lgkmcnt(0)
	v_cvt_f32_f16_sdwa v135, v252 dst_sel:DWORD dst_unused:UNUSED_PAD src0_sel:WORD_1
	v_cvt_f32_f16_sdwa v134, v250 dst_sel:DWORD dst_unused:UNUSED_PAD src0_sel:WORD_1
	v_dot4c_i32_i8_e32 v254, v196, v13
	v_dot4c_i32_i8_e32 v254, v198, v14
	;; [unrolled: 1-line block ×3, first 2 shown]
	v_mov_b32_e32 v186, 0
	v_dot4c_i32_i8_e32 v186, v202, v4
	v_mul_lo_u32 v188, v248, v197
	v_mul_lo_u32 v190, v254, v197
	v_pk_fma_f32 v[196:197], v[118:119], v[134:135], 0 op_sel_hi:[0,1,0]
	v_mul_lo_u32 v118, v249, v209
	v_dot4c_i32_i8_e32 v186, v210, v5
	v_cvt_f32_i32_e32 v198, v118
	v_mov_b32_e32 v118, 0
	v_dot4c_i32_i8_e32 v186, v211, v6
	v_cvt_f32_f16_sdwa v131, v253 dst_sel:DWORD dst_unused:UNUSED_PAD src0_sel:WORD_1
	v_cvt_f32_f16_sdwa v130, v251 dst_sel:DWORD dst_unused:UNUSED_PAD src0_sel:WORD_1
	v_dot4c_i32_i8_e32 v118, v187, v8
	v_dot4c_i32_i8_e32 v186, v212, v7
	;; [unrolled: 1-line block ×8, first 2 shown]
	v_pk_fma_f32 v[196:197], v[122:123], v[130:131], v[196:197] op_sel_hi:[0,1,1]
	v_dot4c_i32_i8_e32 v118, v200, v12
	v_mov_b32_e32 v122, 0
	v_dot4c_i32_i8_e32 v186, v218, v3
	v_dot4c_i32_i8_e32 v118, v201, v13
	;; [unrolled: 1-line block ×3, first 2 shown]
	v_cvt_f32_f16_e32 v137, v252
	v_cvt_f32_f16_e32 v136, v250
	v_cvt_f32_i32_e32 v191, v190
	v_cvt_f32_i32_e32 v190, v188
	v_mul_lo_u32 v186, v186, v209
	v_dot4c_i32_i8_e32 v118, v204, v14
	v_dot4c_i32_i8_e32 v122, v220, v5
	v_cvt_f32_f16_e32 v133, v253
	v_cvt_f32_f16_e32 v132, v251
	v_cvt_f32_i32_e32 v199, v186
	v_dot4c_i32_i8_e32 v118, v205, v15
	v_dot4c_i32_i8_e32 v122, v223, v6
	;; [unrolled: 1-line block ×4, first 2 shown]
	v_mul_lo_u32 v118, v118, v203
	v_cvt_f32_i32_e32 v187, v118
	v_mul_lo_u32 v118, v247, v228
	v_pk_fma_f32 v[190:191], v[190:191], v[136:137], 0 op_sel_hi:[1,1,0]
	v_dot4c_i32_i8_e32 v122, v229, v1
	v_cvt_f32_i32_e32 v192, v118
	v_mov_b32_e32 v118, 0
	v_pk_fma_f32 v[190:191], v[198:199], v[132:133], v[190:191]
	v_pk_mul_f32 v[196:197], v[196:197], v[100:101]
	v_dot4c_i32_i8_e32 v122, v230, v2
	v_dot4c_i32_i8_e32 v118, v206, v8
	v_pk_fma_f32 v[190:191], v[190:191], v[98:99], v[196:197] neg_lo:[0,0,1] neg_hi:[0,0,1]
	v_dot4c_i32_i8_e32 v122, v232, v3
	v_mul_lo_u32 v186, v246, v203
	v_dot4c_i32_i8_e32 v118, v208, v9
	v_pk_add_f32 v[22:23], v[22:23], v[190:191]
	v_cvt_f32_i32_e32 v186, v186
	v_pk_fma_f32 v[190:191], v[120:121], v[134:135], 0 op_sel_hi:[0,1,0]
	v_mul_lo_u32 v120, v122, v228
	v_dot4c_i32_i8_e32 v118, v213, v10
	v_cvt_f32_i32_e32 v193, v120
	v_dot4c_i32_i8_e32 v118, v215, v11
	v_dot4c_i32_i8_e32 v118, v221, v12
	;; [unrolled: 1-line block ×3, first 2 shown]
	v_pk_fma_f32 v[186:187], v[186:187], v[136:137], 0 op_sel_hi:[1,1,0]
	v_pk_fma_f32 v[190:191], v[126:127], v[130:131], v[190:191] op_sel_hi:[0,1,1]
	v_dot4c_i32_i8_e32 v118, v225, v14
	v_pk_fma_f32 v[186:187], v[192:193], v[132:133], v[186:187]
	v_pk_mul_f32 v[190:191], v[190:191], v[104:105]
	v_dot4c_i32_i8_e32 v118, v226, v15
	v_pk_fma_f32 v[186:187], v[186:187], v[102:103], v[190:191] neg_lo:[0,0,1] neg_hi:[0,0,1]
	v_mov_b32_e32 v120, 0
	v_pk_add_f32 v[20:21], v[20:21], v[186:187]
	v_mul_lo_u32 v118, v118, v219
	v_cvt_f32_i32_e32 v187, v118
	v_mul_lo_u32 v118, v245, v238
	v_cvt_f32_i32_e32 v192, v118
	v_mov_b32_e32 v118, 0
	v_dot4c_i32_i8_e32 v118, v233, v8
	v_mov_b32_e32 v8, 0
	v_dot4c_i32_i8_e32 v120, v231, v4
	v_dot4c_i32_i8_e32 v118, v189, v9
	;; [unrolled: 1-line block ×22, first 2 shown]
	v_mul_lo_u32 v122, v244, v219
	v_dot4c_i32_i8_e32 v8, v176, v3
	v_mul_lo_u32 v0, v243, v171
	v_mul_lo_u32 v1, v118, v171
	v_cvt_f32_i32_e32 v186, v122
	v_mul_lo_u32 v120, v120, v238
	v_cvt_f32_i32_e32 v1, v1
	v_cvt_f32_i32_e32 v0, v0
	v_mul_lo_u32 v4, v242, v170
	v_mul_lo_u32 v5, v8, v170
	v_cvt_f32_i32_e32 v193, v120
	v_cvt_f32_i32_e32 v5, v5
	;; [unrolled: 1-line block ×3, first 2 shown]
	v_pk_fma_f32 v[190:191], v[124:125], v[134:135], 0 op_sel_hi:[0,1,0]
	v_pk_fma_f32 v[2:3], v[116:117], v[134:135], 0 op_sel_hi:[0,1,0]
	;; [unrolled: 1-line block ×6, first 2 shown]
	v_pk_fma_f32 v[186:187], v[192:193], v[132:133], v[186:187]
	v_pk_mul_f32 v[190:191], v[190:191], v[108:109]
	v_pk_fma_f32 v[0:1], v[4:5], v[132:133], v[0:1]
	v_pk_mul_f32 v[2:3], v[2:3], v[112:113]
	v_pk_fma_f32 v[186:187], v[186:187], v[106:107], v[190:191] neg_lo:[0,0,1] neg_hi:[0,0,1]
	v_pk_fma_f32 v[0:1], v[0:1], v[110:111], v[2:3] neg_lo:[0,0,1] neg_hi:[0,0,1]
	s_add_i32 s16, s16, 16
	s_add_i32 s1, s1, 2
	v_pk_add_f32 v[18:19], v[18:19], v[186:187]
	v_pk_add_f32 v[16:17], v[16:17], v[0:1]
	v_add_u32_e32 v169, 32, v169
	v_add_u32_e32 v168, 8, v168
	;; [unrolled: 1-line block ×3, first 2 shown]
	s_cmp_lt_u32 s16, 24
	s_mov_b32 s16, s17
	s_cbranch_scc1 .LBB131_8
; %bb.9:                                ;   in Loop: Header=BB131_5 Depth=1
	s_add_i32 s14, s14, 1
	s_cmp_eq_u32 s14, s4
	s_barrier
	s_cbranch_scc0 .LBB131_5
; %bb.10:
	v_mov_b32_e32 v1, v47
.LBB131_11:
	v_cmp_gt_u32_e32 vcc, s8, v55
	s_and_saveexec_b64 s[0:1], vcc
	s_cbranch_execz .LBB131_62
; %bb.12:
	v_add_u32_e32 v0, s6, v41
	v_mul_lo_u32 v5, v55, s10
	v_cmp_gt_u32_e32 vcc, s10, v0
	s_and_saveexec_b64 s[0:1], vcc
	s_cbranch_execz .LBB131_14
; %bb.13:
	v_add_u32_e32 v2, v0, v5
	v_mov_b32_e32 v3, 0
	s_waitcnt lgkmcnt(0)
	v_lshl_add_u64 v[2:3], v[2:3], 2, s[12:13]
	global_store_dword v[2:3], v50, off
.LBB131_14:
	s_or_b64 exec, exec, s[0:1]
	v_add_u32_e32 v2, 32, v0
	v_cmp_gt_u32_e64 s[0:1], s10, v2
	s_and_saveexec_b64 s[2:3], s[0:1]
	s_cbranch_execz .LBB131_16
; %bb.15:
	v_add_u32_e32 v6, v2, v5
	v_mov_b32_e32 v7, 0
	s_waitcnt lgkmcnt(0)
	v_lshl_add_u64 v[6:7], v[6:7], 2, s[12:13]
	global_store_dword v[6:7], v52, off
.LBB131_16:
	s_or_b64 exec, exec, s[2:3]
	v_add_u32_e32 v3, 64, v0
	v_cmp_gt_u32_e64 s[2:3], s10, v3
	s_and_saveexec_b64 s[4:5], s[2:3]
	s_cbranch_execz .LBB131_18
; %bb.17:
	v_add_u32_e32 v6, v3, v5
	v_mov_b32_e32 v7, 0
	s_waitcnt lgkmcnt(0)
	v_lshl_add_u64 v[6:7], v[6:7], 2, s[12:13]
	global_store_dword v[6:7], v48, off
.LBB131_18:
	s_or_b64 exec, exec, s[4:5]
	v_add_u32_e32 v4, 0x60, v0
	v_cmp_gt_u32_e64 s[4:5], s10, v4
	s_and_saveexec_b64 s[6:7], s[4:5]
	s_cbranch_execz .LBB131_20
; %bb.19:
	v_add_u32_e32 v6, v4, v5
	v_mov_b32_e32 v7, 0
	s_waitcnt lgkmcnt(0)
	v_lshl_add_u64 v[6:7], v[6:7], 2, s[12:13]
	global_store_dword v[6:7], v44, off
.LBB131_20:
	s_or_b64 exec, exec, s[6:7]
	v_add3_u32 v5, v1, s11, 8
	v_cmp_gt_u32_e64 s[6:7], s8, v5
	s_and_b64 exec, exec, s[6:7]
	s_cbranch_execz .LBB131_62
; %bb.21:
	v_mul_lo_u32 v5, v5, s10
	s_and_saveexec_b64 s[6:7], vcc
	s_cbranch_execnz .LBB131_63
; %bb.22:
	s_or_b64 exec, exec, s[6:7]
	s_and_saveexec_b64 s[6:7], s[0:1]
	s_cbranch_execnz .LBB131_64
.LBB131_23:
	s_or_b64 exec, exec, s[6:7]
	s_and_saveexec_b64 s[6:7], s[2:3]
	s_cbranch_execnz .LBB131_65
.LBB131_24:
	s_or_b64 exec, exec, s[6:7]
	s_and_saveexec_b64 s[6:7], s[4:5]
	s_cbranch_execz .LBB131_26
.LBB131_25:
	v_add_u32_e32 v6, v5, v4
	v_mov_b32_e32 v7, 0
	s_waitcnt lgkmcnt(0)
	v_lshl_add_u64 v[6:7], v[6:7], 2, s[12:13]
	global_store_dword v[6:7], v45, off
.LBB131_26:
	s_or_b64 exec, exec, s[6:7]
	v_add3_u32 v5, v1, s11, 16
	v_cmp_gt_u32_e64 s[6:7], s8, v5
	s_and_b64 exec, exec, s[6:7]
	s_cbranch_execz .LBB131_62
; %bb.27:
	v_mul_lo_u32 v5, v5, s10
	s_and_saveexec_b64 s[6:7], vcc
	s_cbranch_execnz .LBB131_66
; %bb.28:
	s_or_b64 exec, exec, s[6:7]
	s_and_saveexec_b64 s[6:7], s[0:1]
	s_cbranch_execnz .LBB131_67
.LBB131_29:
	s_or_b64 exec, exec, s[6:7]
	s_and_saveexec_b64 s[6:7], s[2:3]
	s_cbranch_execnz .LBB131_68
.LBB131_30:
	s_or_b64 exec, exec, s[6:7]
	s_and_saveexec_b64 s[6:7], s[4:5]
	s_cbranch_execz .LBB131_32
.LBB131_31:
	v_add_u32_e32 v6, v5, v4
	v_mov_b32_e32 v7, 0
	s_waitcnt lgkmcnt(0)
	v_lshl_add_u64 v[6:7], v[6:7], 2, s[12:13]
	global_store_dword v[6:7], v32, off
.LBB131_32:
	s_or_b64 exec, exec, s[6:7]
	v_add3_u32 v5, v1, s11, 24
	v_cmp_gt_u32_e64 s[6:7], s8, v5
	s_and_b64 exec, exec, s[6:7]
	s_cbranch_execz .LBB131_62
; %bb.33:
	v_mul_lo_u32 v5, v5, s10
	s_and_saveexec_b64 s[6:7], vcc
	s_cbranch_execnz .LBB131_69
; %bb.34:
	s_or_b64 exec, exec, s[6:7]
	s_and_saveexec_b64 s[6:7], s[0:1]
	s_cbranch_execnz .LBB131_70
.LBB131_35:
	s_or_b64 exec, exec, s[6:7]
	s_and_saveexec_b64 s[6:7], s[2:3]
	s_cbranch_execnz .LBB131_71
.LBB131_36:
	s_or_b64 exec, exec, s[6:7]
	s_and_saveexec_b64 s[6:7], s[4:5]
	s_cbranch_execz .LBB131_38
.LBB131_37:
	v_add_u32_e32 v6, v5, v4
	v_mov_b32_e32 v7, 0
	s_waitcnt lgkmcnt(0)
	v_lshl_add_u64 v[6:7], v[6:7], 2, s[12:13]
	global_store_dword v[6:7], v33, off
.LBB131_38:
	s_or_b64 exec, exec, s[6:7]
	v_add3_u32 v5, v1, s11, 32
	v_cmp_gt_u32_e64 s[6:7], s8, v5
	s_and_b64 exec, exec, s[6:7]
	s_cbranch_execz .LBB131_62
; %bb.39:
	v_mul_lo_u32 v5, v5, s10
	s_and_saveexec_b64 s[6:7], vcc
	s_cbranch_execnz .LBB131_72
; %bb.40:
	s_or_b64 exec, exec, s[6:7]
	s_and_saveexec_b64 s[6:7], s[0:1]
	s_cbranch_execnz .LBB131_73
.LBB131_41:
	s_or_b64 exec, exec, s[6:7]
	s_and_saveexec_b64 s[6:7], s[2:3]
	s_cbranch_execnz .LBB131_74
.LBB131_42:
	s_or_b64 exec, exec, s[6:7]
	s_and_saveexec_b64 s[6:7], s[4:5]
	s_cbranch_execz .LBB131_44
.LBB131_43:
	v_add_u32_e32 v6, v5, v4
	v_mov_b32_e32 v7, 0
	s_waitcnt lgkmcnt(0)
	v_lshl_add_u64 v[6:7], v[6:7], 2, s[12:13]
	global_store_dword v[6:7], v24, off
.LBB131_44:
	s_or_b64 exec, exec, s[6:7]
	v_add3_u32 v5, v1, s11, 40
	v_cmp_gt_u32_e64 s[6:7], s8, v5
	s_and_b64 exec, exec, s[6:7]
	s_cbranch_execz .LBB131_62
; %bb.45:
	v_mul_lo_u32 v5, v5, s10
	s_and_saveexec_b64 s[6:7], vcc
	s_cbranch_execnz .LBB131_75
; %bb.46:
	s_or_b64 exec, exec, s[6:7]
	s_and_saveexec_b64 s[6:7], s[0:1]
	s_cbranch_execnz .LBB131_76
.LBB131_47:
	s_or_b64 exec, exec, s[6:7]
	s_and_saveexec_b64 s[6:7], s[2:3]
	s_cbranch_execnz .LBB131_77
.LBB131_48:
	s_or_b64 exec, exec, s[6:7]
	s_and_saveexec_b64 s[6:7], s[4:5]
	s_cbranch_execz .LBB131_50
.LBB131_49:
	v_add_u32_e32 v6, v5, v4
	v_mov_b32_e32 v7, 0
	s_waitcnt lgkmcnt(0)
	v_lshl_add_u64 v[6:7], v[6:7], 2, s[12:13]
	global_store_dword v[6:7], v25, off
.LBB131_50:
	s_or_b64 exec, exec, s[6:7]
	v_add3_u32 v5, v1, s11, 48
	v_cmp_gt_u32_e64 s[6:7], s8, v5
	s_and_b64 exec, exec, s[6:7]
	s_cbranch_execz .LBB131_62
; %bb.51:
	v_mul_lo_u32 v5, v5, s10
	s_and_saveexec_b64 s[6:7], vcc
	s_cbranch_execnz .LBB131_78
; %bb.52:
	s_or_b64 exec, exec, s[6:7]
	s_and_saveexec_b64 s[6:7], s[0:1]
	s_cbranch_execnz .LBB131_79
.LBB131_53:
	s_or_b64 exec, exec, s[6:7]
	s_and_saveexec_b64 s[6:7], s[2:3]
	s_cbranch_execnz .LBB131_80
.LBB131_54:
	s_or_b64 exec, exec, s[6:7]
	s_and_saveexec_b64 s[6:7], s[4:5]
	s_cbranch_execz .LBB131_56
.LBB131_55:
	v_add_u32_e32 v6, v5, v4
	v_mov_b32_e32 v7, 0
	s_waitcnt lgkmcnt(0)
	v_lshl_add_u64 v[6:7], v[6:7], 2, s[12:13]
	global_store_dword v[6:7], v16, off
.LBB131_56:
	s_or_b64 exec, exec, s[6:7]
	v_add3_u32 v1, v1, s11, 56
	v_cmp_gt_u32_e64 s[6:7], s8, v1
	s_and_b64 exec, exec, s[6:7]
	s_cbranch_execz .LBB131_62
; %bb.57:
	v_mul_lo_u32 v1, v1, s10
	s_and_saveexec_b64 s[6:7], vcc
	s_cbranch_execnz .LBB131_81
; %bb.58:
	s_or_b64 exec, exec, s[6:7]
	s_and_saveexec_b64 s[6:7], s[0:1]
	s_cbranch_execnz .LBB131_82
.LBB131_59:
	s_or_b64 exec, exec, s[6:7]
	s_and_saveexec_b64 s[0:1], s[2:3]
	s_cbranch_execnz .LBB131_83
.LBB131_60:
	s_or_b64 exec, exec, s[0:1]
	s_and_b64 exec, exec, s[4:5]
	s_cbranch_execz .LBB131_62
.LBB131_61:
	v_add_u32_e32 v0, v1, v4
	v_mov_b32_e32 v1, 0
	s_waitcnt lgkmcnt(0)
	v_lshl_add_u64 v[0:1], v[0:1], 2, s[12:13]
	global_store_dword v[0:1], v17, off
.LBB131_62:
	s_endpgm
.LBB131_63:
	v_add_u32_e32 v6, v5, v0
	v_mov_b32_e32 v7, 0
	s_waitcnt lgkmcnt(0)
	v_lshl_add_u64 v[6:7], v[6:7], 2, s[12:13]
	global_store_dword v[6:7], v51, off
	s_or_b64 exec, exec, s[6:7]
	s_and_saveexec_b64 s[6:7], s[0:1]
	s_cbranch_execz .LBB131_23
.LBB131_64:
	v_add_u32_e32 v6, v5, v2
	v_mov_b32_e32 v7, 0
	s_waitcnt lgkmcnt(0)
	v_lshl_add_u64 v[6:7], v[6:7], 2, s[12:13]
	global_store_dword v[6:7], v53, off
	s_or_b64 exec, exec, s[6:7]
	s_and_saveexec_b64 s[6:7], s[2:3]
	s_cbranch_execz .LBB131_24
.LBB131_65:
	v_add_u32_e32 v6, v5, v3
	v_mov_b32_e32 v7, 0
	s_waitcnt lgkmcnt(0)
	v_lshl_add_u64 v[6:7], v[6:7], 2, s[12:13]
	global_store_dword v[6:7], v49, off
	s_or_b64 exec, exec, s[6:7]
	s_and_saveexec_b64 s[6:7], s[4:5]
	s_cbranch_execnz .LBB131_25
	s_branch .LBB131_26
.LBB131_66:
	v_add_u32_e32 v6, v5, v0
	v_mov_b32_e32 v7, 0
	s_waitcnt lgkmcnt(0)
	v_lshl_add_u64 v[6:7], v[6:7], 2, s[12:13]
	global_store_dword v[6:7], v38, off
	s_or_b64 exec, exec, s[6:7]
	s_and_saveexec_b64 s[6:7], s[0:1]
	s_cbranch_execz .LBB131_29
.LBB131_67:
	v_add_u32_e32 v6, v5, v2
	v_mov_b32_e32 v7, 0
	s_waitcnt lgkmcnt(0)
	v_lshl_add_u64 v[6:7], v[6:7], 2, s[12:13]
	global_store_dword v[6:7], v36, off
	s_or_b64 exec, exec, s[6:7]
	s_and_saveexec_b64 s[6:7], s[2:3]
	s_cbranch_execz .LBB131_30
.LBB131_68:
	v_add_u32_e32 v6, v5, v3
	v_mov_b32_e32 v7, 0
	s_waitcnt lgkmcnt(0)
	v_lshl_add_u64 v[6:7], v[6:7], 2, s[12:13]
	global_store_dword v[6:7], v34, off
	s_or_b64 exec, exec, s[6:7]
	s_and_saveexec_b64 s[6:7], s[4:5]
	s_cbranch_execnz .LBB131_31
	s_branch .LBB131_32
.LBB131_69:
	v_add_u32_e32 v6, v5, v0
	v_mov_b32_e32 v7, 0
	s_waitcnt lgkmcnt(0)
	v_lshl_add_u64 v[6:7], v[6:7], 2, s[12:13]
	global_store_dword v[6:7], v39, off
	s_or_b64 exec, exec, s[6:7]
	s_and_saveexec_b64 s[6:7], s[0:1]
	s_cbranch_execz .LBB131_35
.LBB131_70:
	v_add_u32_e32 v6, v5, v2
	v_mov_b32_e32 v7, 0
	s_waitcnt lgkmcnt(0)
	v_lshl_add_u64 v[6:7], v[6:7], 2, s[12:13]
	global_store_dword v[6:7], v37, off
	s_or_b64 exec, exec, s[6:7]
	s_and_saveexec_b64 s[6:7], s[2:3]
	s_cbranch_execz .LBB131_36
.LBB131_71:
	v_add_u32_e32 v6, v5, v3
	v_mov_b32_e32 v7, 0
	s_waitcnt lgkmcnt(0)
	v_lshl_add_u64 v[6:7], v[6:7], 2, s[12:13]
	global_store_dword v[6:7], v35, off
	s_or_b64 exec, exec, s[6:7]
	s_and_saveexec_b64 s[6:7], s[4:5]
	s_cbranch_execnz .LBB131_37
	s_branch .LBB131_38
.LBB131_72:
	v_add_u32_e32 v6, v5, v0
	v_mov_b32_e32 v7, 0
	s_waitcnt lgkmcnt(0)
	v_lshl_add_u64 v[6:7], v[6:7], 2, s[12:13]
	global_store_dword v[6:7], v30, off
	s_or_b64 exec, exec, s[6:7]
	s_and_saveexec_b64 s[6:7], s[0:1]
	s_cbranch_execz .LBB131_41
.LBB131_73:
	v_add_u32_e32 v6, v5, v2
	v_mov_b32_e32 v7, 0
	s_waitcnt lgkmcnt(0)
	v_lshl_add_u64 v[6:7], v[6:7], 2, s[12:13]
	global_store_dword v[6:7], v28, off
	s_or_b64 exec, exec, s[6:7]
	s_and_saveexec_b64 s[6:7], s[2:3]
	s_cbranch_execz .LBB131_42
.LBB131_74:
	v_add_u32_e32 v6, v5, v3
	v_mov_b32_e32 v7, 0
	s_waitcnt lgkmcnt(0)
	v_lshl_add_u64 v[6:7], v[6:7], 2, s[12:13]
	global_store_dword v[6:7], v26, off
	s_or_b64 exec, exec, s[6:7]
	s_and_saveexec_b64 s[6:7], s[4:5]
	s_cbranch_execnz .LBB131_43
	s_branch .LBB131_44
.LBB131_75:
	v_add_u32_e32 v6, v5, v0
	v_mov_b32_e32 v7, 0
	s_waitcnt lgkmcnt(0)
	v_lshl_add_u64 v[6:7], v[6:7], 2, s[12:13]
	global_store_dword v[6:7], v31, off
	s_or_b64 exec, exec, s[6:7]
	s_and_saveexec_b64 s[6:7], s[0:1]
	s_cbranch_execz .LBB131_47
.LBB131_76:
	v_add_u32_e32 v6, v5, v2
	v_mov_b32_e32 v7, 0
	s_waitcnt lgkmcnt(0)
	v_lshl_add_u64 v[6:7], v[6:7], 2, s[12:13]
	global_store_dword v[6:7], v29, off
	s_or_b64 exec, exec, s[6:7]
	s_and_saveexec_b64 s[6:7], s[2:3]
	s_cbranch_execz .LBB131_48
.LBB131_77:
	v_add_u32_e32 v6, v5, v3
	v_mov_b32_e32 v7, 0
	s_waitcnt lgkmcnt(0)
	v_lshl_add_u64 v[6:7], v[6:7], 2, s[12:13]
	global_store_dword v[6:7], v27, off
	s_or_b64 exec, exec, s[6:7]
	s_and_saveexec_b64 s[6:7], s[4:5]
	s_cbranch_execnz .LBB131_49
	s_branch .LBB131_50
.LBB131_78:
	v_add_u32_e32 v6, v5, v0
	v_mov_b32_e32 v7, 0
	s_waitcnt lgkmcnt(0)
	v_lshl_add_u64 v[6:7], v[6:7], 2, s[12:13]
	global_store_dword v[6:7], v22, off
	s_or_b64 exec, exec, s[6:7]
	s_and_saveexec_b64 s[6:7], s[0:1]
	s_cbranch_execz .LBB131_53
.LBB131_79:
	v_add_u32_e32 v6, v5, v2
	v_mov_b32_e32 v7, 0
	s_waitcnt lgkmcnt(0)
	v_lshl_add_u64 v[6:7], v[6:7], 2, s[12:13]
	global_store_dword v[6:7], v20, off
	s_or_b64 exec, exec, s[6:7]
	s_and_saveexec_b64 s[6:7], s[2:3]
	s_cbranch_execz .LBB131_54
.LBB131_80:
	v_add_u32_e32 v6, v5, v3
	v_mov_b32_e32 v7, 0
	s_waitcnt lgkmcnt(0)
	v_lshl_add_u64 v[6:7], v[6:7], 2, s[12:13]
	global_store_dword v[6:7], v18, off
	s_or_b64 exec, exec, s[6:7]
	s_and_saveexec_b64 s[6:7], s[4:5]
	s_cbranch_execnz .LBB131_55
	s_branch .LBB131_56
.LBB131_81:
	v_add_u32_e32 v6, v1, v0
	v_mov_b32_e32 v7, 0
	s_waitcnt lgkmcnt(0)
	v_lshl_add_u64 v[6:7], v[6:7], 2, s[12:13]
	global_store_dword v[6:7], v23, off
	s_or_b64 exec, exec, s[6:7]
	s_and_saveexec_b64 s[6:7], s[0:1]
	s_cbranch_execz .LBB131_59
.LBB131_82:
	v_add_u32_e32 v6, v1, v2
	v_mov_b32_e32 v7, 0
	s_waitcnt lgkmcnt(0)
	v_lshl_add_u64 v[6:7], v[6:7], 2, s[12:13]
	global_store_dword v[6:7], v21, off
	s_or_b64 exec, exec, s[6:7]
	s_and_saveexec_b64 s[0:1], s[2:3]
	s_cbranch_execz .LBB131_60
.LBB131_83:
	v_add_u32_e32 v2, v1, v3
	v_mov_b32_e32 v3, 0
	s_waitcnt lgkmcnt(0)
	v_lshl_add_u64 v[2:3], v[2:3], 2, s[12:13]
	global_store_dword v[2:3], v19, off
	s_or_b64 exec, exec, s[0:1]
	s_and_b64 exec, exec, s[4:5]
	s_cbranch_execnz .LBB131_61
	s_branch .LBB131_62
	.section	.rodata,"a",@progbits
	.p2align	6, 0x0
	.amdhsa_kernel _ZL12mul_mat_q4_KIfLb0EEvPKvS1_PT_iiiii
		.amdhsa_group_segment_fixed_size 28752
		.amdhsa_private_segment_fixed_size 0
		.amdhsa_kernarg_size 44
		.amdhsa_user_sgpr_count 2
		.amdhsa_user_sgpr_dispatch_ptr 0
		.amdhsa_user_sgpr_queue_ptr 0
		.amdhsa_user_sgpr_kernarg_segment_ptr 1
		.amdhsa_user_sgpr_dispatch_id 0
		.amdhsa_user_sgpr_kernarg_preload_length 0
		.amdhsa_user_sgpr_kernarg_preload_offset 0
		.amdhsa_user_sgpr_private_segment_size 0
		.amdhsa_uses_dynamic_stack 0
		.amdhsa_enable_private_segment 0
		.amdhsa_system_sgpr_workgroup_id_x 1
		.amdhsa_system_sgpr_workgroup_id_y 1
		.amdhsa_system_sgpr_workgroup_id_z 0
		.amdhsa_system_sgpr_workgroup_info 0
		.amdhsa_system_vgpr_workitem_id 1
		.amdhsa_next_free_vgpr 256
		.amdhsa_next_free_sgpr 96
		.amdhsa_accum_offset 256
		.amdhsa_reserve_vcc 1
		.amdhsa_float_round_mode_32 0
		.amdhsa_float_round_mode_16_64 0
		.amdhsa_float_denorm_mode_32 3
		.amdhsa_float_denorm_mode_16_64 3
		.amdhsa_dx10_clamp 1
		.amdhsa_ieee_mode 1
		.amdhsa_fp16_overflow 0
		.amdhsa_tg_split 0
		.amdhsa_exception_fp_ieee_invalid_op 0
		.amdhsa_exception_fp_denorm_src 0
		.amdhsa_exception_fp_ieee_div_zero 0
		.amdhsa_exception_fp_ieee_overflow 0
		.amdhsa_exception_fp_ieee_underflow 0
		.amdhsa_exception_fp_ieee_inexact 0
		.amdhsa_exception_int_div_zero 0
	.end_amdhsa_kernel
	.section	.text._ZL12mul_mat_q4_KIfLb0EEvPKvS1_PT_iiiii,"axG",@progbits,_ZL12mul_mat_q4_KIfLb0EEvPKvS1_PT_iiiii,comdat
.Lfunc_end131:
	.size	_ZL12mul_mat_q4_KIfLb0EEvPKvS1_PT_iiiii, .Lfunc_end131-_ZL12mul_mat_q4_KIfLb0EEvPKvS1_PT_iiiii
                                        ; -- End function
	.set _ZL12mul_mat_q4_KIfLb0EEvPKvS1_PT_iiiii.num_vgpr, 256
	.set _ZL12mul_mat_q4_KIfLb0EEvPKvS1_PT_iiiii.num_agpr, 0
	.set _ZL12mul_mat_q4_KIfLb0EEvPKvS1_PT_iiiii.numbered_sgpr, 20
	.set _ZL12mul_mat_q4_KIfLb0EEvPKvS1_PT_iiiii.num_named_barrier, 0
	.set _ZL12mul_mat_q4_KIfLb0EEvPKvS1_PT_iiiii.private_seg_size, 0
	.set _ZL12mul_mat_q4_KIfLb0EEvPKvS1_PT_iiiii.uses_vcc, 1
	.set _ZL12mul_mat_q4_KIfLb0EEvPKvS1_PT_iiiii.uses_flat_scratch, 0
	.set _ZL12mul_mat_q4_KIfLb0EEvPKvS1_PT_iiiii.has_dyn_sized_stack, 0
	.set _ZL12mul_mat_q4_KIfLb0EEvPKvS1_PT_iiiii.has_recursion, 0
	.set _ZL12mul_mat_q4_KIfLb0EEvPKvS1_PT_iiiii.has_indirect_call, 0
	.section	.AMDGPU.csdata,"",@progbits
; Kernel info:
; codeLenInByte = 16552
; TotalNumSgprs: 26
; NumVgprs: 256
; NumAgprs: 0
; TotalNumVgprs: 256
; ScratchSize: 0
; MemoryBound: 0
; FloatMode: 240
; IeeeMode: 1
; LDSByteSize: 28752 bytes/workgroup (compile time only)
; SGPRBlocks: 12
; VGPRBlocks: 31
; NumSGPRsForWavesPerEU: 102
; NumVGPRsForWavesPerEU: 256
; AccumOffset: 256
; Occupancy: 2
; WaveLimiterHint : 0
; COMPUTE_PGM_RSRC2:SCRATCH_EN: 0
; COMPUTE_PGM_RSRC2:USER_SGPR: 2
; COMPUTE_PGM_RSRC2:TRAP_HANDLER: 0
; COMPUTE_PGM_RSRC2:TGID_X_EN: 1
; COMPUTE_PGM_RSRC2:TGID_Y_EN: 1
; COMPUTE_PGM_RSRC2:TGID_Z_EN: 0
; COMPUTE_PGM_RSRC2:TIDIG_COMP_CNT: 1
; COMPUTE_PGM_RSRC3_GFX90A:ACCUM_OFFSET: 63
; COMPUTE_PGM_RSRC3_GFX90A:TG_SPLIT: 0
	.section	.text._ZL12mul_mat_q4_KIfLb1EEvPKvS1_PT_iiiii,"axG",@progbits,_ZL12mul_mat_q4_KIfLb1EEvPKvS1_PT_iiiii,comdat
	.globl	_ZL12mul_mat_q4_KIfLb1EEvPKvS1_PT_iiiii ; -- Begin function _ZL12mul_mat_q4_KIfLb1EEvPKvS1_PT_iiiii
	.p2align	8
	.type	_ZL12mul_mat_q4_KIfLb1EEvPKvS1_PT_iiiii,@function
_ZL12mul_mat_q4_KIfLb1EEvPKvS1_PT_iiiii: ; @_ZL12mul_mat_q4_KIfLb1EEvPKvS1_PT_iiiii
; %bb.0:
	s_load_dwordx4 s[8:11], s[0:1], 0x18
	s_load_dword s14, s[0:1], 0x28
	s_lshl_b32 s15, s3, 6
	v_bfe_u32 v63, v0, 10, 10
	s_waitcnt lgkmcnt(0)
	s_cmpk_gt_i32 s8, 0xff
	s_cbranch_scc1 .LBB132_2
; %bb.1:
	v_bfe_u32 v1, v0, 10, 10
	v_and_b32_e32 v37, 0x3ff, v0
	v_add_u32_e32 v2, s15, v1
	s_mov_b64 s[4:5], 0
	s_branch .LBB132_3
.LBB132_2:
	s_mov_b64 s[4:5], -1
                                        ; implicit-def: $vgpr1
                                        ; implicit-def: $vgpr37
                                        ; implicit-def: $vgpr2
.LBB132_3:
	s_load_dwordx2 s[12:13], s[0:1], 0x10
	s_lshl_b32 s6, s2, 7
	v_mov_b32_e32 v17, 0
	s_andn2_b64 vcc, exec, s[4:5]
	v_mov_b32_e32 v16, 0
	v_mov_b32_e32 v25, 0
	v_mov_b32_e32 v24, 0
	v_mov_b32_e32 v33, 0
	v_mov_b32_e32 v32, 0
	v_mov_b32_e32 v73, 0
	v_mov_b32_e32 v72, 0
	v_mov_b32_e32 v19, 0
	v_mov_b32_e32 v18, 0
	v_mov_b32_e32 v27, 0
	v_mov_b32_e32 v26, 0
	v_mov_b32_e32 v35, 0
	v_mov_b32_e32 v34, 0
	v_mov_b32_e32 v77, 0
	v_mov_b32_e32 v76, 0
	v_mov_b32_e32 v21, 0
	v_mov_b32_e32 v20, 0
	v_mov_b32_e32 v29, 0
	v_mov_b32_e32 v28, 0
	v_mov_b32_e32 v41, 0
	v_mov_b32_e32 v40, 0
	v_mov_b32_e32 v79, 0
	v_mov_b32_e32 v78, 0
	v_mov_b32_e32 v23, 0
	v_mov_b32_e32 v22, 0
	v_mov_b32_e32 v31, 0
	v_mov_b32_e32 v30, 0
	v_mov_b32_e32 v49, 0
	v_mov_b32_e32 v48, 0
	v_mov_b32_e32 v75, 0
	v_mov_b32_e32 v74, 0
	s_cbranch_vccnz .LBB132_11
; %bb.4:
	s_ashr_i32 s4, s8, 31
	s_load_dwordx4 s[0:3], s[0:1], 0x0
	s_lshr_b32 s4, s4, 24
	s_add_i32 s4, s8, s4
	s_ashr_i32 s5, s11, 31
	s_ashr_i32 s4, s4, 8
	s_lshr_b32 s5, s5, 27
	s_add_i32 s5, s11, s5
	s_mul_i32 s7, s4, s6
	s_ashr_i32 s11, s5, 5
	s_mul_hi_i32 s8, s7, 0x90
	s_mulk_i32 s7, 0x90
	s_waitcnt lgkmcnt(0)
	s_add_u32 s7, s0, s7
	s_addc_u32 s8, s1, s8
	s_not_b32 s0, s6
	s_add_i32 s17, s9, s0
	v_and_b32_e32 v37, 0x3ff, v0
	v_lshlrev_b32_e32 v2, 2, v37
	v_min_i32_e32 v1, s17, v63
	s_movk_i32 s16, 0x84
                                        ; kill: def $vgpr3 killed $sgpr0 killed $exec
	v_mad_u64_u32 v[4:5], s[0:1], v1, s16, v[2:3]
	scratch_store_dwordx2 off, v[4:5], off  ; 8-byte Folded Spill
	v_add_u32_e32 v5, 8, v63
	v_min_i32_e32 v10, s17, v5
	v_add_u32_e32 v11, 16, v63
	v_mad_u64_u32 v[6:7], s[0:1], v10, s16, v[2:3]
	v_min_i32_e32 v12, s17, v11
	v_add_u32_e32 v13, 24, v63
	scratch_store_dwordx2 off, v[6:7], off offset:8 ; 8-byte Folded Spill
	v_mad_u64_u32 v[6:7], s[0:1], v12, s16, v[2:3]
	v_min_i32_e32 v14, s17, v13
	v_add_u32_e32 v15, 32, v63
	scratch_store_dwordx2 off, v[6:7], off offset:16 ; 8-byte Folded Spill
	;; [unrolled: 4-line block ×3, first 2 shown]
	v_mad_u64_u32 v[6:7], s[0:1], v16, s16, v[2:3]
	v_min_i32_e32 v18, s17, v17
	v_add_u32_e32 v19, 48, v63
	v_add_u32_e32 v21, 56, v63
	scratch_store_dwordx2 off, v[6:7], off offset:32 ; 8-byte Folded Spill
	v_mad_u64_u32 v[6:7], s[0:1], v18, s16, v[2:3]
	v_min_i32_e32 v20, s17, v19
	v_min_i32_e32 v22, s17, v21
	scratch_store_dwordx2 off, v[6:7], off offset:40 ; 8-byte Folded Spill
	v_mad_u64_u32 v[6:7], s[0:1], v20, s16, v[2:3]
	v_mad_u64_u32 v[58:59], s[0:1], v22, s16, v[2:3]
	v_add_u32_e32 v3, 64, v63
	v_min_i32_e32 v23, s17, v3
	scratch_store_dwordx2 off, v[6:7], off offset:48 ; 8-byte Folded Spill
	v_mad_u64_u32 v[6:7], s[0:1], v23, s16, v[2:3]
	v_add_u32_e32 v3, 0x48, v63
	v_min_i32_e32 v24, s17, v3
	scratch_store_dwordx2 off, v[6:7], off offset:56 ; 8-byte Folded Spill
	v_mad_u64_u32 v[6:7], s[0:1], v24, s16, v[2:3]
	v_add_u32_e32 v3, 0x50, v63
	v_min_i32_e32 v25, s17, v3
	v_mad_u64_u32 v[64:65], s[0:1], v25, s16, v[2:3]
	v_add_u32_e32 v3, 0x58, v63
	v_min_i32_e32 v26, s17, v3
	;; [unrolled: 3-line block ×5, first 2 shown]
	v_add_u32_e32 v3, 0x78, v63
	v_lshlrev_b32_e32 v45, 5, v63
	v_min_i32_e32 v30, s17, v3
	v_add_u32_e32 v3, v45, v37
	v_and_b32_e32 v3, 0x7f, v3
	v_min_i32_e32 v31, s17, v3
	v_ashrrev_i32_e32 v3, 31, v31
	v_lshrrev_b32_e32 v3, 27, v3
	v_add_u32_e32 v3, v31, v3
	v_ashrrev_i32_e32 v3, 5, v3
	v_lshlrev_b32_e32 v3, 2, v3
	v_lshlrev_b32_e32 v4, 2, v31
	s_movk_i32 s18, 0x6e40
	v_add3_u32 v54, v3, v4, s18
	v_and_b32_e32 v4, 3, v0
	scratch_store_dwordx2 off, v[6:7], off offset:64 ; 8-byte Folded Spill
	v_add_u32_e32 v6, 0xfe, v4
	v_bfe_u32 v3, v0, 2, 8
	v_and_b32_e32 v6, 0xff, v6
	v_cmp_gt_u32_e32 vcc, 2, v4
	v_lshl_add_u32 v3, v63, 3, v3
	v_lshlrev_b32_e32 v8, 2, v4
	v_cndmask_b32_e32 v32, v6, v4, vcc
	v_and_b32_e32 v6, 4, v2
	v_cmp_lt_u32_e32 vcc, 1, v4
	s_movk_i32 s0, 0x6200
	v_and_b32_e32 v9, 31, v0
	v_cndmask_b32_e32 v51, 0, v6, vcc
	v_and_b32_e32 v6, 0x7f, v3
	v_min_i32_e32 v33, s17, v6
	v_ashrrev_i32_e32 v6, 31, v33
	v_lshrrev_b32_e32 v6, 29, v6
	v_add_u32_e32 v6, v33, v6
	v_ashrrev_i32_e32 v6, 3, v6
	v_lshlrev_b32_e32 v6, 2, v6
	v_add3_u32 v34, v6, v8, s0
	v_mov_b32_e32 v6, 0x7f
	v_bitop3_b32 v6, v3, 64, v6 bitop3:0x6c
	v_min_i32_e32 v40, s17, v6
	v_ashrrev_i32_e32 v6, 31, v40
	v_lshrrev_b32_e32 v6, 29, v6
	v_add_u32_e32 v6, v40, v6
	v_ashrrev_i32_e32 v6, 3, v6
	v_lshlrev_b32_e32 v6, 2, v6
	v_mov_b32_e32 v43, 0x4200
	v_and_b32_e32 v3, 63, v3
	v_add3_u32 v41, v6, v8, s0
	s_add_i32 s0, s10, -1
	v_lshl_or_b32 v43, v9, 2, v43
	v_or_b32_e32 v9, s15, v3
	v_add_u32_e32 v50, s15, v63
	v_min_i32_e32 v9, s0, v9
	v_cvt_f64_i32_e32 v[6:7], s0
	v_mad_u64_u32 v[80:81], s[0:1], v9, s11, v[4:5]
	v_lshl_or_b32 v44, v3, 4, v8
	v_cvt_f64_u32_e32 v[8:9], v50
	v_min_f64 v[8:9], v[8:9], v[6:7]
	v_add_u32_e32 v3, 8, v50
	v_cvt_i32_f64_e32 v46, v[8:9]
	v_cvt_f64_u32_e32 v[8:9], v3
	v_min_f64 v[8:9], v[8:9], v[6:7]
	v_add_u32_e32 v3, 16, v50
	v_cvt_i32_f64_e32 v47, v[8:9]
	;; [unrolled: 4-line block ×7, first 2 shown]
	v_cvt_f64_u32_e32 v[8:9], v3
	v_min_f64 v[6:7], v[8:9], v[6:7]
	v_bfe_u32 v36, v0, 5, 5
	v_cvt_i32_f64_e32 v6, v[6:7]
	v_add_u32_e32 v7, 32, v37
	v_lshlrev_b32_e32 v3, 2, v36
	v_lshrrev_b32_e32 v55, 3, v7
	v_add_u32_e32 v8, 64, v37
	v_lshlrev_b32_e32 v35, 4, v33
	v_add3_u32 v53, v3, v2, s18
	v_and_b32_e32 v3, 60, v55
	v_lshrrev_b32_e32 v9, 3, v8
	v_add_u32_e32 v62, 0x60, v37
	scratch_store_dword off, v50, off offset:84 ; 4-byte Folded Spill
	v_add3_u32 v57, v2, v3, s18
	v_and_b32_e32 v3, 60, v9
	v_add_u32_e32 v50, v34, v35
	v_lshrrev_b32_e32 v34, 3, v62
	v_add3_u32 v59, v2, v3, s18
	v_and_b32_e32 v3, 60, v34
	v_mad_u64_u32 v[82:83], s[0:1], v29, s16, v[2:3]
	v_mad_u64_u32 v[84:85], s[0:1], v30, s16, v[2:3]
	v_bfe_u32 v71, v0, 3, 7
	v_lshlrev_b32_e32 v0, 7, v5
	v_mov_b32_e32 v39, 0
	v_lshlrev_b32_e32 v105, 5, v5
	v_lshlrev_b32_e32 v5, 7, v11
	;; [unrolled: 1-line block ×13, first 2 shown]
	v_mov_b32_e32 v21, 0x1080
	v_add_u32_e32 v127, v43, v0
	v_lshlrev_b32_e32 v0, 7, v63
	v_cmp_ne_u32_e64 s[0:1], 0, v4
	v_and_b32_e32 v38, 0x7c, v2
	v_add3_u32 v65, v2, v3, s18
	v_lshlrev_b32_e32 v67, 2, v2
	v_and_b32_e32 v2, 28, v2
	v_mov_b32_e32 v3, v39
	v_mad_u32_u24 v119, v37, s16, v21
	v_mov_b32_e32 v21, 0x2100
	v_add_u32_e32 v157, v43, v0
	v_add_u32_e32 v159, 0x4200, v0
	v_addc_co_u32_e64 v0, s[0:1], 0, v32, s[0:1]
	v_lshlrev_b32_e32 v42, 4, v40
	v_mul_lo_u32 v103, s11, v6
	v_lshlrev_b32_e32 v6, 2, v7
	v_lshlrev_b32_e32 v7, 2, v8
	;; [unrolled: 1-line block ×3, first 2 shown]
	v_mad_u32_u24 v121, v37, s16, v21
	v_mov_b32_e32 v21, 0x3180
	v_lshl_add_u64 v[86:87], s[2:3], 0, v[2:3]
	v_mov_b32_e32 v2, 0x6a40
	v_mov_b32_e32 v74, v39
	;; [unrolled: 1-line block ×3, first 2 shown]
	v_lshlrev_b32_e32 v88, 2, v0
	v_cndmask_b32_e64 v0, 0, 1, vcc
	s_movk_i32 s5, 0x90
	s_mov_b32 s9, 0
	v_add_u32_e32 v52, v41, v42
	v_add_u32_e32 v69, 0x6a40, v44
	v_mul_lo_u32 v81, s11, v46
	v_mul_lo_u32 v83, s11, v47
	;; [unrolled: 1-line block ×7, first 2 shown]
	v_mad_u32_u24 v123, v37, s16, v21
	v_lshl_add_u32 v56, v63, 4, v2
	v_add_u32_e32 v129, v43, v5
	v_add_u32_e32 v147, v43, v11
	;; [unrolled: 1-line block ×6, first 2 shown]
	v_lshlrev_b32_e32 v161, 2, v34
	v_lshlrev_b32_e32 v170, 2, v9
	;; [unrolled: 1-line block ×3, first 2 shown]
	v_mov_b32_e32 v89, v39
	v_lshlrev_b32_e32 v90, 2, v0
	v_mov_b32_e32 v91, v39
	s_mov_b32 s11, 0x30303030
	v_lshlrev_b32_e32 v172, 2, v6
	v_lshlrev_b32_e32 v173, 2, v7
	;; [unrolled: 1-line block ×3, first 2 shown]
	v_mul_lo_u32 v92, v1, s4
	v_mul_lo_u32 v94, v10, s4
	;; [unrolled: 1-line block ×19, first 2 shown]
	v_mad_u32_u24 v175, v37, s16, 64
	v_lshlrev_b32_e32 v176, 2, v55
	v_lshlrev_b32_e32 v177, 2, v71
	v_mov_b64_e32 v[48:49], v[74:75]
	v_mov_b64_e32 v[30:31], v[74:75]
	;; [unrolled: 1-line block ×15, first 2 shown]
	scratch_store_dword off, v63, off offset:80 ; 4-byte Folded Spill
	scratch_store_dwordx2 off, v[0:1], off offset:72 ; 8-byte Folded Spill
.LBB132_5:                              ; =>This Loop Header: Depth=1
                                        ;     Child Loop BB132_6 Depth 2
                                        ;     Child Loop BB132_8 Depth 2
	s_mul_i32 s0, s9, 0x90
	s_mul_hi_u32 s1, s9, 0x90
	s_add_u32 s0, s7, s0
	s_addc_u32 s1, s8, s1
	v_mov_b64_e32 v[0:1], s[0:1]
	v_mad_u64_u32 v[2:3], s[0:1], v36, s5, v[0:1]
	v_mad_i64_i32 v[4:5], s[0:1], v92, s5, v[2:3]
	v_mad_i64_i32 v[6:7], s[0:1], v94, s5, v[2:3]
	;; [unrolled: 1-line block ×8, first 2 shown]
	v_lshl_add_u64 v[4:5], v[4:5], 0, v[38:39]
	v_lshl_add_u64 v[6:7], v[6:7], 0, v[38:39]
	;; [unrolled: 1-line block ×8, first 2 shown]
	global_load_dword v44, v[4:5], off offset:16
	global_load_dword v46, v[6:7], off offset:16
	;; [unrolled: 1-line block ×7, first 2 shown]
	s_nop 0
	global_load_dword v60, v[60:61], off offset:16
	v_mad_i64_i32 v[4:5], s[0:1], v108, s5, v[2:3]
	v_mad_i64_i32 v[6:7], s[0:1], v110, s5, v[2:3]
	;; [unrolled: 1-line block ×8, first 2 shown]
	v_lshl_add_u64 v[4:5], v[4:5], 0, v[38:39]
	v_lshl_add_u64 v[42:43], v[42:43], 0, v[38:39]
	;; [unrolled: 1-line block ×8, first 2 shown]
	global_load_dword v61, v[4:5], off offset:16
	global_load_dword v125, v[6:7], off offset:16
	;; [unrolled: 1-line block ×6, first 2 shown]
	s_nop 0
	global_load_dword v42, v[42:43], off offset:16
	s_nop 0
	global_load_dword v43, v[2:3], off offset:16
	s_nop 0
	scratch_load_dwordx2 v[2:3], off, off offset:72 ; 8-byte Folded Reload
	v_mad_i64_i32 v[4:5], s[0:1], v126, s5, v[0:1]
	s_lshl_b32 s16, s9, 3
	v_lshl_add_u64 v[6:7], v[4:5], 0, v[88:89]
	v_lshl_add_u64 v[4:5], v[4:5], 0, v[90:91]
	v_add_u32_e32 v14, s16, v71
	v_add_u32_e32 v178, s16, v80
	;; [unrolled: 1-line block ×4, first 2 shown]
	v_mad_i64_i32 v[10:11], s[0:1], v10, 36, v[86:87]
	v_mad_i64_i32 v[12:13], s[0:1], v12, 36, v[86:87]
	s_mov_b32 s18, 0
	s_waitcnt vmcnt(0)
	v_mad_i64_i32 v[2:3], s[0:1], v2, s5, v[0:1]
	v_mad_i64_i32 v[0:1], s[0:1], v128, s5, v[0:1]
	v_lshl_add_u64 v[8:9], v[0:1], 0, v[88:89]
	v_lshl_add_u64 v[0:1], v[0:1], 0, v[90:91]
	global_load_dword v134, v[2:3], off
	global_load_dword v135, v[6:7], off offset:4
	global_load_dword v136, v[4:5], off offset:4
	;; [unrolled: 1-line block ×4, first 2 shown]
	v_add_u32_e32 v0, v14, v81
	v_add_u32_e32 v2, v14, v83
	;; [unrolled: 1-line block ×5, first 2 shown]
	v_mad_i64_i32 v[0:1], s[0:1], v0, 36, v[86:87]
	v_mad_i64_i32 v[2:3], s[0:1], v2, 36, v[86:87]
	;; [unrolled: 1-line block ×5, first 2 shown]
	v_add_u32_e32 v14, v14, v103
	v_mad_i64_i32 v[14:15], s[0:1], v14, 36, v[86:87]
	global_load_dword v139, v[0:1], off offset:4
	s_nop 0
	global_load_dword v2, v[2:3], off offset:4
	s_nop 0
	;; [unrolled: 2-line block ×3, first 2 shown]
	global_load_dword v4, v[6:7], off offset:4
	global_load_dword v5, v[8:9], off offset:4
	s_nop 0
	global_load_dword v6, v[10:11], off offset:4
	global_load_dword v7, v[12:13], off offset:4
	;; [unrolled: 1-line block ×3, first 2 shown]
	v_mad_u64_u32 v[0:1], s[0:1], v178, 36, s[2:3]
	global_load_dword v0, v[0:1], off
	s_nop 0
	scratch_load_dwordx2 v[10:11], off, off ; 8-byte Folded Reload
	s_mov_b64 s[0:1], -1
	s_waitcnt vmcnt(13)
	v_ashrrev_i32_e32 v1, v51, v135
	v_and_b32_e32 v1, 0xf0f0f0f, v1
	s_waitcnt vmcnt(12)
	v_ashrrev_i32_e32 v9, v171, v136
	v_and_or_b32 v1, v9, s11, v1
	s_waitcnt vmcnt(10)
	v_ashrrev_i32_e32 v9, v171, v138
	s_waitcnt vmcnt(0)
	ds_write_b32 v10, v44
	scratch_load_dwordx2 v[10:11], off, off offset:8 ; 8-byte Folded Reload
	s_waitcnt vmcnt(0)
	ds_write_b32 v10, v46
	scratch_load_dwordx2 v[10:11], off, off offset:16 ; 8-byte Folded Reload
	s_waitcnt vmcnt(0)
	ds_write_b32 v10, v47
	scratch_load_dwordx2 v[10:11], off, off offset:24 ; 8-byte Folded Reload
	s_waitcnt vmcnt(0)
	ds_write_b32 v10, v62
	scratch_load_dwordx2 v[10:11], off, off offset:32 ; 8-byte Folded Reload
	s_waitcnt vmcnt(0)
	ds_write_b32 v10, v63
	scratch_load_dwordx2 v[10:11], off, off offset:40 ; 8-byte Folded Reload
	s_waitcnt vmcnt(0)
	ds_write_b32 v10, v93
	scratch_load_dwordx2 v[10:11], off, off offset:48 ; 8-byte Folded Reload
	s_waitcnt vmcnt(0)
	ds_write_b32 v10, v124
	ds_write_b32 v58, v60
	scratch_load_dwordx2 v[10:11], off, off offset:56 ; 8-byte Folded Reload
	s_waitcnt vmcnt(0)
	ds_write_b32 v10, v61
	scratch_load_dwordx2 v[10:11], off, off offset:64 ; 8-byte Folded Reload
	s_waitcnt vmcnt(0)
	ds_write_b32 v10, v125
	ds_write_b32 v64, v130
	;; [unrolled: 1-line block ×9, first 2 shown]
	v_ashrrev_i32_e32 v1, v51, v137
	v_and_b32_e32 v1, 0xf0f0f0f, v1
	v_and_or_b32 v1, v9, s11, v1
	ds_write_b32 v52, v1
	ds_write_b32 v157, v139
	;; [unrolled: 1-line block ×10, first 2 shown]
	s_waitcnt lgkmcnt(0)
	s_barrier
	ds_read_b32 v0, v53
	ds_read_b32 v1, v57 offset:128
	ds_read_b32 v2, v59 offset:256
	;; [unrolled: 1-line block ×3, first 2 shown]
	s_waitcnt lgkmcnt(3)
	v_cvt_f32_f16_e32 v130, v0
	v_cvt_f32_f16_sdwa v132, v0 dst_sel:DWORD dst_unused:UNUSED_PAD src0_sel:WORD_1
	s_waitcnt lgkmcnt(2)
	v_cvt_f32_f16_e32 v134, v1
	v_cvt_f32_f16_sdwa v136, v1 dst_sel:DWORD dst_unused:UNUSED_PAD src0_sel:WORD_1
	;; [unrolled: 3-line block ×4, first 2 shown]
	v_mov_b32_e32 v131, v130
	v_mov_b32_e32 v133, v132
	;; [unrolled: 1-line block ×8, first 2 shown]
.LBB132_6:                              ;   Parent Loop BB132_5 Depth=1
                                        ; =>  This Inner Loop Header: Depth=2
	s_lshl_b32 s17, s18, 1
	s_lshr_b32 s19, s18, 2
	v_or_b32_e32 v0, s17, v45
	s_lshl_b32 s18, s18, 2
	v_mul_u32_u24_e32 v42, 0x84, v37
	v_lshlrev_b32_e32 v1, 2, v0
	v_add_u32_e32 v46, s18, v42
	v_lshrrev_b32_e32 v162, 1, v0
	ds_read_b128 v[12:15], v1 offset:16896
	ds_read_b128 v[8:11], v1 offset:16912
	;; [unrolled: 1-line block ×4, first 2 shown]
	ds_read2_b32 v[42:43], v46 offset1:1
	ds_read2_b32 v[60:61], v46 offset0:2 offset1:3
	ds_read2_b32 v[62:63], v46 offset0:4 offset1:5
	;; [unrolled: 1-line block ×3, first 2 shown]
	s_addk_i32 s19, 0x6200
	s_waitcnt lgkmcnt(3)
	v_and_b32_e32 v191, 0xf0f0f0f, v42
	v_lshrrev_b32_e32 v42, 4, v42
	v_and_b32_e32 v193, 0xf0f0f0f, v42
	v_lshrrev_b32_e32 v42, 4, v43
	v_add3_u32 v44, s19, v177, v67
	v_and_b32_e32 v211, 0xf0f0f0f, v42
	s_waitcnt lgkmcnt(2)
	v_lshrrev_b32_e32 v42, 4, v60
	ds_read_u16 v46, v44
	ds_read_u16 v44, v44 offset:8
	v_and_b32_e32 v212, 0xf0f0f0f, v42
	v_lshrrev_b32_e32 v42, 4, v61
	v_and_b32_e32 v213, 0xf0f0f0f, v42
	s_waitcnt lgkmcnt(3)
	v_lshrrev_b32_e32 v42, 4, v62
	v_and_b32_e32 v214, 0xf0f0f0f, v42
	v_lshrrev_b32_e32 v42, 4, v63
	v_and_b32_e32 v215, 0xf0f0f0f, v42
	s_waitcnt lgkmcnt(2)
	v_lshrrev_b32_e32 v42, 4, v164
	s_waitcnt lgkmcnt(1)
	v_and_b32_e32 v190, 0xff, v46
	v_and_b32_e32 v216, 0xf0f0f0f, v42
	v_lshrrev_b32_e32 v42, 4, v165
	v_lshrrev_b16_e32 v210, 8, v46
	v_add_u32_e32 v46, s18, v119
	v_and_b32_e32 v194, 0xf0f0f0f, v43
	v_and_b32_e32 v217, 0xf0f0f0f, v42
	ds_read2_b32 v[42:43], v46 offset1:1
	v_and_b32_e32 v195, 0xf0f0f0f, v60
	v_and_b32_e32 v196, 0xf0f0f0f, v61
	ds_read2_b32 v[60:61], v46 offset0:2 offset1:3
	v_and_b32_e32 v197, 0xf0f0f0f, v62
	v_and_b32_e32 v198, 0xf0f0f0f, v63
	ds_read2_b32 v[62:63], v46 offset0:4 offset1:5
	;; [unrolled: 3-line block ×3, first 2 shown]
	s_waitcnt lgkmcnt(3)
	v_and_b32_e32 v189, 0xf0f0f0f, v42
	v_lshrrev_b32_e32 v42, 4, v42
	v_and_b32_e32 v202, 0xf0f0f0f, v42
	v_lshrrev_b32_e32 v42, 4, v43
	v_and_b32_e32 v219, 0xf0f0f0f, v42
	s_waitcnt lgkmcnt(2)
	v_lshrrev_b32_e32 v42, 4, v60
	v_cvt_f32_ubyte0_e32 v150, v44
	v_cvt_f32_ubyte1_e32 v154, v44
	v_add3_u32 v44, s19, v176, v172
	v_and_b32_e32 v220, 0xf0f0f0f, v42
	v_lshrrev_b32_e32 v42, 4, v61
	ds_read_u16 v46, v44
	ds_read_u16 v44, v44 offset:8
	v_and_b32_e32 v221, 0xf0f0f0f, v42
	s_waitcnt lgkmcnt(3)
	v_lshrrev_b32_e32 v42, 4, v62
	v_and_b32_e32 v222, 0xf0f0f0f, v42
	v_lshrrev_b32_e32 v42, 4, v63
	v_and_b32_e32 v224, 0xf0f0f0f, v42
	s_waitcnt lgkmcnt(2)
	v_lshrrev_b32_e32 v42, 4, v164
	v_and_b32_e32 v225, 0xf0f0f0f, v42
	v_lshrrev_b32_e32 v42, 4, v165
	v_and_b32_e32 v203, 0xf0f0f0f, v43
	v_and_b32_e32 v226, 0xf0f0f0f, v42
	v_add3_u32 v42, s19, v170, v173
	v_add_u32_e32 v43, s18, v121
	v_and_b32_e32 v204, 0xf0f0f0f, v60
	v_and_b32_e32 v205, 0xf0f0f0f, v61
	;; [unrolled: 1-line block ×6, first 2 shown]
	s_waitcnt lgkmcnt(0)
	v_cvt_f32_ubyte0_e32 v152, v44
	v_cvt_f32_ubyte1_e32 v156, v44
	ds_read2_b32 v[60:61], v43 offset1:1
	ds_read2_b32 v[62:63], v43 offset0:2 offset1:3
	ds_read2_b32 v[164:165], v43 offset0:4 offset1:5
	;; [unrolled: 1-line block ×3, first 2 shown]
	ds_read_u16 v44, v42
	ds_read_u16 v42, v42 offset:8
	v_and_b32_e32 v201, 0xff, v46
	v_lshrrev_b16_e32 v223, 8, v46
	s_waitcnt lgkmcnt(5)
	v_and_b32_e32 v192, 0xf0f0f0f, v60
	s_waitcnt lgkmcnt(1)
	v_and_b32_e32 v227, 0xff, v44
	v_lshrrev_b16_e32 v240, 8, v44
	v_add_u32_e32 v44, s18, v123
	v_and_b32_e32 v229, 0xf0f0f0f, v61
	v_lshrrev_b32_e32 v43, 4, v60
	v_lshrrev_b32_e32 v46, 4, v61
	ds_read2_b32 v[60:61], v44 offset1:1
	v_mov_b32_e32 v251, 0
	v_mov_b32_e32 v252, 0
	;; [unrolled: 1-line block ×4, first 2 shown]
	s_waitcnt lgkmcnt(0)
	v_and_b32_e32 v218, 0xf0f0f0f, v60
	v_dot4c_i32_i8_e32 v251, v191, v12
	v_dot4c_i32_i8_e32 v252, v189, v12
	;; [unrolled: 1-line block ×4, first 2 shown]
	v_and_b32_e32 v244, 0xf0f0f0f, v61
	v_dot4c_i32_i8_e32 v251, v194, v13
	v_dot4c_i32_i8_e32 v252, v203, v13
	;; [unrolled: 1-line block ×4, first 2 shown]
	ds_read2_b32 v[12:13], v44 offset0:2 offset1:3
	v_and_b32_e32 v230, 0xf0f0f0f, v62
	v_dot4c_i32_i8_e32 v251, v195, v14
	v_dot4c_i32_i8_e32 v252, v204, v14
	;; [unrolled: 1-line block ×3, first 2 shown]
	s_waitcnt lgkmcnt(0)
	v_and_b32_e32 v245, 0xf0f0f0f, v12
	v_and_b32_e32 v231, 0xf0f0f0f, v63
	v_dot4c_i32_i8_e32 v93, v245, v14
	v_and_b32_e32 v246, 0xf0f0f0f, v13
	v_dot4c_i32_i8_e32 v251, v196, v15
	v_dot4c_i32_i8_e32 v252, v205, v15
	;; [unrolled: 1-line block ×4, first 2 shown]
	ds_read2_b32 v[14:15], v44 offset0:4 offset1:5
	v_and_b32_e32 v232, 0xf0f0f0f, v164
	v_dot4c_i32_i8_e32 v251, v197, v8
	v_dot4c_i32_i8_e32 v252, v206, v8
	;; [unrolled: 1-line block ×3, first 2 shown]
	s_waitcnt lgkmcnt(0)
	v_and_b32_e32 v247, 0xf0f0f0f, v14
	v_and_b32_e32 v233, 0xf0f0f0f, v165
	v_dot4c_i32_i8_e32 v93, v247, v8
	v_and_b32_e32 v248, 0xf0f0f0f, v15
	v_dot4c_i32_i8_e32 v251, v198, v9
	v_dot4c_i32_i8_e32 v252, v207, v9
	;; [unrolled: 1-line block ×4, first 2 shown]
	ds_read2_b32 v[8:9], v44 offset0:6 offset1:7
	v_and_b32_e32 v234, 0xf0f0f0f, v166
	v_dot4c_i32_i8_e32 v251, v199, v10
	v_dot4c_i32_i8_e32 v252, v208, v10
	;; [unrolled: 1-line block ×3, first 2 shown]
	s_waitcnt lgkmcnt(0)
	v_and_b32_e32 v249, 0xf0f0f0f, v8
	v_and_b32_e32 v235, 0xf0f0f0f, v167
	v_cvt_f32_ubyte0_e32 v158, v42
	v_cvt_f32_ubyte1_e32 v160, v42
	v_add3_u32 v42, s19, v161, v174
	v_dot4c_i32_i8_e32 v93, v249, v10
	v_and_b32_e32 v250, 0xf0f0f0f, v9
	v_dot4c_i32_i8_e32 v251, v200, v11
	v_dot4c_i32_i8_e32 v252, v209, v11
	;; [unrolled: 1-line block ×4, first 2 shown]
	ds_read_u16 v10, v42
	ds_read_u16 v11, v42 offset:8
	v_lshrrev_b32_e32 v42, 4, v60
	v_mov_b32_e32 v253, 0
	v_mov_b32_e32 v254, 0
	v_and_b32_e32 v228, 0xf0f0f0f, v43
	v_mov_b32_e32 v43, 0
	v_and_b32_e32 v187, 0xf0f0f0f, v42
	v_mov_b32_e32 v42, 0
	v_dot4c_i32_i8_e32 v253, v193, v4
	v_dot4c_i32_i8_e32 v254, v202, v4
	;; [unrolled: 1-line block ×4, first 2 shown]
	v_lshrrev_b32_e32 v4, 4, v61
	v_and_b32_e32 v236, 0xf0f0f0f, v46
	v_lshrrev_b32_e32 v46, 4, v62
	v_and_b32_e32 v188, 0xf0f0f0f, v4
	v_lshrrev_b32_e32 v4, 4, v12
	v_dot4c_i32_i8_e32 v253, v211, v5
	v_dot4c_i32_i8_e32 v254, v219, v5
	;; [unrolled: 1-line block ×3, first 2 shown]
	v_and_b32_e32 v237, 0xf0f0f0f, v46
	v_lshrrev_b32_e32 v46, 4, v63
	v_dot4c_i32_i8_e32 v42, v188, v5
	v_and_b32_e32 v186, 0xf0f0f0f, v4
	v_lshrrev_b32_e32 v4, 4, v13
	v_dot4c_i32_i8_e32 v253, v212, v6
	v_dot4c_i32_i8_e32 v254, v220, v6
	v_dot4c_i32_i8_e32 v43, v237, v6
	v_and_b32_e32 v238, 0xf0f0f0f, v46
	v_lshrrev_b32_e32 v46, 4, v164
	v_dot4c_i32_i8_e32 v42, v186, v6
	v_and_b32_e32 v181, 0xf0f0f0f, v4
	v_lshrrev_b32_e32 v4, 4, v14
	v_dot4c_i32_i8_e32 v253, v213, v7
	v_dot4c_i32_i8_e32 v254, v221, v7
	;; [unrolled: 1-line block ×3, first 2 shown]
	v_and_b32_e32 v239, 0xf0f0f0f, v46
	v_dot4c_i32_i8_e32 v42, v181, v7
	v_and_b32_e32 v182, 0xf0f0f0f, v4
	v_dot4c_i32_i8_e32 v253, v214, v0
	v_dot4c_i32_i8_e32 v254, v222, v0
	;; [unrolled: 1-line block ×4, first 2 shown]
	v_lshrrev_b32_e32 v0, 4, v15
	v_lshrrev_b32_e32 v46, 4, v165
	v_and_b32_e32 v183, 0xf0f0f0f, v0
	v_lshrrev_b32_e32 v0, 4, v8
	v_and_b32_e32 v241, 0xf0f0f0f, v46
	;; [unrolled: 2-line block ×3, first 2 shown]
	v_lshrrev_b32_e32 v0, 4, v9
	v_dot4c_i32_i8_e32 v253, v215, v1
	v_dot4c_i32_i8_e32 v254, v224, v1
	;; [unrolled: 1-line block ×3, first 2 shown]
	v_and_b32_e32 v242, 0xf0f0f0f, v46
	v_lshrrev_b32_e32 v46, 4, v167
	v_dot4c_i32_i8_e32 v42, v183, v1
	v_and_b32_e32 v185, 0xf0f0f0f, v0
	v_or_b32_e32 v0, s17, v105
	v_dot4c_i32_i8_e32 v253, v216, v2
	v_dot4c_i32_i8_e32 v254, v225, v2
	;; [unrolled: 1-line block ×3, first 2 shown]
	v_and_b32_e32 v243, 0xf0f0f0f, v46
	v_dot4c_i32_i8_e32 v42, v184, v2
	v_lshlrev_b32_e32 v1, 2, v0
	v_dot4c_i32_i8_e32 v253, v217, v3
	v_dot4c_i32_i8_e32 v254, v226, v3
	;; [unrolled: 1-line block ×3, first 2 shown]
	s_waitcnt lgkmcnt(1)
	v_and_b32_e32 v180, 0xff, v10
	s_waitcnt lgkmcnt(0)
	v_cvt_f32_ubyte0_e32 v148, v11
	v_dot4c_i32_i8_e32 v42, v185, v3
	v_lshrrev_b16_e32 v179, 8, v10
	v_cvt_f32_ubyte1_e32 v146, v11
	v_lshrrev_b32_e32 v44, 1, v0
	ds_read_b128 v[12:15], v1 offset:16896
	ds_read_b128 v[8:11], v1 offset:16912
	;; [unrolled: 1-line block ×4, first 2 shown]
	v_mov_b32_e32 v46, 0
	s_waitcnt lgkmcnt(3)
	v_dot4c_i32_i8_e32 v46, v191, v12
	v_mov_b32_e32 v47, 0
	v_dot4c_i32_i8_e32 v46, v194, v13
	s_waitcnt lgkmcnt(1)
	v_dot4c_i32_i8_e32 v47, v193, v4
	v_dot4c_i32_i8_e32 v46, v195, v14
	;; [unrolled: 1-line block ×7, first 2 shown]
	ds_read_b64 v[60:61], v162 offset:27200
	ds_read_b64 v[62:63], v44 offset:27200
	v_dot4c_i32_i8_e32 v46, v198, v9
	s_waitcnt lgkmcnt(2)
	v_dot4c_i32_i8_e32 v47, v214, v0
	v_dot4c_i32_i8_e32 v46, v199, v10
	;; [unrolled: 1-line block ×6, first 2 shown]
	v_mul_lo_u32 v44, v251, v190
	v_mul_lo_u32 v46, v46, v190
	s_waitcnt lgkmcnt(0)
	v_cvt_f32_f16_e32 v167, v62
	v_cvt_f32_f16_e32 v166, v60
	v_cvt_f32_f16_sdwa v169, v62 dst_sel:DWORD dst_unused:UNUSED_PAD src0_sel:WORD_1
	v_cvt_f32_f16_sdwa v168, v60 dst_sel:DWORD dst_unused:UNUSED_PAD src0_sel:WORD_1
	v_cvt_f32_f16_e32 v162, v61
	v_cvt_f32_f16_sdwa v164, v61 dst_sel:DWORD dst_unused:UNUSED_PAD src0_sel:WORD_1
	v_cvt_f32_i32_e32 v61, v46
	v_cvt_f32_i32_e32 v60, v44
	v_mul_lo_u32 v44, v253, v210
	v_mul_lo_u32 v46, v47, v210
	v_cvt_f32_f16_e32 v163, v63
	v_cvt_f32_f16_sdwa v165, v63 dst_sel:DWORD dst_unused:UNUSED_PAD src0_sel:WORD_1
	v_cvt_f32_i32_e32 v47, v46
	v_cvt_f32_i32_e32 v46, v44
	v_pk_fma_f32 v[60:61], v[166:167], v[60:61], 0 op_sel_hi:[1,1,0]
	v_pk_fma_f32 v[62:63], v[150:151], v[168:169], 0 op_sel_hi:[0,1,0]
	v_mov_b32_e32 v44, 0
	v_pk_fma_f32 v[46:47], v[162:163], v[46:47], v[60:61]
	v_pk_fma_f32 v[60:61], v[154:155], v[164:165], v[62:63] op_sel_hi:[0,1,1]
	v_dot4c_i32_i8_e32 v44, v189, v12
	v_mov_b32_e32 v62, 0
	v_dot4c_i32_i8_e32 v44, v203, v13
	v_dot4c_i32_i8_e32 v62, v202, v4
	;; [unrolled: 1-line block ×10, first 2 shown]
	v_pk_mul_f32 v[60:61], v[60:61], v[132:133]
	v_dot4c_i32_i8_e32 v44, v208, v10
	v_dot4c_i32_i8_e32 v62, v224, v1
	v_pk_fma_f32 v[46:47], v[46:47], v[130:131], v[60:61] neg_lo:[0,0,1] neg_hi:[0,0,1]
	v_dot4c_i32_i8_e32 v44, v209, v11
	v_dot4c_i32_i8_e32 v62, v225, v2
	v_pk_add_f32 v[74:75], v[74:75], v[46:47]
	v_dot4c_i32_i8_e32 v62, v226, v3
	v_mul_lo_u32 v46, v252, v201
	v_mul_lo_u32 v44, v44, v201
	v_cvt_f32_i32_e32 v47, v44
	v_cvt_f32_i32_e32 v46, v46
	v_mul_lo_u32 v44, v254, v223
	v_mul_lo_u32 v62, v62, v223
	v_cvt_f32_i32_e32 v63, v62
	v_cvt_f32_i32_e32 v62, v44
	v_pk_fma_f32 v[46:47], v[166:167], v[46:47], 0 op_sel_hi:[1,1,0]
	v_mov_b32_e32 v44, 0
	v_dot4c_i32_i8_e32 v44, v192, v12
	v_pk_fma_f32 v[46:47], v[162:163], v[62:63], v[46:47]
	v_mov_b32_e32 v62, 0
	v_dot4c_i32_i8_e32 v44, v229, v13
	v_dot4c_i32_i8_e32 v62, v228, v4
	;; [unrolled: 1-line block ×8, first 2 shown]
	v_pk_fma_f32 v[60:61], v[152:153], v[168:169], 0 op_sel_hi:[0,1,0]
	v_dot4c_i32_i8_e32 v44, v233, v9
	v_dot4c_i32_i8_e32 v62, v239, v0
	v_pk_fma_f32 v[60:61], v[156:157], v[164:165], v[60:61] op_sel_hi:[0,1,1]
	v_dot4c_i32_i8_e32 v44, v234, v10
	v_dot4c_i32_i8_e32 v62, v241, v1
	v_pk_mul_f32 v[60:61], v[60:61], v[136:137]
	v_dot4c_i32_i8_e32 v44, v235, v11
	v_dot4c_i32_i8_e32 v62, v242, v2
	v_pk_fma_f32 v[46:47], v[46:47], v[134:135], v[60:61] neg_lo:[0,0,1] neg_hi:[0,0,1]
	v_dot4c_i32_i8_e32 v62, v243, v3
	v_mul_lo_u32 v44, v44, v227
	v_mul_lo_u32 v43, v43, v240
	v_pk_add_f32 v[78:79], v[78:79], v[46:47]
	v_cvt_f32_i32_e32 v47, v44
	v_mul_lo_u32 v44, v62, v240
	v_cvt_f32_i32_e32 v62, v43
	v_mov_b32_e32 v43, 0
	v_dot4c_i32_i8_e32 v43, v218, v12
	v_dot4c_i32_i8_e32 v43, v244, v13
	;; [unrolled: 1-line block ×5, first 2 shown]
	v_mov_b32_e32 v8, 0
	v_dot4c_i32_i8_e32 v8, v187, v4
	v_dot4c_i32_i8_e32 v8, v188, v5
	;; [unrolled: 1-line block ×11, first 2 shown]
	v_mul_lo_u32 v0, v93, v180
	v_mul_lo_u32 v1, v43, v180
	v_cvt_f32_i32_e32 v1, v1
	v_cvt_f32_i32_e32 v0, v0
	v_mul_lo_u32 v4, v42, v179
	v_mul_lo_u32 v5, v8, v179
	v_cvt_f32_i32_e32 v5, v5
	v_cvt_f32_i32_e32 v4, v4
	v_pk_fma_f32 v[2:3], v[148:149], v[168:169], 0 op_sel_hi:[0,1,0]
	v_mul_lo_u32 v46, v255, v227
	v_pk_fma_f32 v[0:1], v[166:167], v[0:1], 0 op_sel_hi:[1,1,0]
	v_pk_fma_f32 v[2:3], v[146:147], v[164:165], v[2:3] op_sel_hi:[0,1,1]
	v_cvt_f32_i32_e32 v46, v46
	v_pk_fma_f32 v[0:1], v[162:163], v[4:5], v[0:1]
	v_pk_mul_f32 v[2:3], v[2:3], v[144:145]
	v_cvt_f32_i32_e32 v63, v44
	v_pk_fma_f32 v[0:1], v[0:1], v[142:143], v[2:3] neg_lo:[0,0,1] neg_hi:[0,0,1]
	v_pk_fma_f32 v[60:61], v[158:159], v[168:169], 0 op_sel_hi:[0,1,0]
	v_pk_add_f32 v[72:73], v[72:73], v[0:1]
	v_or_b32_e32 v0, s17, v107
	v_lshlrev_b32_e32 v1, 2, v0
	v_pk_fma_f32 v[46:47], v[166:167], v[46:47], 0 op_sel_hi:[1,1,0]
	v_pk_fma_f32 v[60:61], v[160:161], v[164:165], v[60:61] op_sel_hi:[0,1,1]
	v_lshrrev_b32_e32 v93, 1, v0
	ds_read_b128 v[12:15], v1 offset:16896
	ds_read_b128 v[8:11], v1 offset:16912
	;; [unrolled: 1-line block ×4, first 2 shown]
	v_pk_fma_f32 v[46:47], v[162:163], v[62:63], v[46:47]
	v_pk_mul_f32 v[60:61], v[60:61], v[140:141]
	v_mov_b32_e32 v124, 0
	v_pk_fma_f32 v[46:47], v[46:47], v[138:139], v[60:61] neg_lo:[0,0,1] neg_hi:[0,0,1]
	v_mov_b32_e32 v251, 0
	v_pk_add_f32 v[76:77], v[76:77], v[46:47]
	v_mov_b32_e32 v47, 0
	v_mov_b32_e32 v252, 0
	;; [unrolled: 1-line block ×6, first 2 shown]
	s_waitcnt lgkmcnt(3)
	v_dot4c_i32_i8_e32 v47, v191, v12
	s_waitcnt lgkmcnt(1)
	v_dot4c_i32_i8_e32 v124, v193, v4
	v_dot4c_i32_i8_e32 v251, v189, v12
	;; [unrolled: 1-line block ×32, first 2 shown]
	s_waitcnt lgkmcnt(0)
	v_dot4c_i32_i8_e32 v124, v214, v0
	v_dot4c_i32_i8_e32 v251, v206, v8
	;; [unrolled: 1-line block ×15, first 2 shown]
	v_or_b32_e32 v0, s17, v109
	v_dot4c_i32_i8_e32 v47, v199, v10
	v_dot4c_i32_i8_e32 v124, v216, v2
	;; [unrolled: 1-line block ×8, first 2 shown]
	v_lshlrev_b32_e32 v1, 2, v0
	v_dot4c_i32_i8_e32 v47, v200, v11
	v_dot4c_i32_i8_e32 v124, v217, v3
	;; [unrolled: 1-line block ×8, first 2 shown]
	v_lshrrev_b32_e32 v62, 1, v0
	ds_read_b128 v[12:15], v1 offset:16896
	ds_read_b128 v[8:11], v1 offset:16912
	;; [unrolled: 1-line block ×4, first 2 shown]
	v_mov_b32_e32 v125, 0
	s_waitcnt lgkmcnt(3)
	v_dot4c_i32_i8_e32 v125, v191, v12
	v_dot4c_i32_i8_e32 v125, v194, v13
	v_mov_b32_e32 v253, 0
	v_dot4c_i32_i8_e32 v125, v195, v14
	s_waitcnt lgkmcnt(1)
	v_dot4c_i32_i8_e32 v253, v193, v4
	v_dot4c_i32_i8_e32 v125, v196, v15
	;; [unrolled: 1-line block ×5, first 2 shown]
	ds_read_b64 v[60:61], v93 offset:27200
	ds_read_b64 v[62:63], v62 offset:27200
	v_dot4c_i32_i8_e32 v125, v198, v9
	v_dot4c_i32_i8_e32 v253, v213, v7
	;; [unrolled: 1-line block ×3, first 2 shown]
	s_waitcnt lgkmcnt(2)
	v_dot4c_i32_i8_e32 v253, v214, v0
	v_dot4c_i32_i8_e32 v125, v200, v11
	;; [unrolled: 1-line block ×4, first 2 shown]
	s_waitcnt lgkmcnt(1)
	v_cvt_f32_f16_e32 v166, v60
	v_cvt_f32_f16_sdwa v168, v60 dst_sel:DWORD dst_unused:UNUSED_PAD src0_sel:WORD_1
	v_mul_lo_u32 v47, v47, v190
	v_mul_lo_u32 v60, v125, v190
	v_dot4c_i32_i8_e32 v253, v217, v3
	v_cvt_f32_f16_e32 v162, v61
	v_cvt_f32_f16_sdwa v164, v61 dst_sel:DWORD dst_unused:UNUSED_PAD src0_sel:WORD_1
	v_cvt_f32_i32_e32 v61, v60
	v_cvt_f32_i32_e32 v60, v47
	v_mul_lo_u32 v47, v124, v210
	v_mul_lo_u32 v93, v253, v210
	v_cvt_f32_i32_e32 v254, v47
	v_mov_b32_e32 v47, 0
	v_cvt_f32_i32_e32 v255, v93
	v_dot4c_i32_i8_e32 v47, v189, v12
	v_mov_b32_e32 v93, 0
	s_waitcnt lgkmcnt(0)
	v_cvt_f32_f16_sdwa v169, v62 dst_sel:DWORD dst_unused:UNUSED_PAD src0_sel:WORD_1
	v_dot4c_i32_i8_e32 v47, v203, v13
	v_dot4c_i32_i8_e32 v93, v202, v4
	v_cvt_f32_f16_e32 v167, v62
	v_cvt_f32_f16_sdwa v165, v63 dst_sel:DWORD dst_unused:UNUSED_PAD src0_sel:WORD_1
	v_dot4c_i32_i8_e32 v47, v204, v14
	v_dot4c_i32_i8_e32 v93, v219, v5
	v_cvt_f32_f16_e32 v163, v63
	v_dot4c_i32_i8_e32 v47, v205, v15
	v_dot4c_i32_i8_e32 v93, v220, v6
	;; [unrolled: 1-line block ×4, first 2 shown]
	v_pk_fma_f32 v[62:63], v[150:151], v[168:169], 0 op_sel_hi:[0,1,0]
	v_dot4c_i32_i8_e32 v47, v207, v9
	v_dot4c_i32_i8_e32 v93, v222, v0
	v_pk_fma_f32 v[60:61], v[60:61], v[166:167], 0 op_sel_hi:[1,1,0]
	v_pk_fma_f32 v[62:63], v[154:155], v[164:165], v[62:63] op_sel_hi:[0,1,1]
	v_dot4c_i32_i8_e32 v47, v208, v10
	v_dot4c_i32_i8_e32 v93, v224, v1
	v_pk_fma_f32 v[60:61], v[254:255], v[162:163], v[60:61]
	v_pk_mul_f32 v[62:63], v[62:63], v[132:133]
	v_dot4c_i32_i8_e32 v47, v209, v11
	v_dot4c_i32_i8_e32 v93, v225, v2
	v_pk_fma_f32 v[60:61], v[60:61], v[130:131], v[62:63] neg_lo:[0,0,1] neg_hi:[0,0,1]
	v_dot4c_i32_i8_e32 v93, v226, v3
	v_mul_lo_u32 v47, v47, v201
	v_pk_add_f32 v[48:49], v[48:49], v[60:61]
	v_cvt_f32_i32_e32 v61, v47
	v_mul_lo_u32 v47, v252, v223
	v_mul_lo_u32 v93, v93, v223
	v_cvt_f32_i32_e32 v253, v93
	v_cvt_f32_i32_e32 v252, v47
	v_mov_b32_e32 v47, 0
	v_mov_b32_e32 v93, 0
	v_mul_lo_u32 v60, v251, v201
	v_dot4c_i32_i8_e32 v47, v192, v12
	v_dot4c_i32_i8_e32 v93, v228, v4
	v_cvt_f32_i32_e32 v60, v60
	v_dot4c_i32_i8_e32 v47, v229, v13
	v_dot4c_i32_i8_e32 v93, v236, v5
	;; [unrolled: 1-line block ×6, first 2 shown]
	v_pk_fma_f32 v[62:63], v[152:153], v[168:169], 0 op_sel_hi:[0,1,0]
	v_dot4c_i32_i8_e32 v47, v232, v8
	v_dot4c_i32_i8_e32 v93, v239, v0
	v_pk_fma_f32 v[60:61], v[60:61], v[166:167], 0 op_sel_hi:[1,1,0]
	v_pk_fma_f32 v[62:63], v[156:157], v[164:165], v[62:63] op_sel_hi:[0,1,1]
	v_dot4c_i32_i8_e32 v47, v233, v9
	v_dot4c_i32_i8_e32 v93, v241, v1
	v_pk_fma_f32 v[60:61], v[252:253], v[162:163], v[60:61]
	v_pk_mul_f32 v[62:63], v[62:63], v[136:137]
	v_dot4c_i32_i8_e32 v47, v234, v10
	v_dot4c_i32_i8_e32 v93, v242, v2
	v_pk_fma_f32 v[60:61], v[60:61], v[134:135], v[62:63] neg_lo:[0,0,1] neg_hi:[0,0,1]
	v_dot4c_i32_i8_e32 v47, v235, v11
	v_dot4c_i32_i8_e32 v93, v243, v3
	v_mul_lo_u32 v44, v44, v227
	v_pk_add_f32 v[40:41], v[40:41], v[60:61]
	v_mul_lo_u32 v47, v47, v227
	v_cvt_f32_i32_e32 v60, v44
	v_mul_lo_u32 v44, v46, v240
	v_mul_lo_u32 v46, v93, v240
	v_cvt_f32_i32_e32 v61, v47
	v_cvt_f32_i32_e32 v47, v46
	;; [unrolled: 1-line block ×3, first 2 shown]
	v_mov_b32_e32 v44, 0
	v_dot4c_i32_i8_e32 v44, v218, v12
	v_dot4c_i32_i8_e32 v44, v244, v13
	;; [unrolled: 1-line block ×5, first 2 shown]
	v_mov_b32_e32 v8, 0
	v_dot4c_i32_i8_e32 v8, v187, v4
	v_dot4c_i32_i8_e32 v8, v188, v5
	;; [unrolled: 1-line block ×11, first 2 shown]
	v_mul_lo_u32 v0, v42, v180
	v_mul_lo_u32 v1, v44, v180
	v_cvt_f32_i32_e32 v1, v1
	v_cvt_f32_i32_e32 v0, v0
	v_mul_lo_u32 v4, v43, v179
	v_mul_lo_u32 v5, v8, v179
	v_cvt_f32_i32_e32 v5, v5
	v_cvt_f32_i32_e32 v4, v4
	v_pk_fma_f32 v[2:3], v[148:149], v[168:169], 0 op_sel_hi:[0,1,0]
	v_pk_fma_f32 v[0:1], v[0:1], v[166:167], 0 op_sel_hi:[1,1,0]
	;; [unrolled: 1-line block ×3, first 2 shown]
	v_pk_fma_f32 v[0:1], v[4:5], v[162:163], v[0:1]
	v_pk_mul_f32 v[2:3], v[2:3], v[144:145]
	v_pk_fma_f32 v[60:61], v[60:61], v[166:167], 0 op_sel_hi:[1,1,0]
	v_pk_fma_f32 v[0:1], v[0:1], v[142:143], v[2:3] neg_lo:[0,0,1] neg_hi:[0,0,1]
	v_pk_fma_f32 v[62:63], v[158:159], v[168:169], 0 op_sel_hi:[0,1,0]
	v_pk_add_f32 v[32:33], v[32:33], v[0:1]
	v_or_b32_e32 v0, s17, v111
	v_lshlrev_b32_e32 v1, 2, v0
	v_pk_fma_f32 v[46:47], v[46:47], v[162:163], v[60:61]
	v_pk_fma_f32 v[60:61], v[160:161], v[164:165], v[62:63] op_sel_hi:[0,1,1]
	v_lshrrev_b32_e32 v43, 1, v0
	ds_read_b128 v[12:15], v1 offset:16896
	ds_read_b128 v[8:11], v1 offset:16912
	;; [unrolled: 1-line block ×4, first 2 shown]
	v_pk_mul_f32 v[60:61], v[60:61], v[140:141]
	v_mov_b32_e32 v252, 0
	v_pk_fma_f32 v[46:47], v[46:47], v[138:139], v[60:61] neg_lo:[0,0,1] neg_hi:[0,0,1]
	v_mov_b32_e32 v251, 0
	v_pk_add_f32 v[34:35], v[34:35], v[46:47]
	v_mov_b32_e32 v47, 0
	v_mov_b32_e32 v253, 0
	v_mov_b32_e32 v46, 0
	v_mov_b32_e32 v93, 0
	v_mov_b32_e32 v42, 0
	v_mov_b32_e32 v44, 0
	s_waitcnt lgkmcnt(3)
	v_dot4c_i32_i8_e32 v252, v191, v12
	s_waitcnt lgkmcnt(1)
	v_dot4c_i32_i8_e32 v47, v193, v4
	v_dot4c_i32_i8_e32 v251, v189, v12
	;; [unrolled: 1-line block ×32, first 2 shown]
	s_waitcnt lgkmcnt(0)
	v_dot4c_i32_i8_e32 v47, v214, v0
	v_dot4c_i32_i8_e32 v251, v206, v8
	;; [unrolled: 1-line block ×15, first 2 shown]
	v_or_b32_e32 v0, s17, v113
	v_dot4c_i32_i8_e32 v252, v199, v10
	v_dot4c_i32_i8_e32 v47, v216, v2
	;; [unrolled: 1-line block ×8, first 2 shown]
	v_lshlrev_b32_e32 v1, 2, v0
	v_dot4c_i32_i8_e32 v252, v200, v11
	v_dot4c_i32_i8_e32 v47, v217, v3
	;; [unrolled: 1-line block ×8, first 2 shown]
	v_lshrrev_b32_e32 v62, 1, v0
	ds_read_b128 v[12:15], v1 offset:16896
	ds_read_b128 v[8:11], v1 offset:16912
	;; [unrolled: 1-line block ×4, first 2 shown]
	v_mov_b32_e32 v124, 0
	s_waitcnt lgkmcnt(3)
	v_dot4c_i32_i8_e32 v124, v191, v12
	v_dot4c_i32_i8_e32 v124, v194, v13
	v_mov_b32_e32 v125, 0
	v_dot4c_i32_i8_e32 v124, v195, v14
	s_waitcnt lgkmcnt(1)
	v_dot4c_i32_i8_e32 v125, v193, v4
	v_dot4c_i32_i8_e32 v124, v196, v15
	;; [unrolled: 1-line block ×5, first 2 shown]
	ds_read_b64 v[60:61], v43 offset:27200
	ds_read_b64 v[62:63], v62 offset:27200
	v_dot4c_i32_i8_e32 v124, v198, v9
	v_dot4c_i32_i8_e32 v125, v213, v7
	;; [unrolled: 1-line block ×3, first 2 shown]
	s_waitcnt lgkmcnt(2)
	v_dot4c_i32_i8_e32 v125, v214, v0
	v_dot4c_i32_i8_e32 v124, v200, v11
	;; [unrolled: 1-line block ×4, first 2 shown]
	s_waitcnt lgkmcnt(1)
	v_cvt_f32_f16_e32 v166, v60
	v_cvt_f32_f16_sdwa v168, v60 dst_sel:DWORD dst_unused:UNUSED_PAD src0_sel:WORD_1
	v_mul_lo_u32 v43, v252, v190
	v_mul_lo_u32 v60, v124, v190
	v_dot4c_i32_i8_e32 v125, v217, v3
	v_cvt_f32_f16_e32 v162, v61
	v_cvt_f32_f16_sdwa v164, v61 dst_sel:DWORD dst_unused:UNUSED_PAD src0_sel:WORD_1
	v_cvt_f32_i32_e32 v61, v60
	v_cvt_f32_i32_e32 v60, v43
	v_mul_lo_u32 v43, v47, v210
	v_mul_lo_u32 v47, v125, v210
	v_cvt_f32_i32_e32 v254, v43
	v_mov_b32_e32 v43, 0
	s_waitcnt lgkmcnt(0)
	v_cvt_f32_f16_sdwa v169, v62 dst_sel:DWORD dst_unused:UNUSED_PAD src0_sel:WORD_1
	v_cvt_f32_i32_e32 v255, v47
	v_dot4c_i32_i8_e32 v43, v189, v12
	v_mov_b32_e32 v47, 0
	v_cvt_f32_f16_e32 v167, v62
	v_cvt_f32_f16_sdwa v165, v63 dst_sel:DWORD dst_unused:UNUSED_PAD src0_sel:WORD_1
	v_dot4c_i32_i8_e32 v43, v203, v13
	v_dot4c_i32_i8_e32 v47, v202, v4
	v_cvt_f32_f16_e32 v163, v63
	v_dot4c_i32_i8_e32 v43, v204, v14
	v_dot4c_i32_i8_e32 v47, v219, v5
	v_dot4c_i32_i8_e32 v43, v205, v15
	v_dot4c_i32_i8_e32 v47, v220, v6
	v_pk_fma_f32 v[62:63], v[150:151], v[168:169], 0 op_sel_hi:[0,1,0]
	v_dot4c_i32_i8_e32 v43, v206, v8
	v_dot4c_i32_i8_e32 v47, v221, v7
	v_pk_fma_f32 v[60:61], v[60:61], v[166:167], 0 op_sel_hi:[1,1,0]
	v_pk_fma_f32 v[62:63], v[154:155], v[164:165], v[62:63] op_sel_hi:[0,1,1]
	v_dot4c_i32_i8_e32 v43, v207, v9
	v_dot4c_i32_i8_e32 v47, v222, v0
	v_pk_fma_f32 v[60:61], v[254:255], v[162:163], v[60:61]
	v_pk_mul_f32 v[62:63], v[62:63], v[132:133]
	v_dot4c_i32_i8_e32 v43, v208, v10
	v_dot4c_i32_i8_e32 v47, v224, v1
	v_pk_fma_f32 v[60:61], v[60:61], v[130:131], v[62:63] neg_lo:[0,0,1] neg_hi:[0,0,1]
	v_dot4c_i32_i8_e32 v43, v209, v11
	v_dot4c_i32_i8_e32 v47, v225, v2
	v_pk_add_f32 v[30:31], v[30:31], v[60:61]
	v_dot4c_i32_i8_e32 v47, v226, v3
	v_mul_lo_u32 v60, v251, v201
	v_mul_lo_u32 v43, v43, v201
	v_cvt_f32_i32_e32 v61, v43
	v_cvt_f32_i32_e32 v60, v60
	v_mul_lo_u32 v43, v253, v223
	v_mul_lo_u32 v47, v47, v223
	v_cvt_f32_i32_e32 v253, v47
	v_cvt_f32_i32_e32 v252, v43
	v_pk_fma_f32 v[62:63], v[152:153], v[168:169], 0 op_sel_hi:[0,1,0]
	v_pk_fma_f32 v[60:61], v[60:61], v[166:167], 0 op_sel_hi:[1,1,0]
	;; [unrolled: 1-line block ×3, first 2 shown]
	v_pk_fma_f32 v[60:61], v[252:253], v[162:163], v[60:61]
	v_pk_mul_f32 v[62:63], v[62:63], v[136:137]
	v_mov_b32_e32 v43, 0
	v_pk_fma_f32 v[60:61], v[60:61], v[134:135], v[62:63] neg_lo:[0,0,1] neg_hi:[0,0,1]
	v_dot4c_i32_i8_e32 v43, v192, v12
	v_mov_b32_e32 v62, 0
	v_dot4c_i32_i8_e32 v43, v229, v13
	v_dot4c_i32_i8_e32 v62, v228, v4
	;; [unrolled: 1-line block ×15, first 2 shown]
	v_mul_lo_u32 v46, v46, v227
	v_mul_lo_u32 v43, v43, v227
	v_cvt_f32_i32_e32 v47, v43
	v_mul_lo_u32 v43, v93, v240
	v_mul_lo_u32 v62, v62, v240
	v_cvt_f32_i32_e32 v63, v62
	v_cvt_f32_i32_e32 v62, v43
	v_mov_b32_e32 v43, 0
	v_dot4c_i32_i8_e32 v43, v218, v12
	v_dot4c_i32_i8_e32 v43, v244, v13
	;; [unrolled: 1-line block ×5, first 2 shown]
	v_mov_b32_e32 v8, 0
	v_dot4c_i32_i8_e32 v8, v187, v4
	v_dot4c_i32_i8_e32 v8, v188, v5
	;; [unrolled: 1-line block ×11, first 2 shown]
	v_mul_lo_u32 v0, v42, v180
	v_mul_lo_u32 v1, v43, v180
	v_cvt_f32_i32_e32 v1, v1
	v_cvt_f32_i32_e32 v0, v0
	v_mul_lo_u32 v4, v44, v179
	v_mul_lo_u32 v5, v8, v179
	v_cvt_f32_i32_e32 v5, v5
	v_cvt_f32_i32_e32 v4, v4
	v_pk_fma_f32 v[2:3], v[148:149], v[168:169], 0 op_sel_hi:[0,1,0]
	v_pk_fma_f32 v[0:1], v[0:1], v[166:167], 0 op_sel_hi:[1,1,0]
	;; [unrolled: 1-line block ×3, first 2 shown]
	v_cvt_f32_i32_e32 v46, v46
	v_pk_fma_f32 v[0:1], v[4:5], v[162:163], v[0:1]
	v_pk_mul_f32 v[2:3], v[2:3], v[144:145]
	v_pk_add_f32 v[28:29], v[28:29], v[60:61]
	v_pk_fma_f32 v[0:1], v[0:1], v[142:143], v[2:3] neg_lo:[0,0,1] neg_hi:[0,0,1]
	v_pk_fma_f32 v[60:61], v[158:159], v[168:169], 0 op_sel_hi:[0,1,0]
	v_pk_add_f32 v[24:25], v[24:25], v[0:1]
	v_or_b32_e32 v0, s17, v115
	v_lshlrev_b32_e32 v1, 2, v0
	v_pk_fma_f32 v[46:47], v[46:47], v[166:167], 0 op_sel_hi:[1,1,0]
	v_pk_fma_f32 v[60:61], v[160:161], v[164:165], v[60:61] op_sel_hi:[0,1,1]
	v_lshrrev_b32_e32 v44, 1, v0
	ds_read_b128 v[12:15], v1 offset:16896
	ds_read_b128 v[8:11], v1 offset:16912
	;; [unrolled: 1-line block ×4, first 2 shown]
	v_pk_fma_f32 v[46:47], v[62:63], v[162:163], v[46:47]
	v_pk_mul_f32 v[60:61], v[60:61], v[140:141]
	v_mov_b32_e32 v124, 0
	v_pk_fma_f32 v[46:47], v[46:47], v[138:139], v[60:61] neg_lo:[0,0,1] neg_hi:[0,0,1]
	v_mov_b32_e32 v93, 0
	v_pk_add_f32 v[26:27], v[26:27], v[46:47]
	v_mov_b32_e32 v47, 0
	v_mov_b32_e32 v46, 0
	;; [unrolled: 1-line block ×6, first 2 shown]
	s_waitcnt lgkmcnt(3)
	v_dot4c_i32_i8_e32 v47, v191, v12
	s_waitcnt lgkmcnt(1)
	v_dot4c_i32_i8_e32 v124, v193, v4
	v_dot4c_i32_i8_e32 v46, v189, v12
	;; [unrolled: 1-line block ×32, first 2 shown]
	s_waitcnt lgkmcnt(0)
	v_dot4c_i32_i8_e32 v124, v214, v0
	v_dot4c_i32_i8_e32 v46, v206, v8
	;; [unrolled: 1-line block ×15, first 2 shown]
	v_or_b32_e32 v0, s17, v117
	v_dot4c_i32_i8_e32 v47, v199, v10
	v_dot4c_i32_i8_e32 v124, v216, v2
	;; [unrolled: 1-line block ×8, first 2 shown]
	v_lshlrev_b32_e32 v1, 2, v0
	v_dot4c_i32_i8_e32 v47, v200, v11
	v_dot4c_i32_i8_e32 v124, v217, v3
	;; [unrolled: 1-line block ×8, first 2 shown]
	v_lshrrev_b32_e32 v62, 1, v0
	ds_read_b128 v[12:15], v1 offset:16896
	ds_read_b128 v[8:11], v1 offset:16912
	;; [unrolled: 1-line block ×4, first 2 shown]
	v_mov_b32_e32 v125, 0
	s_waitcnt lgkmcnt(3)
	v_dot4c_i32_i8_e32 v125, v191, v12
	v_mov_b32_e32 v191, 0
	v_dot4c_i32_i8_e32 v125, v194, v13
	s_waitcnt lgkmcnt(1)
	v_dot4c_i32_i8_e32 v191, v193, v4
	v_dot4c_i32_i8_e32 v125, v195, v14
	;; [unrolled: 1-line block ×5, first 2 shown]
	ds_read_b64 v[60:61], v44 offset:27200
	ds_read_b64 v[62:63], v62 offset:27200
	v_dot4c_i32_i8_e32 v125, v197, v8
	v_dot4c_i32_i8_e32 v191, v213, v7
	;; [unrolled: 1-line block ×3, first 2 shown]
	s_waitcnt lgkmcnt(2)
	v_dot4c_i32_i8_e32 v191, v214, v0
	v_dot4c_i32_i8_e32 v125, v199, v10
	;; [unrolled: 1-line block ×6, first 2 shown]
	s_waitcnt lgkmcnt(0)
	v_cvt_f32_f16_sdwa v167, v62 dst_sel:DWORD dst_unused:UNUSED_PAD src0_sel:WORD_1
	v_cvt_f32_f16_sdwa v166, v60 dst_sel:DWORD dst_unused:UNUSED_PAD src0_sel:WORD_1
	v_mul_lo_u32 v44, v47, v190
	v_mul_lo_u32 v47, v125, v190
	v_cvt_f32_f16_e32 v169, v62
	v_cvt_f32_f16_e32 v168, v60
	;; [unrolled: 1-line block ×3, first 2 shown]
	v_cvt_f32_f16_sdwa v163, v63 dst_sel:DWORD dst_unused:UNUSED_PAD src0_sel:WORD_1
	v_cvt_f32_f16_sdwa v162, v61 dst_sel:DWORD dst_unused:UNUSED_PAD src0_sel:WORD_1
	v_cvt_f32_i32_e32 v61, v47
	v_cvt_f32_i32_e32 v60, v44
	v_mul_lo_u32 v44, v124, v210
	v_mul_lo_u32 v47, v191, v210
	v_cvt_f32_f16_e32 v165, v63
	v_cvt_f32_i32_e32 v191, v47
	v_cvt_f32_i32_e32 v190, v44
	v_pk_fma_f32 v[62:63], v[150:151], v[166:167], 0 op_sel_hi:[0,1,0]
	v_pk_fma_f32 v[60:61], v[60:61], v[168:169], 0 op_sel_hi:[1,1,0]
	v_pk_fma_f32 v[62:63], v[154:155], v[162:163], v[62:63] op_sel_hi:[0,1,1]
	v_pk_fma_f32 v[60:61], v[190:191], v[164:165], v[60:61]
	v_pk_mul_f32 v[62:63], v[62:63], v[132:133]
	v_mov_b32_e32 v44, 0
	v_pk_fma_f32 v[60:61], v[60:61], v[130:131], v[62:63] neg_lo:[0,0,1] neg_hi:[0,0,1]
	v_dot4c_i32_i8_e32 v44, v189, v12
	v_mov_b32_e32 v62, 0
	v_dot4c_i32_i8_e32 v44, v203, v13
	v_dot4c_i32_i8_e32 v62, v202, v4
	;; [unrolled: 1-line block ×15, first 2 shown]
	v_mul_lo_u32 v46, v46, v201
	v_mul_lo_u32 v44, v44, v201
	v_cvt_f32_i32_e32 v47, v44
	v_cvt_f32_i32_e32 v46, v46
	v_mul_lo_u32 v44, v93, v223
	v_mul_lo_u32 v62, v62, v223
	v_cvt_f32_i32_e32 v63, v62
	v_cvt_f32_i32_e32 v62, v44
	v_mov_b32_e32 v44, 0
	v_mov_b32_e32 v150, 0
	v_dot4c_i32_i8_e32 v44, v192, v12
	v_dot4c_i32_i8_e32 v150, v218, v12
	;; [unrolled: 1-line block ×4, first 2 shown]
	v_pk_fma_f32 v[46:47], v[46:47], v[168:169], 0 op_sel_hi:[1,1,0]
	v_dot4c_i32_i8_e32 v44, v230, v14
	v_dot4c_i32_i8_e32 v150, v245, v14
	v_pk_fma_f32 v[46:47], v[62:63], v[164:165], v[46:47]
	v_dot4c_i32_i8_e32 v44, v231, v15
	v_mov_b32_e32 v62, 0
	v_dot4c_i32_i8_e32 v150, v246, v15
	v_dot4c_i32_i8_e32 v44, v232, v8
	;; [unrolled: 1-line block ×4, first 2 shown]
	v_mov_b32_e32 v8, 0
	v_dot4c_i32_i8_e32 v62, v236, v5
	v_dot4c_i32_i8_e32 v8, v187, v4
	;; [unrolled: 1-line block ×6, first 2 shown]
	v_pk_add_f32 v[22:23], v[22:23], v[60:61]
	v_pk_fma_f32 v[60:61], v[152:153], v[166:167], 0 op_sel_hi:[0,1,0]
	v_dot4c_i32_i8_e32 v44, v233, v9
	v_dot4c_i32_i8_e32 v62, v239, v0
	;; [unrolled: 1-line block ×3, first 2 shown]
	v_pk_fma_f32 v[60:61], v[156:157], v[162:163], v[60:61] op_sel_hi:[0,1,1]
	v_dot4c_i32_i8_e32 v44, v234, v10
	v_dot4c_i32_i8_e32 v62, v241, v1
	;; [unrolled: 1-line block ×4, first 2 shown]
	v_pk_mul_f32 v[60:61], v[60:61], v[136:137]
	v_dot4c_i32_i8_e32 v44, v235, v11
	v_dot4c_i32_i8_e32 v62, v242, v2
	;; [unrolled: 1-line block ×4, first 2 shown]
	v_pk_fma_f32 v[46:47], v[46:47], v[134:135], v[60:61] neg_lo:[0,0,1] neg_hi:[0,0,1]
	v_dot4c_i32_i8_e32 v62, v243, v3
	v_mul_lo_u32 v42, v42, v227
	v_mul_lo_u32 v44, v44, v227
	v_dot4c_i32_i8_e32 v150, v250, v11
	v_dot4c_i32_i8_e32 v8, v184, v2
	v_pk_add_f32 v[20:21], v[20:21], v[46:47]
	v_cvt_f32_i32_e32 v47, v44
	v_cvt_f32_i32_e32 v46, v42
	v_mul_lo_u32 v42, v43, v240
	v_mul_lo_u32 v43, v62, v240
	v_dot4c_i32_i8_e32 v8, v185, v3
	v_mul_lo_u32 v0, v252, v180
	v_mul_lo_u32 v1, v150, v180
	v_cvt_f32_i32_e32 v43, v43
	v_cvt_f32_i32_e32 v42, v42
	;; [unrolled: 1-line block ×4, first 2 shown]
	v_mul_lo_u32 v4, v251, v179
	v_mul_lo_u32 v5, v8, v179
	v_cvt_f32_i32_e32 v5, v5
	v_cvt_f32_i32_e32 v4, v4
	v_pk_fma_f32 v[46:47], v[46:47], v[168:169], 0 op_sel_hi:[1,1,0]
	v_pk_fma_f32 v[60:61], v[158:159], v[166:167], 0 op_sel_hi:[0,1,0]
	;; [unrolled: 1-line block ×3, first 2 shown]
	v_pk_fma_f32 v[42:43], v[42:43], v[164:165], v[46:47]
	v_pk_fma_f32 v[46:47], v[160:161], v[162:163], v[60:61] op_sel_hi:[0,1,1]
	v_pk_fma_f32 v[0:1], v[0:1], v[168:169], 0 op_sel_hi:[1,1,0]
	;; [unrolled: 1-line block ×3, first 2 shown]
	v_pk_mul_f32 v[46:47], v[46:47], v[140:141]
	v_pk_fma_f32 v[0:1], v[4:5], v[164:165], v[0:1]
	v_pk_mul_f32 v[2:3], v[2:3], v[144:145]
	v_pk_fma_f32 v[42:43], v[42:43], v[138:139], v[46:47] neg_lo:[0,0,1] neg_hi:[0,0,1]
	v_pk_fma_f32 v[0:1], v[0:1], v[142:143], v[2:3] neg_lo:[0,0,1] neg_hi:[0,0,1]
	v_pk_add_f32 v[18:19], v[18:19], v[42:43]
	v_pk_add_f32 v[16:17], v[16:17], v[0:1]
	s_mov_b32 s18, 8
	s_and_b64 vcc, exec, s[0:1]
	s_mov_b64 s[0:1], 0
	s_cbranch_vccnz .LBB132_6
; %bb.7:                                ;   in Loop: Header=BB132_5 Depth=1
	v_add_u32_e32 v14, s16, v55
	v_add_u32_e32 v0, v14, v81
	;; [unrolled: 1-line block ×6, first 2 shown]
	v_mad_i64_i32 v[0:1], s[0:1], v0, 36, v[86:87]
	v_mad_i64_i32 v[2:3], s[0:1], v2, 36, v[86:87]
	;; [unrolled: 1-line block ×4, first 2 shown]
	v_add_u32_e32 v8, v14, v97
	v_add_u32_e32 v10, v14, v99
	;; [unrolled: 1-line block ×4, first 2 shown]
	v_mad_u64_u32 v[42:43], s[0:1], v42, 36, s[2:3]
	s_barrier
	v_mad_i64_i32 v[8:9], s[0:1], v8, 36, v[86:87]
	v_mad_i64_i32 v[10:11], s[0:1], v10, 36, v[86:87]
	;; [unrolled: 1-line block ×4, first 2 shown]
	global_load_dword v42, v[42:43], off
	s_nop 0
	global_load_dword v0, v[0:1], off offset:4
	s_nop 0
	global_load_dword v1, v[2:3], off offset:4
	;; [unrolled: 2-line block ×3, first 2 shown]
	global_load_dword v3, v[6:7], off offset:4
	s_nop 0
	global_load_dword v4, v[8:9], off offset:4
	global_load_dword v5, v[10:11], off offset:4
	;; [unrolled: 1-line block ×4, first 2 shown]
	s_mov_b32 s0, 16
	s_mov_b32 s1, 0
	v_mov_b32_e32 v178, v159
	v_mov_b32_e32 v179, v56
	;; [unrolled: 1-line block ×3, first 2 shown]
	s_mov_b32 s16, 0
	s_waitcnt vmcnt(8)
	ds_write_b32 v69, v42
	s_waitcnt vmcnt(7)
	ds_write_b32 v157, v0
	;; [unrolled: 2-line block ×9, first 2 shown]
	s_waitcnt lgkmcnt(0)
	s_barrier
	ds_read_b32 v0, v53
	ds_read_b32 v1, v57 offset:128
	ds_read_b32 v2, v59 offset:256
	;; [unrolled: 1-line block ×3, first 2 shown]
	s_waitcnt lgkmcnt(2)
	v_cvt_f32_f16_e32 v134, v1
	v_cvt_f32_f16_e32 v130, v0
	v_cvt_f32_f16_sdwa v132, v0 dst_sel:DWORD dst_unused:UNUSED_PAD src0_sel:WORD_1
	v_cvt_f32_f16_sdwa v136, v1 dst_sel:DWORD dst_unused:UNUSED_PAD src0_sel:WORD_1
	s_waitcnt lgkmcnt(1)
	v_cvt_f32_f16_e32 v138, v2
	v_cvt_f32_f16_sdwa v140, v2 dst_sel:DWORD dst_unused:UNUSED_PAD src0_sel:WORD_1
	s_waitcnt lgkmcnt(0)
	v_cvt_f32_f16_e32 v142, v3
	v_cvt_f32_f16_sdwa v144, v3 dst_sel:DWORD dst_unused:UNUSED_PAD src0_sel:WORD_1
	v_mov_b32_e32 v131, v130
	v_mov_b32_e32 v133, v132
	;; [unrolled: 1-line block ×8, first 2 shown]
.LBB132_8:                              ;   Parent Loop BB132_5 Depth=1
                                        ; =>  This Inner Loop Header: Depth=2
	ds_read_b128 v[12:15], v178
	ds_read_b128 v[8:11], v178 offset:16
	ds_read_b128 v[4:7], v178 offset:32
	;; [unrolled: 1-line block ×3, first 2 shown]
	ds_read2_b32 v[46:47], v180 offset1:1
	ds_read2_b32 v[60:61], v180 offset0:2 offset1:3
	ds_read2_b32 v[62:63], v180 offset0:4 offset1:5
	;; [unrolled: 1-line block ×3, first 2 shown]
	s_lshr_b32 s17, s0, 2
	v_lshlrev_b32_e32 v42, 4, v37
	s_waitcnt lgkmcnt(3)
	v_and_b32_e32 v199, 0xf0f0f0f, v46
	v_lshrrev_b32_e32 v46, 4, v46
	s_and_b32 s17, s17, 0x3ffffffc
	v_add_u32_e32 v42, s1, v42
	v_and_b32_e32 v213, 0xf0f0f0f, v46
	v_lshrrev_b32_e32 v46, 4, v47
	v_add3_u32 v43, v177, s17, v42
	v_and_b32_e32 v221, 0xf0f0f0f, v46
	s_waitcnt lgkmcnt(2)
	v_lshrrev_b32_e32 v46, 4, v60
	ds_read_u16 v44, v43 offset:25088
	ds_read_u16 v43, v43 offset:25096
	v_and_b32_e32 v222, 0xf0f0f0f, v46
	v_lshrrev_b32_e32 v46, 4, v61
	v_and_b32_e32 v223, 0xf0f0f0f, v46
	s_waitcnt lgkmcnt(3)
	v_lshrrev_b32_e32 v46, 4, v62
	v_and_b32_e32 v225, 0xf0f0f0f, v46
	v_lshrrev_b32_e32 v46, 4, v63
	v_and_b32_e32 v227, 0xf0f0f0f, v46
	s_waitcnt lgkmcnt(2)
	v_lshrrev_b32_e32 v46, 4, v162
	s_waitcnt lgkmcnt(1)
	v_and_b32_e32 v208, 0xff, v44
	v_and_b32_e32 v228, 0xf0f0f0f, v46
	v_lshrrev_b32_e32 v46, 4, v163
	v_lshrrev_b16_e32 v220, 8, v44
	v_add_u32_e32 v44, 0x1080, v180
	v_and_b32_e32 v197, 0xf0f0f0f, v47
	v_and_b32_e32 v229, 0xf0f0f0f, v46
	ds_read2_b32 v[46:47], v44 offset1:1
	v_add_u32_e32 v44, 0x1088, v180
	v_and_b32_e32 v201, 0xf0f0f0f, v60
	v_and_b32_e32 v202, 0xf0f0f0f, v61
	ds_read2_b32 v[60:61], v44 offset1:1
	;; [unrolled: 4-line block ×3, first 2 shown]
	s_waitcnt lgkmcnt(2)
	v_and_b32_e32 v198, 0xf0f0f0f, v46
	v_add_u32_e32 v44, 0x1098, v180
	v_lshrrev_b32_e32 v46, 4, v46
	v_and_b32_e32 v209, 0xf0f0f0f, v162
	v_and_b32_e32 v210, 0xf0f0f0f, v163
	v_cvt_f32_ubyte0_e32 v150, v43
	v_cvt_f32_ubyte1_e32 v154, v43
	v_add3_u32 v43, v176, s17, v42
	ds_read2_b32 v[162:163], v44 offset1:1
	v_and_b32_e32 v218, 0xf0f0f0f, v46
	v_lshrrev_b32_e32 v46, 4, v47
	ds_read_u16 v44, v43 offset:25600
	ds_read_u16 v43, v43 offset:25608
	v_and_b32_e32 v231, 0xf0f0f0f, v46
	s_waitcnt lgkmcnt(4)
	v_lshrrev_b32_e32 v46, 4, v60
	v_and_b32_e32 v234, 0xf0f0f0f, v46
	v_lshrrev_b32_e32 v46, 4, v61
	v_and_b32_e32 v235, 0xf0f0f0f, v46
	s_waitcnt lgkmcnt(3)
	v_lshrrev_b32_e32 v46, 4, v62
	v_and_b32_e32 v238, 0xf0f0f0f, v46
	v_lshrrev_b32_e32 v46, 4, v63
	v_and_b32_e32 v240, 0xf0f0f0f, v46
	s_waitcnt lgkmcnt(2)
	v_lshrrev_b32_e32 v46, 4, v162
	s_waitcnt lgkmcnt(0)
	v_cvt_f32_ubyte0_e32 v152, v43
	v_and_b32_e32 v241, 0xf0f0f0f, v46
	v_lshrrev_b32_e32 v46, 4, v163
	v_cvt_f32_ubyte1_e32 v158, v43
	v_add_u32_e32 v43, 0x2100, v180
	v_and_b32_e32 v203, 0xf0f0f0f, v47
	v_and_b32_e32 v204, 0xf0f0f0f, v60
	;; [unrolled: 1-line block ×3, first 2 shown]
	ds_read2_b32 v[46:47], v43 offset1:1
	v_add_u32_e32 v60, 0x2108, v180
	v_and_b32_e32 v205, 0xf0f0f0f, v61
	ds_read2_b32 v[60:61], v60 offset1:1
	v_and_b32_e32 v211, 0xf0f0f0f, v62
	v_add_u32_e32 v62, 0x2110, v180
	v_and_b32_e32 v212, 0xf0f0f0f, v63
	ds_read2_b32 v[62:63], v62 offset1:1
	v_and_b32_e32 v214, 0xff, v44
	v_lshrrev_b16_e32 v239, 8, v44
	v_add3_u32 v44, v170, s17, v42
	v_add_u32_e32 v124, 0x2118, v180
	v_and_b32_e32 v215, 0xf0f0f0f, v162
	v_and_b32_e32 v216, 0xf0f0f0f, v163
	ds_read2_b32 v[162:163], v124 offset1:1
	s_waitcnt lgkmcnt(3)
	v_and_b32_e32 v217, 0xf0f0f0f, v46
	ds_read_u16 v124, v44 offset:26112
	ds_read_u16 v125, v44 offset:26120
	v_lshrrev_b32_e32 v44, 4, v46
	v_lshrrev_b32_e32 v46, 4, v47
	v_and_b32_e32 v245, 0xf0f0f0f, v46
	s_waitcnt lgkmcnt(4)
	v_lshrrev_b32_e32 v46, 4, v60
	v_and_b32_e32 v246, 0xf0f0f0f, v46
	v_lshrrev_b32_e32 v46, 4, v61
	v_and_b32_e32 v247, 0xf0f0f0f, v46
	s_waitcnt lgkmcnt(3)
	v_lshrrev_b32_e32 v46, 4, v62
	v_and_b32_e32 v248, 0xf0f0f0f, v46
	;; [unrolled: 5-line block ×3, first 2 shown]
	v_and_b32_e32 v251, 0xf0f0f0f, v46
	v_lshrrev_b32_e32 v46, 4, v163
	v_add3_u32 v60, v161, s17, v42
	v_add_u32_e32 v42, 0x3180, v180
	v_and_b32_e32 v219, 0xf0f0f0f, v47
	v_and_b32_e32 v252, 0xf0f0f0f, v46
	ds_read2_b32 v[46:47], v42 offset1:1
	v_mov_b32_e32 v253, 0
	v_mov_b32_e32 v254, 0
	;; [unrolled: 1-line block ×4, first 2 shown]
	s_waitcnt lgkmcnt(0)
	v_and_b32_e32 v244, 0xf0f0f0f, v46
	v_dot4c_i32_i8_e32 v253, v199, v12
	v_dot4c_i32_i8_e32 v254, v198, v12
	;; [unrolled: 1-line block ×4, first 2 shown]
	v_and_b32_e32 v200, 0xf0f0f0f, v47
	v_add_u32_e32 v12, 0x3188, v180
	v_dot4c_i32_i8_e32 v253, v197, v13
	v_dot4c_i32_i8_e32 v254, v203, v13
	;; [unrolled: 1-line block ×4, first 2 shown]
	ds_read2_b32 v[12:13], v12 offset1:1
	v_dot4c_i32_i8_e32 v253, v201, v14
	v_dot4c_i32_i8_e32 v254, v204, v14
	;; [unrolled: 1-line block ×3, first 2 shown]
	v_and_b32_e32 v226, 0xf0f0f0f, v61
	s_waitcnt lgkmcnt(0)
	v_and_b32_e32 v192, 0xf0f0f0f, v12
	v_dot4c_i32_i8_e32 v42, v192, v14
	v_and_b32_e32 v191, 0xf0f0f0f, v13
	v_add_u32_e32 v14, 0x3190, v180
	v_dot4c_i32_i8_e32 v253, v202, v15
	v_dot4c_i32_i8_e32 v254, v205, v15
	;; [unrolled: 1-line block ×4, first 2 shown]
	ds_read2_b32 v[14:15], v14 offset1:1
	v_and_b32_e32 v232, 0xf0f0f0f, v62
	v_dot4c_i32_i8_e32 v253, v206, v8
	v_dot4c_i32_i8_e32 v254, v211, v8
	;; [unrolled: 1-line block ×3, first 2 shown]
	s_waitcnt lgkmcnt(0)
	v_and_b32_e32 v193, 0xf0f0f0f, v14
	v_and_b32_e32 v233, 0xf0f0f0f, v63
	v_dot4c_i32_i8_e32 v42, v193, v8
	v_and_b32_e32 v194, 0xf0f0f0f, v15
	v_add_u32_e32 v8, 0x3198, v180
	v_dot4c_i32_i8_e32 v253, v207, v9
	v_dot4c_i32_i8_e32 v254, v212, v9
	;; [unrolled: 1-line block ×4, first 2 shown]
	ds_read2_b32 v[8:9], v8 offset1:1
	v_lshrrev_b32_e32 v46, 4, v46
	v_mov_b32_e32 v255, 0
	v_mov_b32_e32 v93, 0
	v_and_b32_e32 v242, 0xf0f0f0f, v44
	v_mov_b32_e32 v44, 0
	v_and_b32_e32 v188, 0xf0f0f0f, v46
	v_mov_b32_e32 v46, 0
	v_dot4c_i32_i8_e32 v255, v213, v4
	v_dot4c_i32_i8_e32 v93, v218, v4
	;; [unrolled: 1-line block ×4, first 2 shown]
	v_lshrrev_b32_e32 v4, 4, v47
	v_and_b32_e32 v190, 0xf0f0f0f, v4
	v_lshrrev_b32_e32 v4, 4, v12
	v_dot4c_i32_i8_e32 v255, v221, v5
	v_dot4c_i32_i8_e32 v93, v231, v5
	v_and_b32_e32 v236, 0xf0f0f0f, v162
	v_dot4c_i32_i8_e32 v44, v245, v5
	s_waitcnt lgkmcnt(0)
	v_and_b32_e32 v195, 0xf0f0f0f, v8
	v_dot4c_i32_i8_e32 v46, v190, v5
	v_and_b32_e32 v189, 0xf0f0f0f, v4
	v_lshrrev_b32_e32 v4, 4, v13
	v_dot4c_i32_i8_e32 v253, v209, v10
	v_dot4c_i32_i8_e32 v255, v222, v6
	;; [unrolled: 1-line block ×5, first 2 shown]
	v_and_b32_e32 v237, 0xf0f0f0f, v163
	v_dot4c_i32_i8_e32 v44, v246, v6
	v_dot4c_i32_i8_e32 v42, v195, v10
	v_and_b32_e32 v196, 0xf0f0f0f, v9
	v_dot4c_i32_i8_e32 v46, v189, v6
	v_and_b32_e32 v183, 0xf0f0f0f, v4
	v_lshrrev_b32_e32 v4, 4, v14
	v_dot4c_i32_i8_e32 v253, v210, v11
	v_dot4c_i32_i8_e32 v255, v223, v7
	;; [unrolled: 1-line block ×7, first 2 shown]
	ds_read_u16 v10, v60 offset:26624
	ds_read_u16 v11, v60 offset:26632
	v_dot4c_i32_i8_e32 v46, v183, v7
	v_and_b32_e32 v184, 0xf0f0f0f, v4
	v_dot4c_i32_i8_e32 v255, v225, v0
	v_dot4c_i32_i8_e32 v93, v238, v0
	;; [unrolled: 1-line block ×4, first 2 shown]
	v_lshrrev_b32_e32 v0, 4, v15
	v_and_b32_e32 v185, 0xf0f0f0f, v0
	v_lshrrev_b32_e32 v0, 4, v8
	v_dot4c_i32_i8_e32 v255, v227, v1
	v_dot4c_i32_i8_e32 v93, v240, v1
	;; [unrolled: 1-line block ×4, first 2 shown]
	v_and_b32_e32 v186, 0xf0f0f0f, v0
	v_lshrrev_b32_e32 v0, 4, v9
	v_dot4c_i32_i8_e32 v255, v228, v2
	v_dot4c_i32_i8_e32 v93, v241, v2
	;; [unrolled: 1-line block ×4, first 2 shown]
	v_and_b32_e32 v187, 0xf0f0f0f, v0
	v_dot4c_i32_i8_e32 v255, v229, v3
	v_dot4c_i32_i8_e32 v93, v243, v3
	;; [unrolled: 1-line block ×3, first 2 shown]
	s_waitcnt lgkmcnt(1)
	v_and_b32_e32 v182, 0xff, v10
	s_waitcnt lgkmcnt(0)
	v_cvt_f32_ubyte0_e32 v148, v11
	v_dot4c_i32_i8_e32 v46, v187, v3
	v_lshrrev_b16_e32 v181, 8, v10
	v_cvt_f32_ubyte1_e32 v146, v11
	ds_read_b128 v[12:15], v178 offset:1024
	ds_read_b128 v[8:11], v178 offset:1040
	;; [unrolled: 1-line block ×4, first 2 shown]
	v_mov_b32_e32 v47, 0
	v_and_b32_e32 v230, 0xff, v124
	v_lshrrev_b16_e32 v249, 8, v124
	s_waitcnt lgkmcnt(3)
	v_dot4c_i32_i8_e32 v47, v199, v12
	v_mov_b32_e32 v124, 0
	v_dot4c_i32_i8_e32 v47, v197, v13
	s_waitcnt lgkmcnt(1)
	v_dot4c_i32_i8_e32 v124, v213, v4
	v_dot4c_i32_i8_e32 v47, v201, v14
	;; [unrolled: 1-line block ×5, first 2 shown]
	ds_read2_b64 v[60:63], v179 offset1:16
	v_dot4c_i32_i8_e32 v47, v206, v8
	v_dot4c_i32_i8_e32 v124, v223, v7
	;; [unrolled: 1-line block ×3, first 2 shown]
	s_waitcnt lgkmcnt(1)
	v_dot4c_i32_i8_e32 v124, v225, v0
	v_dot4c_i32_i8_e32 v47, v209, v10
	;; [unrolled: 1-line block ×6, first 2 shown]
	s_waitcnt lgkmcnt(0)
	v_cvt_f32_f16_e32 v166, v60
	v_cvt_f32_f16_sdwa v168, v60 dst_sel:DWORD dst_unused:UNUSED_PAD src0_sel:WORD_1
	v_mul_lo_u32 v60, v253, v208
	v_mul_lo_u32 v47, v47, v208
	v_cvt_f32_f16_e32 v167, v62
	v_cvt_f32_f16_e32 v162, v61
	v_cvt_f32_f16_sdwa v164, v61 dst_sel:DWORD dst_unused:UNUSED_PAD src0_sel:WORD_1
	v_cvt_f32_i32_e32 v61, v47
	v_cvt_f32_i32_e32 v60, v60
	v_mul_lo_u32 v47, v255, v220
	v_mul_lo_u32 v124, v124, v220
	v_cvt_f32_ubyte0_e32 v156, v125
	v_cvt_f32_ubyte1_e32 v160, v125
	v_cvt_f32_f16_e32 v163, v63
	v_cvt_f32_i32_e32 v125, v124
	v_cvt_f32_i32_e32 v124, v47
	v_pk_fma_f32 v[60:61], v[166:167], v[60:61], 0 op_sel_hi:[1,1,0]
	v_mov_b32_e32 v47, 0
	v_cvt_f32_f16_sdwa v169, v62 dst_sel:DWORD dst_unused:UNUSED_PAD src0_sel:WORD_1
	v_pk_fma_f32 v[60:61], v[162:163], v[124:125], v[60:61]
	v_dot4c_i32_i8_e32 v47, v198, v12
	v_mov_b32_e32 v124, 0
	v_cvt_f32_f16_sdwa v165, v63 dst_sel:DWORD dst_unused:UNUSED_PAD src0_sel:WORD_1
	v_dot4c_i32_i8_e32 v47, v203, v13
	v_dot4c_i32_i8_e32 v124, v218, v4
	;; [unrolled: 1-line block ×6, first 2 shown]
	v_pk_fma_f32 v[62:63], v[150:151], v[168:169], 0 op_sel_hi:[0,1,0]
	v_dot4c_i32_i8_e32 v47, v211, v8
	v_dot4c_i32_i8_e32 v124, v235, v7
	v_pk_fma_f32 v[62:63], v[154:155], v[164:165], v[62:63] op_sel_hi:[0,1,1]
	v_dot4c_i32_i8_e32 v47, v212, v9
	v_dot4c_i32_i8_e32 v124, v238, v0
	v_pk_mul_f32 v[62:63], v[62:63], v[132:133]
	v_dot4c_i32_i8_e32 v47, v215, v10
	v_dot4c_i32_i8_e32 v124, v240, v1
	v_pk_fma_f32 v[60:61], v[60:61], v[130:131], v[62:63] neg_lo:[0,0,1] neg_hi:[0,0,1]
	v_dot4c_i32_i8_e32 v47, v216, v11
	v_dot4c_i32_i8_e32 v124, v241, v2
	v_pk_add_f32 v[74:75], v[74:75], v[60:61]
	v_dot4c_i32_i8_e32 v124, v243, v3
	v_mul_lo_u32 v60, v254, v214
	v_mul_lo_u32 v47, v47, v214
	v_cvt_f32_i32_e32 v61, v47
	v_cvt_f32_i32_e32 v60, v60
	v_mul_lo_u32 v47, v93, v239
	v_mul_lo_u32 v93, v124, v239
	v_cvt_f32_i32_e32 v125, v93
	v_cvt_f32_i32_e32 v124, v47
	v_pk_fma_f32 v[62:63], v[152:153], v[168:169], 0 op_sel_hi:[0,1,0]
	v_pk_fma_f32 v[60:61], v[166:167], v[60:61], 0 op_sel_hi:[1,1,0]
	;; [unrolled: 1-line block ×3, first 2 shown]
	v_pk_fma_f32 v[60:61], v[162:163], v[124:125], v[60:61]
	v_pk_mul_f32 v[62:63], v[62:63], v[136:137]
	v_mul_lo_u32 v43, v43, v230
	v_pk_fma_f32 v[60:61], v[60:61], v[134:135], v[62:63] neg_lo:[0,0,1] neg_hi:[0,0,1]
	v_mov_b32_e32 v47, 0
	v_pk_add_f32 v[78:79], v[78:79], v[60:61]
	v_cvt_f32_i32_e32 v60, v43
	v_mul_lo_u32 v43, v44, v249
	v_cvt_f32_i32_e32 v124, v43
	v_mov_b32_e32 v43, 0
	v_dot4c_i32_i8_e32 v47, v217, v12
	v_dot4c_i32_i8_e32 v43, v244, v12
	;; [unrolled: 1-line block ×10, first 2 shown]
	v_mov_b32_e32 v8, 0
	v_dot4c_i32_i8_e32 v8, v188, v4
	v_mov_b32_e32 v93, 0
	v_dot4c_i32_i8_e32 v8, v190, v5
	v_dot4c_i32_i8_e32 v93, v242, v4
	;; [unrolled: 1-line block ×16, first 2 shown]
	v_mul_lo_u32 v0, v42, v182
	v_mul_lo_u32 v1, v43, v182
	v_cvt_f32_i32_e32 v1, v1
	v_cvt_f32_i32_e32 v0, v0
	v_mul_lo_u32 v4, v46, v181
	v_mul_lo_u32 v5, v8, v181
	v_dot4c_i32_i8_e32 v47, v233, v9
	v_cvt_f32_i32_e32 v5, v5
	v_cvt_f32_i32_e32 v4, v4
	v_dot4c_i32_i8_e32 v47, v236, v10
	v_dot4c_i32_i8_e32 v93, v251, v2
	;; [unrolled: 1-line block ×4, first 2 shown]
	v_pk_fma_f32 v[2:3], v[148:149], v[168:169], 0 op_sel_hi:[0,1,0]
	v_pk_fma_f32 v[0:1], v[166:167], v[0:1], 0 op_sel_hi:[1,1,0]
	v_mul_lo_u32 v47, v47, v230
	v_pk_fma_f32 v[2:3], v[146:147], v[164:165], v[2:3] op_sel_hi:[0,1,1]
	v_cvt_f32_i32_e32 v61, v47
	v_mul_lo_u32 v44, v93, v249
	v_pk_fma_f32 v[0:1], v[162:163], v[4:5], v[0:1]
	v_pk_mul_f32 v[2:3], v[2:3], v[144:145]
	v_cvt_f32_i32_e32 v125, v44
	v_pk_fma_f32 v[0:1], v[0:1], v[142:143], v[2:3] neg_lo:[0,0,1] neg_hi:[0,0,1]
	v_pk_fma_f32 v[60:61], v[166:167], v[60:61], 0 op_sel_hi:[1,1,0]
	v_pk_add_f32 v[72:73], v[72:73], v[0:1]
	ds_read_b128 v[12:15], v178 offset:2048
	ds_read_b128 v[8:11], v178 offset:2064
	;; [unrolled: 1-line block ×4, first 2 shown]
	v_pk_fma_f32 v[60:61], v[162:163], v[124:125], v[60:61]
	v_mov_b32_e32 v47, 0
	v_mov_b32_e32 v124, 0
	;; [unrolled: 1-line block ×8, first 2 shown]
	s_waitcnt lgkmcnt(3)
	v_dot4c_i32_i8_e32 v47, v199, v12
	s_waitcnt lgkmcnt(1)
	v_dot4c_i32_i8_e32 v124, v213, v4
	v_dot4c_i32_i8_e32 v93, v198, v12
	;; [unrolled: 1-line block ×32, first 2 shown]
	s_waitcnt lgkmcnt(0)
	v_dot4c_i32_i8_e32 v124, v225, v0
	v_dot4c_i32_i8_e32 v93, v211, v8
	;; [unrolled: 1-line block ×31, first 2 shown]
	ds_read_b128 v[12:15], v178 offset:3072
	ds_read_b128 v[8:11], v178 offset:3088
	;; [unrolled: 1-line block ×4, first 2 shown]
	v_pk_fma_f32 v[62:63], v[156:157], v[168:169], 0 op_sel_hi:[0,1,0]
	v_mov_b32_e32 v125, 0
	v_pk_fma_f32 v[62:63], v[160:161], v[164:165], v[62:63] op_sel_hi:[0,1,1]
	s_waitcnt lgkmcnt(3)
	v_dot4c_i32_i8_e32 v125, v199, v12
	v_mov_b32_e32 v254, 0
	v_pk_mul_f32 v[62:63], v[62:63], v[140:141]
	v_dot4c_i32_i8_e32 v125, v197, v13
	s_waitcnt lgkmcnt(1)
	v_dot4c_i32_i8_e32 v254, v213, v4
	v_pk_fma_f32 v[60:61], v[60:61], v[138:139], v[62:63] neg_lo:[0,0,1] neg_hi:[0,0,1]
	v_dot4c_i32_i8_e32 v125, v201, v14
	v_dot4c_i32_i8_e32 v254, v221, v5
	v_pk_add_f32 v[76:77], v[76:77], v[60:61]
	v_dot4c_i32_i8_e32 v125, v202, v15
	v_dot4c_i32_i8_e32 v254, v222, v6
	ds_read2_b64 v[60:63], v179 offset0:32 offset1:48
	v_dot4c_i32_i8_e32 v125, v206, v8
	v_dot4c_i32_i8_e32 v254, v223, v7
	v_dot4c_i32_i8_e32 v125, v207, v9
	s_waitcnt lgkmcnt(1)
	v_dot4c_i32_i8_e32 v254, v225, v0
	v_dot4c_i32_i8_e32 v125, v209, v10
	;; [unrolled: 1-line block ×6, first 2 shown]
	s_waitcnt lgkmcnt(0)
	v_cvt_f32_f16_e32 v166, v60
	v_cvt_f32_f16_sdwa v168, v60 dst_sel:DWORD dst_unused:UNUSED_PAD src0_sel:WORD_1
	v_mul_lo_u32 v47, v47, v208
	v_mul_lo_u32 v60, v125, v208
	v_cvt_f32_f16_e32 v167, v62
	v_cvt_f32_f16_e32 v162, v61
	v_cvt_f32_f16_sdwa v164, v61 dst_sel:DWORD dst_unused:UNUSED_PAD src0_sel:WORD_1
	v_cvt_f32_i32_e32 v61, v60
	v_cvt_f32_i32_e32 v60, v47
	v_mul_lo_u32 v47, v124, v220
	v_mul_lo_u32 v124, v254, v220
	v_cvt_f32_f16_e32 v163, v63
	v_cvt_f32_i32_e32 v125, v124
	v_cvt_f32_i32_e32 v124, v47
	v_pk_fma_f32 v[60:61], v[60:61], v[166:167], 0 op_sel_hi:[1,1,0]
	v_mov_b32_e32 v47, 0
	v_dot4c_i32_i8_e32 v47, v198, v12
	v_pk_fma_f32 v[60:61], v[124:125], v[162:163], v[60:61]
	v_mov_b32_e32 v124, 0
	v_cvt_f32_f16_sdwa v169, v62 dst_sel:DWORD dst_unused:UNUSED_PAD src0_sel:WORD_1
	v_dot4c_i32_i8_e32 v47, v203, v13
	v_dot4c_i32_i8_e32 v124, v218, v4
	v_cvt_f32_f16_sdwa v165, v63 dst_sel:DWORD dst_unused:UNUSED_PAD src0_sel:WORD_1
	v_dot4c_i32_i8_e32 v47, v204, v14
	v_dot4c_i32_i8_e32 v124, v231, v5
	;; [unrolled: 1-line block ×6, first 2 shown]
	v_pk_fma_f32 v[62:63], v[150:151], v[168:169], 0 op_sel_hi:[0,1,0]
	v_dot4c_i32_i8_e32 v47, v212, v9
	v_dot4c_i32_i8_e32 v124, v238, v0
	v_pk_fma_f32 v[62:63], v[154:155], v[164:165], v[62:63] op_sel_hi:[0,1,1]
	v_dot4c_i32_i8_e32 v47, v215, v10
	v_dot4c_i32_i8_e32 v124, v240, v1
	v_pk_mul_f32 v[62:63], v[62:63], v[132:133]
	v_dot4c_i32_i8_e32 v47, v216, v11
	v_dot4c_i32_i8_e32 v124, v241, v2
	v_pk_fma_f32 v[60:61], v[60:61], v[130:131], v[62:63] neg_lo:[0,0,1] neg_hi:[0,0,1]
	v_dot4c_i32_i8_e32 v124, v243, v3
	v_mul_lo_u32 v47, v47, v214
	v_pk_add_f32 v[48:49], v[48:49], v[60:61]
	v_mul_lo_u32 v60, v93, v214
	v_cvt_f32_i32_e32 v61, v47
	v_mul_lo_u32 v47, v253, v239
	v_mul_lo_u32 v93, v124, v239
	v_cvt_f32_i32_e32 v125, v93
	v_cvt_f32_i32_e32 v124, v47
	v_mov_b32_e32 v47, 0
	v_mov_b32_e32 v93, 0
	v_dot4c_i32_i8_e32 v47, v217, v12
	v_dot4c_i32_i8_e32 v93, v242, v4
	v_cvt_f32_i32_e32 v60, v60
	v_dot4c_i32_i8_e32 v47, v219, v13
	v_dot4c_i32_i8_e32 v93, v245, v5
	;; [unrolled: 1-line block ×6, first 2 shown]
	v_pk_fma_f32 v[62:63], v[152:153], v[168:169], 0 op_sel_hi:[0,1,0]
	v_dot4c_i32_i8_e32 v47, v232, v8
	v_dot4c_i32_i8_e32 v93, v248, v0
	v_pk_fma_f32 v[60:61], v[60:61], v[166:167], 0 op_sel_hi:[1,1,0]
	v_pk_fma_f32 v[62:63], v[158:159], v[164:165], v[62:63] op_sel_hi:[0,1,1]
	v_dot4c_i32_i8_e32 v47, v233, v9
	v_dot4c_i32_i8_e32 v93, v250, v1
	v_pk_fma_f32 v[60:61], v[124:125], v[162:163], v[60:61]
	v_pk_mul_f32 v[62:63], v[62:63], v[136:137]
	v_dot4c_i32_i8_e32 v47, v236, v10
	v_dot4c_i32_i8_e32 v93, v251, v2
	v_pk_fma_f32 v[60:61], v[60:61], v[134:135], v[62:63] neg_lo:[0,0,1] neg_hi:[0,0,1]
	v_dot4c_i32_i8_e32 v47, v237, v11
	v_dot4c_i32_i8_e32 v93, v252, v3
	v_mul_lo_u32 v44, v44, v230
	v_pk_add_f32 v[40:41], v[40:41], v[60:61]
	v_mul_lo_u32 v47, v47, v230
	v_cvt_f32_i32_e32 v60, v44
	v_mul_lo_u32 v44, v46, v249
	v_mul_lo_u32 v46, v93, v249
	v_cvt_f32_i32_e32 v61, v47
	v_cvt_f32_i32_e32 v47, v46
	;; [unrolled: 1-line block ×3, first 2 shown]
	v_mov_b32_e32 v44, 0
	v_dot4c_i32_i8_e32 v44, v244, v12
	v_dot4c_i32_i8_e32 v44, v200, v13
	;; [unrolled: 1-line block ×5, first 2 shown]
	v_mov_b32_e32 v8, 0
	v_dot4c_i32_i8_e32 v8, v188, v4
	v_dot4c_i32_i8_e32 v8, v190, v5
	;; [unrolled: 1-line block ×11, first 2 shown]
	v_mul_lo_u32 v0, v42, v182
	v_mul_lo_u32 v1, v44, v182
	v_cvt_f32_i32_e32 v1, v1
	v_cvt_f32_i32_e32 v0, v0
	v_mul_lo_u32 v4, v43, v181
	v_mul_lo_u32 v5, v8, v181
	v_cvt_f32_i32_e32 v5, v5
	v_cvt_f32_i32_e32 v4, v4
	v_pk_fma_f32 v[2:3], v[148:149], v[168:169], 0 op_sel_hi:[0,1,0]
	v_pk_fma_f32 v[0:1], v[0:1], v[166:167], 0 op_sel_hi:[1,1,0]
	;; [unrolled: 1-line block ×3, first 2 shown]
	v_pk_fma_f32 v[0:1], v[4:5], v[162:163], v[0:1]
	v_pk_mul_f32 v[2:3], v[2:3], v[144:145]
	v_pk_fma_f32 v[60:61], v[60:61], v[166:167], 0 op_sel_hi:[1,1,0]
	v_pk_fma_f32 v[62:63], v[156:157], v[168:169], 0 op_sel_hi:[0,1,0]
	v_pk_fma_f32 v[0:1], v[0:1], v[142:143], v[2:3] neg_lo:[0,0,1] neg_hi:[0,0,1]
	v_pk_fma_f32 v[46:47], v[46:47], v[162:163], v[60:61]
	v_pk_fma_f32 v[60:61], v[160:161], v[164:165], v[62:63] op_sel_hi:[0,1,1]
	v_pk_add_f32 v[32:33], v[32:33], v[0:1]
	ds_read_b128 v[12:15], v178 offset:4096
	ds_read_b128 v[8:11], v178 offset:4112
	ds_read_b128 v[4:7], v178 offset:4128
	ds_read_b128 v[0:3], v178 offset:4144
	v_pk_mul_f32 v[60:61], v[60:61], v[140:141]
	v_mov_b32_e32 v254, 0
	v_pk_fma_f32 v[46:47], v[46:47], v[138:139], v[60:61] neg_lo:[0,0,1] neg_hi:[0,0,1]
	v_mov_b32_e32 v255, 0
	v_pk_add_f32 v[34:35], v[34:35], v[46:47]
	v_mov_b32_e32 v93, 0
	v_mov_b32_e32 v253, 0
	;; [unrolled: 1-line block ×6, first 2 shown]
	s_waitcnt lgkmcnt(3)
	v_dot4c_i32_i8_e32 v254, v199, v12
	s_waitcnt lgkmcnt(1)
	v_dot4c_i32_i8_e32 v255, v213, v4
	v_dot4c_i32_i8_e32 v93, v198, v12
	;; [unrolled: 1-line block ×32, first 2 shown]
	s_waitcnt lgkmcnt(0)
	v_dot4c_i32_i8_e32 v255, v225, v0
	v_dot4c_i32_i8_e32 v93, v211, v8
	;; [unrolled: 1-line block ×31, first 2 shown]
	ds_read_b128 v[12:15], v178 offset:5120
	ds_read_b128 v[8:11], v178 offset:5136
	;; [unrolled: 1-line block ×4, first 2 shown]
	v_mov_b32_e32 v47, 0
	s_waitcnt lgkmcnt(3)
	v_dot4c_i32_i8_e32 v47, v199, v12
	v_mov_b32_e32 v124, 0
	v_dot4c_i32_i8_e32 v47, v197, v13
	s_waitcnt lgkmcnt(1)
	v_dot4c_i32_i8_e32 v124, v213, v4
	v_dot4c_i32_i8_e32 v47, v201, v14
	;; [unrolled: 1-line block ×5, first 2 shown]
	ds_read2_b64 v[60:63], v179 offset0:64 offset1:80
	v_dot4c_i32_i8_e32 v47, v206, v8
	v_dot4c_i32_i8_e32 v124, v223, v7
	;; [unrolled: 1-line block ×3, first 2 shown]
	s_waitcnt lgkmcnt(1)
	v_dot4c_i32_i8_e32 v124, v225, v0
	v_dot4c_i32_i8_e32 v47, v209, v10
	;; [unrolled: 1-line block ×6, first 2 shown]
	s_waitcnt lgkmcnt(0)
	v_cvt_f32_f16_e32 v166, v60
	v_cvt_f32_f16_sdwa v168, v60 dst_sel:DWORD dst_unused:UNUSED_PAD src0_sel:WORD_1
	v_mul_lo_u32 v60, v254, v208
	v_mul_lo_u32 v47, v47, v208
	v_cvt_f32_f16_e32 v167, v62
	v_cvt_f32_f16_e32 v162, v61
	v_cvt_f32_f16_sdwa v164, v61 dst_sel:DWORD dst_unused:UNUSED_PAD src0_sel:WORD_1
	v_cvt_f32_i32_e32 v61, v47
	v_cvt_f32_i32_e32 v60, v60
	v_mul_lo_u32 v47, v255, v220
	v_mul_lo_u32 v124, v124, v220
	v_cvt_f32_f16_e32 v163, v63
	v_cvt_f32_i32_e32 v125, v124
	v_cvt_f32_i32_e32 v124, v47
	v_pk_fma_f32 v[60:61], v[60:61], v[166:167], 0 op_sel_hi:[1,1,0]
	v_mov_b32_e32 v47, 0
	v_dot4c_i32_i8_e32 v47, v198, v12
	v_pk_fma_f32 v[60:61], v[124:125], v[162:163], v[60:61]
	v_mov_b32_e32 v124, 0
	v_cvt_f32_f16_sdwa v169, v62 dst_sel:DWORD dst_unused:UNUSED_PAD src0_sel:WORD_1
	v_dot4c_i32_i8_e32 v47, v203, v13
	v_dot4c_i32_i8_e32 v124, v218, v4
	v_cvt_f32_f16_sdwa v165, v63 dst_sel:DWORD dst_unused:UNUSED_PAD src0_sel:WORD_1
	v_dot4c_i32_i8_e32 v47, v204, v14
	v_dot4c_i32_i8_e32 v124, v231, v5
	;; [unrolled: 1-line block ×6, first 2 shown]
	v_pk_fma_f32 v[62:63], v[150:151], v[168:169], 0 op_sel_hi:[0,1,0]
	v_dot4c_i32_i8_e32 v47, v212, v9
	v_dot4c_i32_i8_e32 v124, v238, v0
	v_pk_fma_f32 v[62:63], v[154:155], v[164:165], v[62:63] op_sel_hi:[0,1,1]
	v_dot4c_i32_i8_e32 v47, v215, v10
	v_dot4c_i32_i8_e32 v124, v240, v1
	v_pk_mul_f32 v[62:63], v[62:63], v[132:133]
	v_dot4c_i32_i8_e32 v47, v216, v11
	v_dot4c_i32_i8_e32 v124, v241, v2
	v_pk_fma_f32 v[60:61], v[60:61], v[130:131], v[62:63] neg_lo:[0,0,1] neg_hi:[0,0,1]
	v_dot4c_i32_i8_e32 v124, v243, v3
	v_mul_lo_u32 v47, v47, v214
	v_pk_add_f32 v[30:31], v[30:31], v[60:61]
	v_mul_lo_u32 v60, v93, v214
	v_cvt_f32_i32_e32 v61, v47
	v_mul_lo_u32 v47, v253, v239
	v_mul_lo_u32 v93, v124, v239
	v_cvt_f32_i32_e32 v125, v93
	v_cvt_f32_i32_e32 v124, v47
	v_mov_b32_e32 v47, 0
	v_mov_b32_e32 v93, 0
	v_dot4c_i32_i8_e32 v47, v217, v12
	v_dot4c_i32_i8_e32 v93, v242, v4
	v_cvt_f32_i32_e32 v60, v60
	v_dot4c_i32_i8_e32 v47, v219, v13
	v_dot4c_i32_i8_e32 v93, v245, v5
	;; [unrolled: 1-line block ×6, first 2 shown]
	v_pk_fma_f32 v[62:63], v[152:153], v[168:169], 0 op_sel_hi:[0,1,0]
	v_dot4c_i32_i8_e32 v47, v232, v8
	v_dot4c_i32_i8_e32 v93, v248, v0
	v_pk_fma_f32 v[60:61], v[60:61], v[166:167], 0 op_sel_hi:[1,1,0]
	v_pk_fma_f32 v[62:63], v[158:159], v[164:165], v[62:63] op_sel_hi:[0,1,1]
	v_dot4c_i32_i8_e32 v47, v233, v9
	v_dot4c_i32_i8_e32 v93, v250, v1
	v_pk_fma_f32 v[60:61], v[124:125], v[162:163], v[60:61]
	v_pk_mul_f32 v[62:63], v[62:63], v[136:137]
	v_dot4c_i32_i8_e32 v47, v236, v10
	v_dot4c_i32_i8_e32 v93, v251, v2
	v_pk_fma_f32 v[60:61], v[60:61], v[134:135], v[62:63] neg_lo:[0,0,1] neg_hi:[0,0,1]
	v_dot4c_i32_i8_e32 v47, v237, v11
	v_dot4c_i32_i8_e32 v93, v252, v3
	v_mul_lo_u32 v44, v44, v230
	v_pk_add_f32 v[28:29], v[28:29], v[60:61]
	v_mul_lo_u32 v47, v47, v230
	v_cvt_f32_i32_e32 v60, v44
	v_mul_lo_u32 v44, v46, v249
	v_mul_lo_u32 v46, v93, v249
	v_cvt_f32_i32_e32 v61, v47
	v_cvt_f32_i32_e32 v47, v46
	;; [unrolled: 1-line block ×3, first 2 shown]
	v_mov_b32_e32 v44, 0
	v_dot4c_i32_i8_e32 v44, v244, v12
	v_dot4c_i32_i8_e32 v44, v200, v13
	;; [unrolled: 1-line block ×5, first 2 shown]
	v_mov_b32_e32 v8, 0
	v_dot4c_i32_i8_e32 v8, v188, v4
	v_dot4c_i32_i8_e32 v8, v190, v5
	;; [unrolled: 1-line block ×11, first 2 shown]
	v_mul_lo_u32 v0, v42, v182
	v_mul_lo_u32 v1, v44, v182
	v_cvt_f32_i32_e32 v1, v1
	v_cvt_f32_i32_e32 v0, v0
	v_mul_lo_u32 v4, v43, v181
	v_mul_lo_u32 v5, v8, v181
	v_cvt_f32_i32_e32 v5, v5
	v_cvt_f32_i32_e32 v4, v4
	v_pk_fma_f32 v[2:3], v[148:149], v[168:169], 0 op_sel_hi:[0,1,0]
	v_pk_fma_f32 v[0:1], v[0:1], v[166:167], 0 op_sel_hi:[1,1,0]
	;; [unrolled: 1-line block ×3, first 2 shown]
	v_pk_fma_f32 v[0:1], v[4:5], v[162:163], v[0:1]
	v_pk_mul_f32 v[2:3], v[2:3], v[144:145]
	v_pk_fma_f32 v[60:61], v[60:61], v[166:167], 0 op_sel_hi:[1,1,0]
	v_pk_fma_f32 v[62:63], v[156:157], v[168:169], 0 op_sel_hi:[0,1,0]
	v_pk_fma_f32 v[0:1], v[0:1], v[142:143], v[2:3] neg_lo:[0,0,1] neg_hi:[0,0,1]
	v_pk_fma_f32 v[46:47], v[46:47], v[162:163], v[60:61]
	v_pk_fma_f32 v[60:61], v[160:161], v[164:165], v[62:63] op_sel_hi:[0,1,1]
	v_pk_add_f32 v[24:25], v[24:25], v[0:1]
	ds_read_b128 v[8:11], v178 offset:6144
	ds_read_b128 v[12:15], v178 offset:6160
	;; [unrolled: 1-line block ×4, first 2 shown]
	v_pk_mul_f32 v[60:61], v[60:61], v[140:141]
	v_mov_b32_e32 v44, 0
	v_pk_fma_f32 v[46:47], v[46:47], v[138:139], v[60:61] neg_lo:[0,0,1] neg_hi:[0,0,1]
	v_mov_b32_e32 v93, 0
	v_pk_add_f32 v[26:27], v[26:27], v[46:47]
	v_mov_b32_e32 v46, 0
	v_mov_b32_e32 v42, 0
	;; [unrolled: 1-line block ×6, first 2 shown]
	s_waitcnt lgkmcnt(3)
	v_dot4c_i32_i8_e32 v44, v199, v8
	s_waitcnt lgkmcnt(1)
	v_dot4c_i32_i8_e32 v46, v213, v4
	v_dot4c_i32_i8_e32 v93, v198, v8
	;; [unrolled: 1-line block ×32, first 2 shown]
	s_waitcnt lgkmcnt(0)
	v_dot4c_i32_i8_e32 v46, v225, v0
	v_dot4c_i32_i8_e32 v93, v211, v12
	;; [unrolled: 1-line block ×31, first 2 shown]
	ds_read_b128 v[8:11], v178 offset:7168
	ds_read_b128 v[12:15], v178 offset:7184
	;; [unrolled: 1-line block ×4, first 2 shown]
	v_mov_b32_e32 v47, 0
	s_waitcnt lgkmcnt(3)
	v_dot4c_i32_i8_e32 v47, v199, v8
	v_mov_b32_e32 v124, 0
	v_dot4c_i32_i8_e32 v47, v197, v9
	s_waitcnt lgkmcnt(1)
	v_dot4c_i32_i8_e32 v124, v213, v4
	v_dot4c_i32_i8_e32 v47, v201, v10
	;; [unrolled: 1-line block ×7, first 2 shown]
	ds_read2_b64 v[60:63], v179 offset0:96 offset1:112
	v_dot4c_i32_i8_e32 v47, v207, v13
	s_waitcnt lgkmcnt(1)
	v_dot4c_i32_i8_e32 v124, v225, v0
	v_dot4c_i32_i8_e32 v47, v209, v14
	;; [unrolled: 1-line block ×6, first 2 shown]
	v_mul_lo_u32 v44, v44, v208
	v_mul_lo_u32 v47, v47, v208
	s_waitcnt lgkmcnt(0)
	v_cvt_f32_f16_e32 v169, v62
	v_cvt_f32_f16_e32 v168, v60
	v_cvt_f32_f16_sdwa v167, v62 dst_sel:DWORD dst_unused:UNUSED_PAD src0_sel:WORD_1
	v_cvt_f32_f16_sdwa v166, v60 dst_sel:DWORD dst_unused:UNUSED_PAD src0_sel:WORD_1
	v_cvt_f32_f16_e32 v164, v61
	v_cvt_f32_f16_sdwa v162, v61 dst_sel:DWORD dst_unused:UNUSED_PAD src0_sel:WORD_1
	v_cvt_f32_i32_e32 v61, v47
	v_cvt_f32_i32_e32 v60, v44
	v_mul_lo_u32 v44, v46, v220
	v_mul_lo_u32 v46, v124, v220
	v_cvt_f32_f16_e32 v165, v63
	v_cvt_f32_f16_sdwa v163, v63 dst_sel:DWORD dst_unused:UNUSED_PAD src0_sel:WORD_1
	v_cvt_f32_i32_e32 v47, v46
	v_cvt_f32_i32_e32 v46, v44
	v_pk_fma_f32 v[60:61], v[60:61], v[168:169], 0 op_sel_hi:[1,1,0]
	v_pk_fma_f32 v[62:63], v[150:151], v[166:167], 0 op_sel_hi:[0,1,0]
	v_mov_b32_e32 v44, 0
	v_pk_fma_f32 v[46:47], v[46:47], v[164:165], v[60:61]
	v_pk_fma_f32 v[60:61], v[154:155], v[162:163], v[62:63] op_sel_hi:[0,1,1]
	v_dot4c_i32_i8_e32 v44, v198, v8
	v_mov_b32_e32 v62, 0
	v_dot4c_i32_i8_e32 v44, v203, v9
	v_dot4c_i32_i8_e32 v62, v218, v4
	;; [unrolled: 1-line block ×12, first 2 shown]
	v_pk_mul_f32 v[60:61], v[60:61], v[132:133]
	v_dot4c_i32_i8_e32 v44, v216, v15
	v_dot4c_i32_i8_e32 v62, v241, v2
	v_pk_fma_f32 v[46:47], v[46:47], v[130:131], v[60:61] neg_lo:[0,0,1] neg_hi:[0,0,1]
	v_dot4c_i32_i8_e32 v62, v243, v3
	v_mul_lo_u32 v44, v44, v214
	v_mul_lo_u32 v42, v42, v239
	v_pk_add_f32 v[22:23], v[22:23], v[46:47]
	v_cvt_f32_i32_e32 v47, v44
	v_mul_lo_u32 v44, v62, v239
	v_cvt_f32_i32_e32 v62, v42
	v_mov_b32_e32 v42, 0
	v_mul_lo_u32 v46, v93, v214
	v_cvt_f32_i32_e32 v63, v44
	v_dot4c_i32_i8_e32 v42, v217, v8
	v_mov_b32_e32 v44, 0
	v_mov_b32_e32 v150, 0
	v_cvt_f32_i32_e32 v46, v46
	v_dot4c_i32_i8_e32 v42, v219, v9
	v_dot4c_i32_i8_e32 v44, v242, v4
	v_dot4c_i32_i8_e32 v150, v244, v8
	v_mov_b32_e32 v8, 0
	v_dot4c_i32_i8_e32 v42, v224, v10
	v_dot4c_i32_i8_e32 v44, v245, v5
	;; [unrolled: 1-line block ×8, first 2 shown]
	v_pk_fma_f32 v[60:61], v[152:153], v[166:167], 0 op_sel_hi:[0,1,0]
	v_dot4c_i32_i8_e32 v42, v232, v12
	v_dot4c_i32_i8_e32 v44, v247, v7
	;; [unrolled: 1-line block ×4, first 2 shown]
	v_pk_fma_f32 v[46:47], v[46:47], v[168:169], 0 op_sel_hi:[1,1,0]
	v_pk_fma_f32 v[60:61], v[158:159], v[162:163], v[60:61] op_sel_hi:[0,1,1]
	v_dot4c_i32_i8_e32 v42, v233, v13
	v_dot4c_i32_i8_e32 v44, v248, v0
	;; [unrolled: 1-line block ×4, first 2 shown]
	v_pk_fma_f32 v[46:47], v[62:63], v[164:165], v[46:47]
	v_pk_mul_f32 v[60:61], v[60:61], v[136:137]
	v_dot4c_i32_i8_e32 v42, v236, v14
	v_dot4c_i32_i8_e32 v44, v250, v1
	;; [unrolled: 1-line block ×4, first 2 shown]
	v_pk_fma_f32 v[46:47], v[46:47], v[134:135], v[60:61] neg_lo:[0,0,1] neg_hi:[0,0,1]
	v_dot4c_i32_i8_e32 v42, v237, v15
	v_dot4c_i32_i8_e32 v44, v251, v2
	;; [unrolled: 1-line block ×4, first 2 shown]
	v_pk_add_f32 v[20:21], v[20:21], v[46:47]
	v_dot4c_i32_i8_e32 v44, v252, v3
	v_mul_lo_u32 v46, v255, v230
	v_mul_lo_u32 v42, v42, v230
	v_dot4c_i32_i8_e32 v150, v196, v15
	v_dot4c_i32_i8_e32 v8, v186, v2
	v_cvt_f32_i32_e32 v47, v42
	v_cvt_f32_i32_e32 v46, v46
	v_mul_lo_u32 v42, v43, v249
	v_mul_lo_u32 v43, v44, v249
	v_dot4c_i32_i8_e32 v8, v187, v3
	v_mul_lo_u32 v0, v254, v182
	v_mul_lo_u32 v1, v150, v182
	v_cvt_f32_i32_e32 v43, v43
	v_cvt_f32_i32_e32 v42, v42
	;; [unrolled: 1-line block ×4, first 2 shown]
	v_mul_lo_u32 v4, v253, v181
	v_mul_lo_u32 v5, v8, v181
	v_cvt_f32_i32_e32 v5, v5
	v_cvt_f32_i32_e32 v4, v4
	v_pk_fma_f32 v[46:47], v[46:47], v[168:169], 0 op_sel_hi:[1,1,0]
	v_pk_fma_f32 v[60:61], v[156:157], v[166:167], 0 op_sel_hi:[0,1,0]
	;; [unrolled: 1-line block ×3, first 2 shown]
	v_pk_fma_f32 v[42:43], v[42:43], v[164:165], v[46:47]
	v_pk_fma_f32 v[46:47], v[160:161], v[162:163], v[60:61] op_sel_hi:[0,1,1]
	v_pk_fma_f32 v[0:1], v[0:1], v[168:169], 0 op_sel_hi:[1,1,0]
	;; [unrolled: 1-line block ×3, first 2 shown]
	v_pk_mul_f32 v[46:47], v[46:47], v[140:141]
	v_pk_fma_f32 v[0:1], v[4:5], v[164:165], v[0:1]
	v_pk_mul_f32 v[2:3], v[2:3], v[144:145]
	v_pk_fma_f32 v[42:43], v[42:43], v[138:139], v[46:47] neg_lo:[0,0,1] neg_hi:[0,0,1]
	v_pk_fma_f32 v[0:1], v[0:1], v[142:143], v[2:3] neg_lo:[0,0,1] neg_hi:[0,0,1]
	s_add_i32 s0, s0, 8
	s_add_i32 s17, s16, 8
	;; [unrolled: 1-line block ×4, first 2 shown]
	v_pk_add_f32 v[18:19], v[18:19], v[42:43]
	v_pk_add_f32 v[16:17], v[16:17], v[0:1]
	v_add_u32_e32 v180, 32, v180
	v_add_u32_e32 v179, 8, v179
	;; [unrolled: 1-line block ×3, first 2 shown]
	s_cmp_lt_u32 s16, 24
	s_mov_b32 s16, s17
	s_cbranch_scc1 .LBB132_8
; %bb.9:                                ;   in Loop: Header=BB132_5 Depth=1
	s_add_i32 s9, s9, 1
	s_cmp_eq_u32 s9, s4
	s_barrier
	s_cbranch_scc0 .LBB132_5
; %bb.10:
	scratch_load_dword v1, off, off offset:80 ; 4-byte Folded Reload
	scratch_load_dword v2, off, off offset:84 ; 4-byte Folded Reload
.LBB132_11:
	s_waitcnt vmcnt(0)
	v_cmp_gt_u32_e32 vcc, s10, v2
	s_and_saveexec_b64 s[0:1], vcc
	s_cbranch_execz .LBB132_62
; %bb.12:
	v_add_u32_e32 v0, s6, v37
	v_mul_lo_u32 v5, v2, s14
	v_cmp_gt_u32_e32 vcc, s14, v0
	s_and_saveexec_b64 s[0:1], vcc
	s_cbranch_execz .LBB132_14
; %bb.13:
	v_add_u32_e32 v2, v0, v5
	v_mov_b32_e32 v3, 0
	s_waitcnt lgkmcnt(0)
	v_lshl_add_u64 v[2:3], v[2:3], 2, s[12:13]
	global_store_dword v[2:3], v74, off
.LBB132_14:
	s_or_b64 exec, exec, s[0:1]
	v_add_u32_e32 v2, 32, v0
	v_cmp_gt_u32_e64 s[0:1], s14, v2
	s_and_saveexec_b64 s[2:3], s[0:1]
	s_cbranch_execz .LBB132_16
; %bb.15:
	v_add_u32_e32 v6, v2, v5
	v_mov_b32_e32 v7, 0
	s_waitcnt lgkmcnt(0)
	v_lshl_add_u64 v[6:7], v[6:7], 2, s[12:13]
	global_store_dword v[6:7], v78, off
.LBB132_16:
	s_or_b64 exec, exec, s[2:3]
	v_add_u32_e32 v3, 64, v0
	v_cmp_gt_u32_e64 s[2:3], s14, v3
	s_and_saveexec_b64 s[4:5], s[2:3]
	;; [unrolled: 12-line block ×3, first 2 shown]
	s_cbranch_execz .LBB132_20
; %bb.19:
	v_add_u32_e32 v6, v4, v5
	v_mov_b32_e32 v7, 0
	s_waitcnt lgkmcnt(0)
	v_lshl_add_u64 v[6:7], v[6:7], 2, s[12:13]
	global_store_dword v[6:7], v72, off
.LBB132_20:
	s_or_b64 exec, exec, s[6:7]
	v_add3_u32 v5, v1, s15, 8
	v_cmp_gt_u32_e64 s[6:7], s10, v5
	s_and_b64 exec, exec, s[6:7]
	s_cbranch_execz .LBB132_62
; %bb.21:
	v_mul_lo_u32 v5, v5, s14
	s_and_saveexec_b64 s[6:7], vcc
	s_cbranch_execnz .LBB132_63
; %bb.22:
	s_or_b64 exec, exec, s[6:7]
	s_and_saveexec_b64 s[6:7], s[0:1]
	s_cbranch_execnz .LBB132_64
.LBB132_23:
	s_or_b64 exec, exec, s[6:7]
	s_and_saveexec_b64 s[6:7], s[2:3]
	s_cbranch_execnz .LBB132_65
.LBB132_24:
	s_or_b64 exec, exec, s[6:7]
	s_and_saveexec_b64 s[6:7], s[4:5]
	s_cbranch_execz .LBB132_26
.LBB132_25:
	v_add_u32_e32 v6, v5, v4
	v_mov_b32_e32 v7, 0
	s_waitcnt lgkmcnt(0)
	v_lshl_add_u64 v[6:7], v[6:7], 2, s[12:13]
	global_store_dword v[6:7], v73, off
.LBB132_26:
	s_or_b64 exec, exec, s[6:7]
	v_add3_u32 v5, v1, s15, 16
	v_cmp_gt_u32_e64 s[6:7], s10, v5
	s_and_b64 exec, exec, s[6:7]
	s_cbranch_execz .LBB132_62
; %bb.27:
	v_mul_lo_u32 v5, v5, s14
	s_and_saveexec_b64 s[6:7], vcc
	s_cbranch_execnz .LBB132_66
; %bb.28:
	s_or_b64 exec, exec, s[6:7]
	s_and_saveexec_b64 s[6:7], s[0:1]
	s_cbranch_execnz .LBB132_67
.LBB132_29:
	s_or_b64 exec, exec, s[6:7]
	s_and_saveexec_b64 s[6:7], s[2:3]
	s_cbranch_execnz .LBB132_68
.LBB132_30:
	s_or_b64 exec, exec, s[6:7]
	s_and_saveexec_b64 s[6:7], s[4:5]
	s_cbranch_execz .LBB132_32
.LBB132_31:
	v_add_u32_e32 v6, v5, v4
	v_mov_b32_e32 v7, 0
	s_waitcnt lgkmcnt(0)
	v_lshl_add_u64 v[6:7], v[6:7], 2, s[12:13]
	global_store_dword v[6:7], v32, off
.LBB132_32:
	s_or_b64 exec, exec, s[6:7]
	v_add3_u32 v5, v1, s15, 24
	v_cmp_gt_u32_e64 s[6:7], s10, v5
	s_and_b64 exec, exec, s[6:7]
	s_cbranch_execz .LBB132_62
; %bb.33:
	v_mul_lo_u32 v5, v5, s14
	s_and_saveexec_b64 s[6:7], vcc
	s_cbranch_execnz .LBB132_69
; %bb.34:
	s_or_b64 exec, exec, s[6:7]
	s_and_saveexec_b64 s[6:7], s[0:1]
	s_cbranch_execnz .LBB132_70
.LBB132_35:
	s_or_b64 exec, exec, s[6:7]
	s_and_saveexec_b64 s[6:7], s[2:3]
	s_cbranch_execnz .LBB132_71
.LBB132_36:
	s_or_b64 exec, exec, s[6:7]
	s_and_saveexec_b64 s[6:7], s[4:5]
	s_cbranch_execz .LBB132_38
.LBB132_37:
	v_add_u32_e32 v6, v5, v4
	v_mov_b32_e32 v7, 0
	s_waitcnt lgkmcnt(0)
	v_lshl_add_u64 v[6:7], v[6:7], 2, s[12:13]
	global_store_dword v[6:7], v33, off
.LBB132_38:
	s_or_b64 exec, exec, s[6:7]
	v_add3_u32 v5, v1, s15, 32
	v_cmp_gt_u32_e64 s[6:7], s10, v5
	s_and_b64 exec, exec, s[6:7]
	s_cbranch_execz .LBB132_62
; %bb.39:
	v_mul_lo_u32 v5, v5, s14
	s_and_saveexec_b64 s[6:7], vcc
	s_cbranch_execnz .LBB132_72
; %bb.40:
	s_or_b64 exec, exec, s[6:7]
	s_and_saveexec_b64 s[6:7], s[0:1]
	s_cbranch_execnz .LBB132_73
.LBB132_41:
	s_or_b64 exec, exec, s[6:7]
	s_and_saveexec_b64 s[6:7], s[2:3]
	s_cbranch_execnz .LBB132_74
.LBB132_42:
	s_or_b64 exec, exec, s[6:7]
	s_and_saveexec_b64 s[6:7], s[4:5]
	s_cbranch_execz .LBB132_44
.LBB132_43:
	v_add_u32_e32 v6, v5, v4
	v_mov_b32_e32 v7, 0
	s_waitcnt lgkmcnt(0)
	v_lshl_add_u64 v[6:7], v[6:7], 2, s[12:13]
	global_store_dword v[6:7], v24, off
.LBB132_44:
	s_or_b64 exec, exec, s[6:7]
	v_add3_u32 v5, v1, s15, 40
	v_cmp_gt_u32_e64 s[6:7], s10, v5
	s_and_b64 exec, exec, s[6:7]
	s_cbranch_execz .LBB132_62
; %bb.45:
	v_mul_lo_u32 v5, v5, s14
	s_and_saveexec_b64 s[6:7], vcc
	s_cbranch_execnz .LBB132_75
; %bb.46:
	s_or_b64 exec, exec, s[6:7]
	s_and_saveexec_b64 s[6:7], s[0:1]
	s_cbranch_execnz .LBB132_76
.LBB132_47:
	s_or_b64 exec, exec, s[6:7]
	s_and_saveexec_b64 s[6:7], s[2:3]
	s_cbranch_execnz .LBB132_77
.LBB132_48:
	s_or_b64 exec, exec, s[6:7]
	s_and_saveexec_b64 s[6:7], s[4:5]
	s_cbranch_execz .LBB132_50
.LBB132_49:
	v_add_u32_e32 v6, v5, v4
	v_mov_b32_e32 v7, 0
	s_waitcnt lgkmcnt(0)
	v_lshl_add_u64 v[6:7], v[6:7], 2, s[12:13]
	global_store_dword v[6:7], v25, off
.LBB132_50:
	s_or_b64 exec, exec, s[6:7]
	v_add3_u32 v5, v1, s15, 48
	v_cmp_gt_u32_e64 s[6:7], s10, v5
	s_and_b64 exec, exec, s[6:7]
	s_cbranch_execz .LBB132_62
; %bb.51:
	v_mul_lo_u32 v5, v5, s14
	s_and_saveexec_b64 s[6:7], vcc
	s_cbranch_execnz .LBB132_78
; %bb.52:
	s_or_b64 exec, exec, s[6:7]
	s_and_saveexec_b64 s[6:7], s[0:1]
	s_cbranch_execnz .LBB132_79
.LBB132_53:
	s_or_b64 exec, exec, s[6:7]
	s_and_saveexec_b64 s[6:7], s[2:3]
	s_cbranch_execnz .LBB132_80
.LBB132_54:
	s_or_b64 exec, exec, s[6:7]
	s_and_saveexec_b64 s[6:7], s[4:5]
	s_cbranch_execz .LBB132_56
.LBB132_55:
	v_add_u32_e32 v6, v5, v4
	v_mov_b32_e32 v7, 0
	s_waitcnt lgkmcnt(0)
	v_lshl_add_u64 v[6:7], v[6:7], 2, s[12:13]
	global_store_dword v[6:7], v16, off
.LBB132_56:
	s_or_b64 exec, exec, s[6:7]
	v_add3_u32 v1, v1, s15, 56
	v_cmp_gt_u32_e64 s[6:7], s10, v1
	s_and_b64 exec, exec, s[6:7]
	s_cbranch_execz .LBB132_62
; %bb.57:
	v_mul_lo_u32 v1, v1, s14
	s_and_saveexec_b64 s[6:7], vcc
	s_cbranch_execnz .LBB132_81
; %bb.58:
	s_or_b64 exec, exec, s[6:7]
	s_and_saveexec_b64 s[6:7], s[0:1]
	s_cbranch_execnz .LBB132_82
.LBB132_59:
	s_or_b64 exec, exec, s[6:7]
	s_and_saveexec_b64 s[0:1], s[2:3]
	s_cbranch_execnz .LBB132_83
.LBB132_60:
	s_or_b64 exec, exec, s[0:1]
	s_and_b64 exec, exec, s[4:5]
	s_cbranch_execz .LBB132_62
.LBB132_61:
	v_add_u32_e32 v0, v1, v4
	v_mov_b32_e32 v1, 0
	s_waitcnt lgkmcnt(0)
	v_lshl_add_u64 v[0:1], v[0:1], 2, s[12:13]
	global_store_dword v[0:1], v17, off
.LBB132_62:
	s_endpgm
.LBB132_63:
	v_add_u32_e32 v6, v5, v0
	v_mov_b32_e32 v7, 0
	s_waitcnt lgkmcnt(0)
	v_lshl_add_u64 v[6:7], v[6:7], 2, s[12:13]
	global_store_dword v[6:7], v75, off
	s_or_b64 exec, exec, s[6:7]
	s_and_saveexec_b64 s[6:7], s[0:1]
	s_cbranch_execz .LBB132_23
.LBB132_64:
	v_add_u32_e32 v6, v5, v2
	v_mov_b32_e32 v7, 0
	s_waitcnt lgkmcnt(0)
	v_lshl_add_u64 v[6:7], v[6:7], 2, s[12:13]
	global_store_dword v[6:7], v79, off
	s_or_b64 exec, exec, s[6:7]
	s_and_saveexec_b64 s[6:7], s[2:3]
	s_cbranch_execz .LBB132_24
.LBB132_65:
	v_add_u32_e32 v6, v5, v3
	v_mov_b32_e32 v7, 0
	s_waitcnt lgkmcnt(0)
	v_lshl_add_u64 v[6:7], v[6:7], 2, s[12:13]
	global_store_dword v[6:7], v77, off
	s_or_b64 exec, exec, s[6:7]
	s_and_saveexec_b64 s[6:7], s[4:5]
	s_cbranch_execnz .LBB132_25
	s_branch .LBB132_26
.LBB132_66:
	v_add_u32_e32 v6, v5, v0
	v_mov_b32_e32 v7, 0
	s_waitcnt lgkmcnt(0)
	v_lshl_add_u64 v[6:7], v[6:7], 2, s[12:13]
	global_store_dword v[6:7], v48, off
	s_or_b64 exec, exec, s[6:7]
	s_and_saveexec_b64 s[6:7], s[0:1]
	s_cbranch_execz .LBB132_29
.LBB132_67:
	v_add_u32_e32 v6, v5, v2
	v_mov_b32_e32 v7, 0
	s_waitcnt lgkmcnt(0)
	v_lshl_add_u64 v[6:7], v[6:7], 2, s[12:13]
	global_store_dword v[6:7], v40, off
	s_or_b64 exec, exec, s[6:7]
	s_and_saveexec_b64 s[6:7], s[2:3]
	s_cbranch_execz .LBB132_30
.LBB132_68:
	v_add_u32_e32 v6, v5, v3
	v_mov_b32_e32 v7, 0
	s_waitcnt lgkmcnt(0)
	v_lshl_add_u64 v[6:7], v[6:7], 2, s[12:13]
	global_store_dword v[6:7], v34, off
	s_or_b64 exec, exec, s[6:7]
	s_and_saveexec_b64 s[6:7], s[4:5]
	s_cbranch_execnz .LBB132_31
	s_branch .LBB132_32
.LBB132_69:
	v_add_u32_e32 v6, v5, v0
	v_mov_b32_e32 v7, 0
	s_waitcnt lgkmcnt(0)
	v_lshl_add_u64 v[6:7], v[6:7], 2, s[12:13]
	global_store_dword v[6:7], v49, off
	s_or_b64 exec, exec, s[6:7]
	s_and_saveexec_b64 s[6:7], s[0:1]
	s_cbranch_execz .LBB132_35
.LBB132_70:
	v_add_u32_e32 v6, v5, v2
	v_mov_b32_e32 v7, 0
	s_waitcnt lgkmcnt(0)
	v_lshl_add_u64 v[6:7], v[6:7], 2, s[12:13]
	global_store_dword v[6:7], v41, off
	s_or_b64 exec, exec, s[6:7]
	s_and_saveexec_b64 s[6:7], s[2:3]
	s_cbranch_execz .LBB132_36
.LBB132_71:
	v_add_u32_e32 v6, v5, v3
	v_mov_b32_e32 v7, 0
	s_waitcnt lgkmcnt(0)
	v_lshl_add_u64 v[6:7], v[6:7], 2, s[12:13]
	global_store_dword v[6:7], v35, off
	s_or_b64 exec, exec, s[6:7]
	s_and_saveexec_b64 s[6:7], s[4:5]
	s_cbranch_execnz .LBB132_37
	s_branch .LBB132_38
.LBB132_72:
	v_add_u32_e32 v6, v5, v0
	v_mov_b32_e32 v7, 0
	s_waitcnt lgkmcnt(0)
	v_lshl_add_u64 v[6:7], v[6:7], 2, s[12:13]
	global_store_dword v[6:7], v30, off
	s_or_b64 exec, exec, s[6:7]
	s_and_saveexec_b64 s[6:7], s[0:1]
	s_cbranch_execz .LBB132_41
.LBB132_73:
	v_add_u32_e32 v6, v5, v2
	v_mov_b32_e32 v7, 0
	s_waitcnt lgkmcnt(0)
	v_lshl_add_u64 v[6:7], v[6:7], 2, s[12:13]
	global_store_dword v[6:7], v28, off
	s_or_b64 exec, exec, s[6:7]
	s_and_saveexec_b64 s[6:7], s[2:3]
	s_cbranch_execz .LBB132_42
.LBB132_74:
	v_add_u32_e32 v6, v5, v3
	v_mov_b32_e32 v7, 0
	s_waitcnt lgkmcnt(0)
	v_lshl_add_u64 v[6:7], v[6:7], 2, s[12:13]
	global_store_dword v[6:7], v26, off
	s_or_b64 exec, exec, s[6:7]
	s_and_saveexec_b64 s[6:7], s[4:5]
	s_cbranch_execnz .LBB132_43
	s_branch .LBB132_44
.LBB132_75:
	v_add_u32_e32 v6, v5, v0
	v_mov_b32_e32 v7, 0
	s_waitcnt lgkmcnt(0)
	v_lshl_add_u64 v[6:7], v[6:7], 2, s[12:13]
	global_store_dword v[6:7], v31, off
	s_or_b64 exec, exec, s[6:7]
	s_and_saveexec_b64 s[6:7], s[0:1]
	s_cbranch_execz .LBB132_47
.LBB132_76:
	v_add_u32_e32 v6, v5, v2
	v_mov_b32_e32 v7, 0
	s_waitcnt lgkmcnt(0)
	v_lshl_add_u64 v[6:7], v[6:7], 2, s[12:13]
	global_store_dword v[6:7], v29, off
	s_or_b64 exec, exec, s[6:7]
	s_and_saveexec_b64 s[6:7], s[2:3]
	s_cbranch_execz .LBB132_48
.LBB132_77:
	v_add_u32_e32 v6, v5, v3
	v_mov_b32_e32 v7, 0
	s_waitcnt lgkmcnt(0)
	v_lshl_add_u64 v[6:7], v[6:7], 2, s[12:13]
	global_store_dword v[6:7], v27, off
	s_or_b64 exec, exec, s[6:7]
	s_and_saveexec_b64 s[6:7], s[4:5]
	s_cbranch_execnz .LBB132_49
	s_branch .LBB132_50
.LBB132_78:
	v_add_u32_e32 v6, v5, v0
	v_mov_b32_e32 v7, 0
	s_waitcnt lgkmcnt(0)
	v_lshl_add_u64 v[6:7], v[6:7], 2, s[12:13]
	global_store_dword v[6:7], v22, off
	s_or_b64 exec, exec, s[6:7]
	s_and_saveexec_b64 s[6:7], s[0:1]
	s_cbranch_execz .LBB132_53
.LBB132_79:
	v_add_u32_e32 v6, v5, v2
	v_mov_b32_e32 v7, 0
	s_waitcnt lgkmcnt(0)
	v_lshl_add_u64 v[6:7], v[6:7], 2, s[12:13]
	global_store_dword v[6:7], v20, off
	s_or_b64 exec, exec, s[6:7]
	s_and_saveexec_b64 s[6:7], s[2:3]
	s_cbranch_execz .LBB132_54
.LBB132_80:
	v_add_u32_e32 v6, v5, v3
	v_mov_b32_e32 v7, 0
	s_waitcnt lgkmcnt(0)
	v_lshl_add_u64 v[6:7], v[6:7], 2, s[12:13]
	global_store_dword v[6:7], v18, off
	s_or_b64 exec, exec, s[6:7]
	s_and_saveexec_b64 s[6:7], s[4:5]
	s_cbranch_execnz .LBB132_55
	s_branch .LBB132_56
.LBB132_81:
	v_add_u32_e32 v6, v1, v0
	v_mov_b32_e32 v7, 0
	s_waitcnt lgkmcnt(0)
	v_lshl_add_u64 v[6:7], v[6:7], 2, s[12:13]
	global_store_dword v[6:7], v23, off
	s_or_b64 exec, exec, s[6:7]
	s_and_saveexec_b64 s[6:7], s[0:1]
	s_cbranch_execz .LBB132_59
.LBB132_82:
	v_add_u32_e32 v6, v1, v2
	v_mov_b32_e32 v7, 0
	s_waitcnt lgkmcnt(0)
	v_lshl_add_u64 v[6:7], v[6:7], 2, s[12:13]
	global_store_dword v[6:7], v21, off
	s_or_b64 exec, exec, s[6:7]
	s_and_saveexec_b64 s[0:1], s[2:3]
	s_cbranch_execz .LBB132_60
.LBB132_83:
	v_add_u32_e32 v2, v1, v3
	v_mov_b32_e32 v3, 0
	s_waitcnt lgkmcnt(0)
	v_lshl_add_u64 v[2:3], v[2:3], 2, s[12:13]
	global_store_dword v[2:3], v19, off
	s_or_b64 exec, exec, s[0:1]
	s_and_b64 exec, exec, s[4:5]
	s_cbranch_execnz .LBB132_61
	s_branch .LBB132_62
	.section	.rodata,"a",@progbits
	.p2align	6, 0x0
	.amdhsa_kernel _ZL12mul_mat_q4_KIfLb1EEvPKvS1_PT_iiiii
		.amdhsa_group_segment_fixed_size 28752
		.amdhsa_private_segment_fixed_size 92
		.amdhsa_kernarg_size 44
		.amdhsa_user_sgpr_count 2
		.amdhsa_user_sgpr_dispatch_ptr 0
		.amdhsa_user_sgpr_queue_ptr 0
		.amdhsa_user_sgpr_kernarg_segment_ptr 1
		.amdhsa_user_sgpr_dispatch_id 0
		.amdhsa_user_sgpr_kernarg_preload_length 0
		.amdhsa_user_sgpr_kernarg_preload_offset 0
		.amdhsa_user_sgpr_private_segment_size 0
		.amdhsa_uses_dynamic_stack 0
		.amdhsa_enable_private_segment 1
		.amdhsa_system_sgpr_workgroup_id_x 1
		.amdhsa_system_sgpr_workgroup_id_y 1
		.amdhsa_system_sgpr_workgroup_id_z 0
		.amdhsa_system_sgpr_workgroup_info 0
		.amdhsa_system_vgpr_workitem_id 1
		.amdhsa_next_free_vgpr 256
		.amdhsa_next_free_sgpr 96
		.amdhsa_accum_offset 256
		.amdhsa_reserve_vcc 1
		.amdhsa_float_round_mode_32 0
		.amdhsa_float_round_mode_16_64 0
		.amdhsa_float_denorm_mode_32 3
		.amdhsa_float_denorm_mode_16_64 3
		.amdhsa_dx10_clamp 1
		.amdhsa_ieee_mode 1
		.amdhsa_fp16_overflow 0
		.amdhsa_tg_split 0
		.amdhsa_exception_fp_ieee_invalid_op 0
		.amdhsa_exception_fp_denorm_src 0
		.amdhsa_exception_fp_ieee_div_zero 0
		.amdhsa_exception_fp_ieee_overflow 0
		.amdhsa_exception_fp_ieee_underflow 0
		.amdhsa_exception_fp_ieee_inexact 0
		.amdhsa_exception_int_div_zero 0
	.end_amdhsa_kernel
	.section	.text._ZL12mul_mat_q4_KIfLb1EEvPKvS1_PT_iiiii,"axG",@progbits,_ZL12mul_mat_q4_KIfLb1EEvPKvS1_PT_iiiii,comdat
.Lfunc_end132:
	.size	_ZL12mul_mat_q4_KIfLb1EEvPKvS1_PT_iiiii, .Lfunc_end132-_ZL12mul_mat_q4_KIfLb1EEvPKvS1_PT_iiiii
                                        ; -- End function
	.set _ZL12mul_mat_q4_KIfLb1EEvPKvS1_PT_iiiii.num_vgpr, 256
	.set _ZL12mul_mat_q4_KIfLb1EEvPKvS1_PT_iiiii.num_agpr, 0
	.set _ZL12mul_mat_q4_KIfLb1EEvPKvS1_PT_iiiii.numbered_sgpr, 20
	.set _ZL12mul_mat_q4_KIfLb1EEvPKvS1_PT_iiiii.num_named_barrier, 0
	.set _ZL12mul_mat_q4_KIfLb1EEvPKvS1_PT_iiiii.private_seg_size, 92
	.set _ZL12mul_mat_q4_KIfLb1EEvPKvS1_PT_iiiii.uses_vcc, 1
	.set _ZL12mul_mat_q4_KIfLb1EEvPKvS1_PT_iiiii.uses_flat_scratch, 0
	.set _ZL12mul_mat_q4_KIfLb1EEvPKvS1_PT_iiiii.has_dyn_sized_stack, 0
	.set _ZL12mul_mat_q4_KIfLb1EEvPKvS1_PT_iiiii.has_recursion, 0
	.set _ZL12mul_mat_q4_KIfLb1EEvPKvS1_PT_iiiii.has_indirect_call, 0
	.section	.AMDGPU.csdata,"",@progbits
; Kernel info:
; codeLenInByte = 16944
; TotalNumSgprs: 26
; NumVgprs: 256
; NumAgprs: 0
; TotalNumVgprs: 256
; ScratchSize: 92
; MemoryBound: 0
; FloatMode: 240
; IeeeMode: 1
; LDSByteSize: 28752 bytes/workgroup (compile time only)
; SGPRBlocks: 12
; VGPRBlocks: 31
; NumSGPRsForWavesPerEU: 102
; NumVGPRsForWavesPerEU: 256
; AccumOffset: 256
; Occupancy: 2
; WaveLimiterHint : 0
; COMPUTE_PGM_RSRC2:SCRATCH_EN: 1
; COMPUTE_PGM_RSRC2:USER_SGPR: 2
; COMPUTE_PGM_RSRC2:TRAP_HANDLER: 0
; COMPUTE_PGM_RSRC2:TGID_X_EN: 1
; COMPUTE_PGM_RSRC2:TGID_Y_EN: 1
; COMPUTE_PGM_RSRC2:TGID_Z_EN: 0
; COMPUTE_PGM_RSRC2:TIDIG_COMP_CNT: 1
; COMPUTE_PGM_RSRC3_GFX90A:ACCUM_OFFSET: 63
; COMPUTE_PGM_RSRC3_GFX90A:TG_SPLIT: 0
	.section	.text._ZL12mul_mat_q5_KIfLb0EEvPKvS1_PT_iiiii,"axG",@progbits,_ZL12mul_mat_q5_KIfLb0EEvPKvS1_PT_iiiii,comdat
	.globl	_ZL12mul_mat_q5_KIfLb0EEvPKvS1_PT_iiiii ; -- Begin function _ZL12mul_mat_q5_KIfLb0EEvPKvS1_PT_iiiii
	.p2align	8
	.type	_ZL12mul_mat_q5_KIfLb0EEvPKvS1_PT_iiiii,@function
_ZL12mul_mat_q5_KIfLb0EEvPKvS1_PT_iiiii: ; @_ZL12mul_mat_q5_KIfLb0EEvPKvS1_PT_iiiii
; %bb.0:
	s_load_dword s7, s[0:1], 0x18
	s_load_dwordx4 s[8:11], s[0:1], 0x20
	s_waitcnt lgkmcnt(0)
	s_lshl_b32 s11, s3, 6
	v_bfe_u32 v55, v0, 10, 10
	s_cmpk_gt_i32 s7, 0xff
	s_cbranch_scc1 .LBB133_2
; %bb.1:
	v_bfe_u32 v1, v0, 10, 10
	v_and_b32_e32 v45, 0x3ff, v0
	v_add_u32_e32 v57, s11, v1
	s_mov_b64 s[4:5], 0
	s_branch .LBB133_3
.LBB133_2:
	s_mov_b64 s[4:5], -1
                                        ; implicit-def: $vgpr1
                                        ; implicit-def: $vgpr45
                                        ; implicit-def: $vgpr57
.LBB133_3:
	s_load_dwordx2 s[12:13], s[0:1], 0x10
	s_lshl_b32 s6, s2, 7
	v_mov_b32_e32 v17, 0
	s_andn2_b64 vcc, exec, s[4:5]
	v_mov_b32_e32 v16, 0
	v_mov_b32_e32 v25, 0
	;; [unrolled: 1-line block ×31, first 2 shown]
	s_cbranch_vccnz .LBB133_11
; %bb.4:
	s_ashr_i32 s4, s7, 31
	s_load_dwordx4 s[0:3], s[0:1], 0x0
	s_lshr_b32 s4, s4, 24
	s_add_i32 s7, s7, s4
	s_ashr_i32 s5, s9, 31
	s_ashr_i32 s4, s7, 8
	s_lshr_b32 s5, s5, 27
	s_add_i32 s5, s9, s5
	s_mul_i32 s7, s4, s6
	s_ashr_i32 s15, s5, 5
	s_mul_hi_i32 s9, s7, 0xb0
	s_mulk_i32 s7, 0xb0
	v_and_b32_e32 v45, 0x3ff, v0
	v_and_b32_e32 v2, 7, v0
	s_waitcnt lgkmcnt(0)
	s_add_u32 s7, s0, s7
	v_lshlrev_b32_e32 v5, 3, v45
	v_lshlrev_b32_e32 v2, 2, v2
	s_movk_i32 s0, 0xc0
	s_addc_u32 s9, s1, s9
	v_mul_u32_u24_e32 v4, 0x41, v55
	v_and_or_b32 v2, v5, s0, v2
	s_lshl_b32 s0, s4, 3
	v_lshl_add_u32 v63, v4, 2, v2
	v_mov_b32_e32 v2, s0
	v_mad_i32_i24 v54, s4, v55, v2
	v_add_u32_e32 v56, s0, v54
	v_add_u32_e32 v58, s0, v56
	;; [unrolled: 1-line block ×5, first 2 shown]
	v_lshlrev_b32_e32 v65, 5, v55
	v_add_u32_e32 v66, s0, v64
	v_add_u32_e32 v2, v65, v45
	;; [unrolled: 1-line block ×3, first 2 shown]
	v_and_b32_e32 v4, 0x7f, v2
	v_lshrrev_b32_e32 v2, 3, v2
	v_add_u32_e32 v70, s0, v68
	v_mul_i32_i24_e32 v84, s4, v4
	v_and_b32_e32 v2, 12, v2
	v_lshlrev_b32_e32 v4, 2, v4
	s_mov_b32 s16, 0xae40
	v_add_u32_e32 v72, s0, v70
	v_add3_u32 v67, v4, v2, s16
	v_and_b32_e32 v2, 3, v0
	v_add_u32_e32 v74, s0, v72
	v_add_u32_e32 v4, 0xfe, v2
	v_bfe_u32 v1, v0, 2, 8
	v_add_u32_e32 v76, s0, v74
	v_lshlrev_b32_e32 v8, 3, v55
	v_and_b32_e32 v4, 0xff, v4
	v_cmp_gt_u32_e32 vcc, 2, v2
	v_and_b32_e32 v59, 6, v1
	v_add_u32_e32 v78, s0, v76
	v_add_u32_e32 v15, v1, v8
	v_cndmask_b32_e32 v9, v4, v2, vcc
	v_cmp_ne_u32_e32 vcc, 0, v2
	v_add_u16_e32 v1, v1, v8
	v_add_u32_e32 v80, s0, v78
	v_addc_co_u32_e32 v4, vcc, 0, v9, vcc
	v_lshlrev_b32_e32 v71, 1, v9
	v_and_b32_e32 v9, 0x7f, v15
	v_lshlrev_b32_e32 v16, 2, v2
	v_lshrrev_b16_e32 v1, 1, v1
	v_add_u32_e32 v82, s0, v80
	v_mul_i32_i24_e32 v86, s4, v9
	v_lshl_or_b32 v9, v9, 4, v16
	v_and_b32_e32 v1, 60, v1
	s_mov_b32 s0, 0xa200
	v_add3_u32 v73, v9, v1, s0
	v_mov_b32_e32 v1, 0x7f
	v_bitop3_b32 v1, v15, 64, v1 bitop3:0x6c
	v_mul_i32_i24_e32 v88, s4, v1
	v_lshl_or_b32 v8, v1, 4, v16
	v_lshrrev_b32_e32 v1, 1, v1
	v_and_b32_e32 v1, 60, v1
	v_add3_u32 v75, v8, v1, s0
	v_and_b32_e32 v1, 31, v0
	v_mov_b32_e32 v17, 0x8200
	v_lshl_or_b32 v17, v1, 2, v17
	v_and_b32_e32 v1, 63, v15
	v_add_u32_e32 v57, s11, v55
	s_add_i32 s0, s8, -1
	v_or_b32_e32 v15, s11, v1
	v_lshl_or_b32 v1, v1, 4, v16
	v_bfe_u32 v44, v0, 5, 5
	v_cvt_f64_i32_e32 v[8:9], s0
	v_add_u32_e32 v77, 0xaa40, v1
	v_bfe_u32 v79, v0, 3, 7
	v_cvt_f64_u32_e32 v[0:1], v57
	v_min_f64 v[0:1], v[0:1], v[8:9]
	v_cvt_i32_f64_e32 v0, v[0:1]
	v_mul_lo_u32 v81, s15, v0
	v_add_u32_e32 v0, 8, v57
	v_cvt_f64_u32_e32 v[0:1], v0
	v_min_f64 v[0:1], v[0:1], v[8:9]
	v_cvt_i32_f64_e32 v0, v[0:1]
	v_mul_lo_u32 v83, s15, v0
	v_add_u32_e32 v0, 16, v57
	;; [unrolled: 5-line block ×5, first 2 shown]
	v_cvt_f64_u32_e32 v[0:1], v0
	v_lshlrev_b32_e32 v3, 2, v45
	v_min_i32_e32 v15, s0, v15
	v_min_f64 v[0:1], v[0:1], v[8:9]
	v_mad_u64_u32 v[90:91], s[0:1], v15, s15, v[2:3]
	v_cvt_i32_f64_e32 v0, v[0:1]
	v_mul_lo_u32 v91, s15, v0
	v_add_u32_e32 v0, 48, v57
	v_cvt_f64_u32_e32 v[0:1], v0
	v_min_f64 v[0:1], v[0:1], v[8:9]
	v_cvt_i32_f64_e32 v0, v[0:1]
	v_mul_lo_u32 v115, s15, v0
	v_add_u32_e32 v0, 56, v57
	v_cvt_f64_u32_e32 v[0:1], v0
	v_min_f64 v[0:1], v[0:1], v[8:9]
	v_cvt_i32_f64_e32 v0, v[0:1]
	v_lshlrev_b32_e32 v1, 2, v44
	v_add3_u32 v139, v1, v3, s16
	v_add_u32_e32 v1, 32, v45
	v_lshrrev_b32_e32 v141, 3, v1
	v_lshlrev_b32_e32 v8, 2, v1
	v_and_b32_e32 v1, 60, v141
	v_add3_u32 v202, v3, v1, s16
	v_add_u32_e32 v1, 64, v45
	v_lshlrev_b32_e32 v9, 2, v1
	v_lshrrev_b32_e32 v1, 3, v1
	v_add_u32_e32 v5, 8, v55
	v_and_b32_e32 v22, 60, v1
	v_lshlrev_b32_e32 v15, 7, v5
	v_add3_u32 v203, v3, v22, s16
	v_add_u32_e32 v22, 0x60, v45
	v_lshlrev_b32_e32 v205, 5, v5
	s_movk_i32 s0, 0x104
	v_mov_b32_e32 v5, 0x2080
	v_mov_b32_e32 v49, 0
	v_add_u32_e32 v7, 16, v55
	v_add_u32_e32 v10, 24, v55
	;; [unrolled: 1-line block ×6, first 2 shown]
	v_and_b32_e32 v6, 4, v3
	v_cmp_lt_u32_e32 vcc, 1, v2
	v_lshlrev_b32_e32 v23, 2, v22
	v_lshrrev_b32_e32 v22, 3, v22
	v_mad_u32_u24 v213, v45, s0, v5
	v_mov_b32_e32 v5, 0x4100
	v_and_b32_e32 v50, 28, v3
	v_mov_b32_e32 v51, v49
	v_cndmask_b32_e32 v69, 0, v6, vcc
	v_cndmask_b32_e64 v6, 0, 1, vcc
	v_lshlrev_b32_e32 v2, 7, v55
	v_lshlrev_b32_e32 v16, 7, v7
	;; [unrolled: 1-line block ×6, first 2 shown]
	v_mul_lo_u32 v117, s15, v0
	v_lshlrev_b32_e32 v0, 7, v14
	v_and_b32_e32 v24, 60, v22
	v_mad_u32_u24 v214, v45, s0, v5
	v_mov_b32_e32 v5, 0x6180
	v_mov_b32_e32 v42, v49
	;; [unrolled: 1-line block ×3, first 2 shown]
	s_movk_i32 s5, 0xb0
	s_mov_b32 s14, 0
	v_and_b32_e32 v48, 0x7c, v3
	v_or_b32_e32 v61, 1, v59
	v_add3_u32 v204, v3, v24, s16
	v_lshlrev_b32_e32 v206, 5, v7
	v_lshlrev_b32_e32 v207, 5, v10
	;; [unrolled: 1-line block ×6, first 2 shown]
	v_mul_u32_u24_e32 v212, 0x104, v45
	v_mad_u32_u24 v215, v45, s0, v5
	v_lshl_add_u64 v[92:93], s[2:3], 0, v[50:51]
	s_mov_b32 s15, 0x10101010
	v_lshlrev_b32_e32 v94, 2, v4
	v_mov_b32_e32 v95, v49
	v_lshlrev_b32_e32 v96, 2, v6
	v_mov_b32_e32 v97, v49
	s_mov_b32 s16, 0x30303030
	v_add_u32_e32 v216, v17, v2
	v_add_u32_e32 v217, v17, v15
	;; [unrolled: 1-line block ×13, first 2 shown]
	v_lshlrev_b32_e32 v229, 2, v79
	v_lshlrev_b32_e32 v230, 2, v3
	;; [unrolled: 1-line block ×8, first 2 shown]
	v_mov_b64_e32 v[38:39], v[42:43]
	v_mov_b64_e32 v[30:31], v[42:43]
	;; [unrolled: 1-line block ×15, first 2 shown]
.LBB133_5:                              ; =>This Loop Header: Depth=1
                                        ;     Child Loop BB133_6 Depth 2
                                        ;     Child Loop BB133_8 Depth 2
	s_mul_i32 s0, s14, 0xb0
	s_mul_hi_u32 s1, s14, 0xb0
	s_add_u32 s0, s7, s0
	s_addc_u32 s1, s9, s1
	v_mov_b64_e32 v[0:1], s[0:1]
	v_mad_u64_u32 v[2:3], s[0:1], v44, s5, v[0:1]
	v_mul_i32_i24_e32 v4, s4, v55
	v_mad_u64_u32 v[4:5], s[0:1], v4, s5, v[2:3]
	v_lshl_add_u64 v[6:7], v[4:5], 0, v[48:49]
	global_load_dword v98, v[6:7], off offset:48
	v_lshl_add_u64 v[4:5], v[4:5], 0, v[50:51]
	v_mad_u64_u32 v[6:7], s[0:1], v54, s5, v[2:3]
	v_lshl_add_u64 v[8:9], v[6:7], 0, v[48:49]
	v_lshl_add_u64 v[6:7], v[6:7], 0, v[50:51]
	global_load_dword v99, v[4:5], off offset:16
	global_load_dword v100, v[8:9], off offset:48
	;; [unrolled: 1-line block ×3, first 2 shown]
	v_mad_u64_u32 v[4:5], s[0:1], v56, s5, v[2:3]
	v_lshl_add_u64 v[6:7], v[4:5], 0, v[48:49]
	v_lshl_add_u64 v[4:5], v[4:5], 0, v[50:51]
	global_load_dword v102, v[6:7], off offset:48
	global_load_dword v103, v[4:5], off offset:16
	v_mad_u64_u32 v[4:5], s[0:1], v58, s5, v[2:3]
	v_lshl_add_u64 v[6:7], v[4:5], 0, v[48:49]
	v_lshl_add_u64 v[4:5], v[4:5], 0, v[50:51]
	global_load_dword v104, v[6:7], off offset:48
	global_load_dword v105, v[4:5], off offset:16
	v_mad_u64_u32 v[4:5], s[0:1], v60, s5, v[2:3]
	v_lshl_add_u64 v[6:7], v[4:5], 0, v[48:49]
	v_lshl_add_u64 v[4:5], v[4:5], 0, v[50:51]
	global_load_dword v106, v[6:7], off offset:48
	global_load_dword v107, v[4:5], off offset:16
	v_mad_u64_u32 v[4:5], s[0:1], v62, s5, v[2:3]
	v_lshl_add_u64 v[6:7], v[4:5], 0, v[48:49]
	v_lshl_add_u64 v[4:5], v[4:5], 0, v[50:51]
	global_load_dword v109, v[6:7], off offset:48
	global_load_dword v110, v[4:5], off offset:16
	v_mad_u64_u32 v[4:5], s[0:1], v64, s5, v[2:3]
	v_lshl_add_u64 v[10:11], v[4:5], 0, v[48:49]
	v_lshl_add_u64 v[4:5], v[4:5], 0, v[50:51]
	global_load_dword v111, v[10:11], off offset:48
	global_load_dword v112, v[4:5], off offset:16
	v_mad_u64_u32 v[6:7], s[0:1], v66, s5, v[2:3]
	v_mad_u64_u32 v[8:9], s[0:1], v68, s5, v[2:3]
	v_lshl_add_u64 v[4:5], v[6:7], 0, v[48:49]
	v_lshl_add_u64 v[6:7], v[6:7], 0, v[50:51]
	;; [unrolled: 1-line block ×4, first 2 shown]
	global_load_dword v113, v[4:5], off offset:48
	s_nop 0
	global_load_dword v6, v[6:7], off offset:16
	s_nop 0
	;; [unrolled: 2-line block ×3, first 2 shown]
	global_load_dword v13, v[8:9], off offset:16
	v_mad_u64_u32 v[10:11], s[0:1], v70, s5, v[2:3]
	v_add_u32_e32 v108, 0x800, v63
	v_lshl_add_u64 v[14:15], v[10:11], 0, v[48:49]
	s_lshl_b32 s17, s14, 3
	v_add_u32_e32 v149, s17, v90
	s_mov_b32 s19, 0
	s_waitcnt vmcnt(17)
	v_lshrrev_b32_e32 v5, 4, v98
	v_and_b32_e32 v4, 0xf0f0f0f, v98
	v_and_b32_e32 v5, 0xf0f0f0f, v5
	s_waitcnt vmcnt(16)
	v_ashrrev_i32_e32 v7, v59, v99
	v_ashrrev_i32_e32 v8, v61, v99
	s_waitcnt vmcnt(15)
	v_and_b32_e32 v9, 0xf0f0f0f, v100
	v_lshrrev_b32_e32 v98, 4, v100
	s_waitcnt vmcnt(14)
	v_ashrrev_i32_e32 v99, v59, v101
	v_ashrrev_i32_e32 v100, v61, v101
	v_lshlrev_b32_e32 v7, 4, v7
	v_lshlrev_b32_e32 v8, 4, v8
	v_and_b32_e32 v98, 0xf0f0f0f, v98
	v_lshlrev_b32_e32 v99, 4, v99
	v_lshlrev_b32_e32 v100, 4, v100
	v_and_or_b32 v4, v7, s15, v4
	v_and_or_b32 v5, v8, s15, v5
	;; [unrolled: 1-line block ×4, first 2 shown]
	ds_write2_b32 v63, v4, v5 offset1:8
	ds_write2_b32 v108, v7, v8 offset0:8 offset1:16
	v_lshl_add_u64 v[4:5], v[10:11], 0, v[50:51]
	global_load_dword v14, v[14:15], off offset:48
	s_nop 0
	global_load_dword v15, v[4:5], off offset:16
	s_waitcnt vmcnt(15)
	v_and_b32_e32 v101, 0xf0f0f0f, v102
	v_lshrrev_b32_e32 v102, 4, v102
	s_waitcnt vmcnt(14)
	v_ashrrev_i32_e32 v114, v59, v103
	v_ashrrev_i32_e32 v103, v61, v103
	v_and_b32_e32 v102, 0xf0f0f0f, v102
	v_lshlrev_b32_e32 v114, 4, v114
	v_lshlrev_b32_e32 v4, 4, v103
	v_and_or_b32 v5, v114, s15, v101
	v_and_or_b32 v4, v4, s15, v102
	v_add_u32_e32 v7, 0x1000, v63
	ds_write2_b32 v7, v5, v4 offset0:16 offset1:24
	s_waitcnt vmcnt(13)
	v_lshrrev_b32_e32 v5, 4, v104
	s_waitcnt vmcnt(12)
	v_ashrrev_i32_e32 v7, v59, v105
	v_ashrrev_i32_e32 v8, v61, v105
	v_and_b32_e32 v4, 0xf0f0f0f, v104
	v_and_b32_e32 v5, 0xf0f0f0f, v5
	v_lshlrev_b32_e32 v7, 4, v7
	v_lshlrev_b32_e32 v8, 4, v8
	v_and_or_b32 v4, v7, s15, v4
	v_and_or_b32 v5, v8, s15, v5
	v_add_u32_e32 v7, 0x1800, v63
	ds_write2_b32 v7, v4, v5 offset0:24 offset1:32
	s_waitcnt vmcnt(11)
	v_lshrrev_b32_e32 v5, 4, v106
	s_waitcnt vmcnt(10)
	v_ashrrev_i32_e32 v7, v59, v107
	v_ashrrev_i32_e32 v8, v61, v107
	v_and_b32_e32 v4, 0xf0f0f0f, v106
	;; [unrolled: 13-line block ×5, first 2 shown]
	v_and_b32_e32 v5, 0xf0f0f0f, v5
	v_lshlrev_b32_e32 v7, 4, v7
	v_lshlrev_b32_e32 v6, 4, v6
	v_and_or_b32 v4, v7, s15, v4
	v_and_or_b32 v5, v6, s15, v5
	v_add_u32_e32 v6, 0x3800, v63
	ds_write2_b32 v6, v4, v5 offset0:56 offset1:64
	v_mad_u64_u32 v[4:5], s[0:1], v72, s5, v[2:3]
	v_lshl_add_u64 v[6:7], v[4:5], 0, v[48:49]
	v_mad_u64_u32 v[8:9], s[0:1], v74, s5, v[2:3]
	v_lshl_add_u64 v[4:5], v[4:5], 0, v[50:51]
	v_lshl_add_u64 v[10:11], v[8:9], 0, v[48:49]
	;; [unrolled: 1-line block ×3, first 2 shown]
	global_load_dword v100, v[6:7], off offset:48
	global_load_dword v101, v[4:5], off offset:16
	;; [unrolled: 1-line block ×4, first 2 shown]
	s_waitcnt vmcnt(7)
	v_lshrrev_b32_e32 v5, 4, v12
	s_waitcnt vmcnt(6)
	v_ashrrev_i32_e32 v6, v59, v13
	v_ashrrev_i32_e32 v7, v61, v13
	v_and_b32_e32 v4, 0xf0f0f0f, v12
	v_and_b32_e32 v5, 0xf0f0f0f, v5
	v_lshlrev_b32_e32 v6, 4, v6
	v_lshlrev_b32_e32 v7, 4, v7
	v_and_or_b32 v4, v6, s15, v4
	v_and_or_b32 v5, v7, s15, v5
	v_add_u32_e32 v6, 0x4000, v63
	ds_write2_b32 v6, v4, v5 offset0:64 offset1:72
	s_waitcnt vmcnt(5)
	v_lshrrev_b32_e32 v5, 4, v14
	s_waitcnt vmcnt(4)
	v_ashrrev_i32_e32 v6, v59, v15
	v_ashrrev_i32_e32 v7, v61, v15
	v_and_b32_e32 v4, 0xf0f0f0f, v14
	v_and_b32_e32 v5, 0xf0f0f0f, v5
	v_lshlrev_b32_e32 v6, 4, v6
	v_lshlrev_b32_e32 v7, 4, v7
	v_and_or_b32 v4, v6, s15, v4
	v_and_or_b32 v5, v7, s15, v5
	v_add_u32_e32 v6, 0x4800, v63
	ds_write2_b32 v6, v4, v5 offset0:72 offset1:80
	v_mad_u64_u32 v[4:5], s[0:1], v76, s5, v[2:3]
	v_mad_u64_u32 v[8:9], s[0:1], v78, s5, v[2:3]
	v_mad_u64_u32 v[12:13], s[0:1], v80, s5, v[2:3]
	v_mad_u64_u32 v[2:3], s[0:1], v82, s5, v[2:3]
	v_lshl_add_u64 v[6:7], v[4:5], 0, v[48:49]
	v_lshl_add_u64 v[98:99], v[2:3], 0, v[48:49]
	;; [unrolled: 1-line block ×8, first 2 shown]
	global_load_dword v104, v[6:7], off offset:48
	global_load_dword v105, v[4:5], off offset:16
	;; [unrolled: 1-line block ×6, first 2 shown]
	s_nop 0
	global_load_dword v98, v[98:99], off offset:48
	s_nop 0
	global_load_dword v99, v[2:3], off offset:16
	v_mad_u64_u32 v[2:3], s[0:1], v84, s5, v[0:1]
	v_mad_u64_u32 v[4:5], s[0:1], v86, s5, v[0:1]
	v_mad_u64_u32 v[0:1], s[0:1], v88, s5, v[0:1]
	v_lshl_add_u64 v[6:7], v[4:5], 0, v[94:95]
	v_lshl_add_u64 v[4:5], v[4:5], 0, v[96:97]
	;; [unrolled: 1-line block ×4, first 2 shown]
	global_load_dword v110, v[2:3], off
	global_load_dword v111, v[6:7], off offset:4
	global_load_dword v112, v[4:5], off offset:4
	;; [unrolled: 1-line block ×4, first 2 shown]
	v_add_u32_e32 v14, s17, v79
	v_add_u32_e32 v0, v14, v81
	;; [unrolled: 1-line block ×6, first 2 shown]
	v_mad_i64_i32 v[0:1], s[0:1], v0, 36, v[92:93]
	v_mad_i64_i32 v[2:3], s[0:1], v2, 36, v[92:93]
	;; [unrolled: 1-line block ×5, first 2 shown]
	v_add_u32_e32 v10, v14, v91
	v_add_u32_e32 v12, v14, v115
	;; [unrolled: 1-line block ×3, first 2 shown]
	v_mad_i64_i32 v[10:11], s[0:1], v10, 36, v[92:93]
	v_mad_i64_i32 v[12:13], s[0:1], v12, 36, v[92:93]
	;; [unrolled: 1-line block ×3, first 2 shown]
	global_load_dword v116, v[0:1], off offset:4
	s_nop 0
	global_load_dword v2, v[2:3], off offset:4
	s_nop 0
	;; [unrolled: 2-line block ×3, first 2 shown]
	global_load_dword v4, v[6:7], off offset:4
	global_load_dword v5, v[8:9], off offset:4
	s_nop 0
	global_load_dword v6, v[10:11], off offset:4
	global_load_dword v7, v[12:13], off offset:4
	;; [unrolled: 1-line block ×3, first 2 shown]
	v_mad_u64_u32 v[0:1], s[0:1], v149, 36, s[2:3]
	global_load_dword v0, v[0:1], off
	s_waitcnt vmcnt(25)
	v_lshrrev_b32_e32 v9, 4, v100
	s_waitcnt vmcnt(24)
	v_ashrrev_i32_e32 v10, v59, v101
	v_ashrrev_i32_e32 v11, v61, v101
	v_and_b32_e32 v1, 0xf0f0f0f, v100
	v_and_b32_e32 v9, 0xf0f0f0f, v9
	v_lshlrev_b32_e32 v10, 4, v10
	v_lshlrev_b32_e32 v11, 4, v11
	v_and_or_b32 v1, v10, s15, v1
	v_and_or_b32 v9, v11, s15, v9
	v_add_u32_e32 v10, 0x5000, v63
	ds_write2_b32 v10, v1, v9 offset0:80 offset1:88
	s_waitcnt vmcnt(23)
	v_lshrrev_b32_e32 v9, 4, v102
	s_waitcnt vmcnt(22)
	v_ashrrev_i32_e32 v10, v59, v103
	v_ashrrev_i32_e32 v11, v61, v103
	v_and_b32_e32 v1, 0xf0f0f0f, v102
	v_and_b32_e32 v9, 0xf0f0f0f, v9
	v_lshlrev_b32_e32 v10, 4, v10
	v_lshlrev_b32_e32 v11, 4, v11
	v_and_or_b32 v1, v10, s15, v1
	v_and_or_b32 v9, v11, s15, v9
	ds_write2_b32 v224, v1, v9 offset0:88 offset1:96
	s_mov_b64 s[0:1], -1
	s_waitcnt vmcnt(21)
	v_lshrrev_b32_e32 v9, 4, v104
	s_waitcnt vmcnt(20)
	v_ashrrev_i32_e32 v10, v59, v105
	v_ashrrev_i32_e32 v11, v61, v105
	v_and_b32_e32 v1, 0xf0f0f0f, v104
	v_and_b32_e32 v9, 0xf0f0f0f, v9
	v_lshlrev_b32_e32 v10, 4, v10
	v_lshlrev_b32_e32 v11, 4, v11
	v_and_or_b32 v1, v10, s15, v1
	v_and_or_b32 v9, v11, s15, v9
	ds_write2_b32 v225, v1, v9 offset0:96 offset1:104
	s_waitcnt vmcnt(19)
	v_lshrrev_b32_e32 v9, 4, v106
	s_waitcnt vmcnt(18)
	v_ashrrev_i32_e32 v10, v59, v107
	v_ashrrev_i32_e32 v11, v61, v107
	v_and_b32_e32 v1, 0xf0f0f0f, v106
	v_and_b32_e32 v9, 0xf0f0f0f, v9
	v_lshlrev_b32_e32 v10, 4, v10
	v_lshlrev_b32_e32 v11, 4, v11
	v_and_or_b32 v1, v10, s15, v1
	v_and_or_b32 v9, v11, s15, v9
	ds_write2_b32 v226, v1, v9 offset0:104 offset1:112
	;; [unrolled: 12-line block ×4, first 2 shown]
	s_waitcnt vmcnt(13)
	ds_write_b32 v67, v110
	s_waitcnt vmcnt(12)
	v_ashrrev_i32_e32 v1, v69, v111
	v_and_b32_e32 v1, 0xf0f0f0f, v1
	s_waitcnt vmcnt(11)
	v_ashrrev_i32_e32 v9, v71, v112
	v_and_or_b32 v1, v9, s16, v1
	ds_write_b32 v73, v1
	s_waitcnt vmcnt(10)
	v_ashrrev_i32_e32 v1, v69, v113
	v_and_b32_e32 v1, 0xf0f0f0f, v1
	s_waitcnt vmcnt(9)
	v_ashrrev_i32_e32 v9, v71, v114
	v_and_or_b32 v1, v9, s16, v1
	ds_write_b32 v75, v1
	s_waitcnt vmcnt(8)
	ds_write_b32 v216, v116
	s_waitcnt vmcnt(7)
	;; [unrolled: 2-line block ×9, first 2 shown]
	ds_write_b32 v77, v0
	s_waitcnt lgkmcnt(0)
	s_barrier
	ds_read_b32 v0, v139
	ds_read_b32 v1, v202 offset:128
	ds_read_b32 v2, v203 offset:256
	;; [unrolled: 1-line block ×3, first 2 shown]
	s_waitcnt lgkmcnt(3)
	v_cvt_f32_f16_e32 v98, v0
	v_cvt_f32_f16_sdwa v100, v0 dst_sel:DWORD dst_unused:UNUSED_PAD src0_sel:WORD_1
	s_waitcnt lgkmcnt(2)
	v_cvt_f32_f16_e32 v102, v1
	v_cvt_f32_f16_sdwa v104, v1 dst_sel:DWORD dst_unused:UNUSED_PAD src0_sel:WORD_1
	;; [unrolled: 3-line block ×4, first 2 shown]
	v_mov_b32_e32 v99, v98
	v_mov_b32_e32 v101, v100
	v_mov_b32_e32 v103, v102
	v_mov_b32_e32 v105, v104
	v_mov_b32_e32 v107, v106
	v_mov_b32_e32 v109, v108
	v_mov_b32_e32 v111, v110
	v_mov_b32_e32 v113, v112
.LBB133_6:                              ;   Parent Loop BB133_5 Depth=1
                                        ; =>  This Inner Loop Header: Depth=2
	s_lshr_b32 s20, s19, 2
	s_lshl_b32 s18, s19, 1
	s_add_i32 s20, s20, 0xa200
	v_or_b32_e32 v0, s18, v65
	s_lshl_b32 s19, s19, 3
	v_lshlrev_b32_e32 v1, 2, v0
	v_add3_u32 v114, s20, v229, v230
	v_add_u32_e32 v116, s19, v212
	v_lshrrev_b32_e32 v194, 1, v0
	ds_read_b128 v[12:15], v1 offset:33280
	ds_read_b128 v[8:11], v1 offset:33296
	ds_read_b128 v[4:7], v1 offset:33312
	ds_read_b128 v[0:3], v1 offset:33328
	ds_read2_b32 v[178:179], v116 offset1:1
	ds_read2_b32 v[180:181], v116 offset0:2 offset1:3
	ds_read2_b32 v[182:183], v116 offset0:4 offset1:5
	;; [unrolled: 1-line block ×3, first 2 shown]
	ds_read_u16 v118, v114
	ds_read_u16 v114, v114 offset:8
	ds_read2_b32 v[186:187], v116 offset0:8 offset1:9
	ds_read2_b32 v[188:189], v116 offset0:10 offset1:11
	;; [unrolled: 1-line block ×4, first 2 shown]
	s_waitcnt lgkmcnt(4)
	v_cvt_f32_ubyte0_e32 v170, v114
	v_cvt_f32_ubyte1_e32 v176, v114
	v_add3_u32 v114, s20, v231, v232
	v_add_u32_e32 v116, s19, v213
	v_and_b32_e32 v240, 0xff, v118
	v_lshrrev_b16_e32 v241, 8, v118
	ds_read2_b32 v[134:135], v116 offset1:1
	ds_read2_b32 v[142:143], v116 offset0:2 offset1:3
	ds_read2_b32 v[144:145], v116 offset0:4 offset1:5
	;; [unrolled: 1-line block ×3, first 2 shown]
	ds_read_u16 v118, v114
	ds_read_u16 v114, v114 offset:8
	ds_read2_b32 v[152:153], v116 offset0:8 offset1:9
	ds_read2_b32 v[160:161], v116 offset0:10 offset1:11
	ds_read2_b32 v[162:163], v116 offset0:12 offset1:13
	ds_read2_b32 v[164:165], v116 offset0:14 offset1:15
	s_waitcnt lgkmcnt(4)
	v_cvt_f32_ubyte0_e32 v138, v114
	v_cvt_f32_ubyte1_e32 v148, v114
	v_add3_u32 v114, s20, v233, v234
	v_add_u32_e32 v116, s19, v214
	v_and_b32_e32 v177, 0xff, v118
	v_lshrrev_b16_e32 v238, 8, v118
	ds_read2_b32 v[136:137], v116 offset1:1
	ds_read2_b32 v[150:151], v116 offset0:2 offset1:3
	ds_read2_b32 v[154:155], v116 offset0:4 offset1:5
	;; [unrolled: 1-line block ×3, first 2 shown]
	ds_read_u16 v118, v114
	ds_read_u16 v114, v114 offset:8
	v_mov_b32_e32 v248, 0
	v_mov_b32_e32 v244, 0
	;; [unrolled: 1-line block ×3, first 2 shown]
	s_waitcnt lgkmcnt(1)
	v_and_b32_e32 v237, 0xff, v118
	v_lshrrev_b16_e32 v239, 8, v118
	v_add_u32_e32 v118, s19, v215
	ds_read2_b32 v[126:127], v118 offset1:1
	ds_read2_b32 v[128:129], v118 offset0:2 offset1:3
	ds_read2_b32 v[130:131], v118 offset0:4 offset1:5
	;; [unrolled: 1-line block ×3, first 2 shown]
	v_mov_b32_e32 v242, 0
	v_dot4c_i32_i8_e32 v248, v178, v12
	v_dot4c_i32_i8_e32 v244, v134, v12
	;; [unrolled: 1-line block ×3, first 2 shown]
	s_waitcnt lgkmcnt(3)
	v_dot4c_i32_i8_e32 v242, v126, v12
	v_dot4c_i32_i8_e32 v248, v179, v13
	;; [unrolled: 1-line block ×8, first 2 shown]
	s_waitcnt lgkmcnt(2)
	v_dot4c_i32_i8_e32 v242, v128, v14
	v_dot4c_i32_i8_e32 v248, v181, v15
	;; [unrolled: 1-line block ×8, first 2 shown]
	v_cvt_f32_ubyte0_e32 v140, v114
	v_cvt_f32_ubyte1_e32 v158, v114
	v_add3_u32 v114, s20, v235, v236
	s_waitcnt lgkmcnt(1)
	v_dot4c_i32_i8_e32 v242, v130, v8
	v_dot4c_i32_i8_e32 v248, v183, v9
	;; [unrolled: 1-line block ×4, first 2 shown]
	ds_read2_b32 v[166:167], v116 offset0:8 offset1:9
	ds_read2_b32 v[168:169], v116 offset0:10 offset1:11
	;; [unrolled: 1-line block ×4, first 2 shown]
	v_dot4c_i32_i8_e32 v242, v131, v9
	ds_read_u16 v8, v114
	ds_read_u16 v9, v114 offset:8
	ds_read2_b32 v[124:125], v118 offset0:8 offset1:9
	ds_read2_b32 v[122:123], v118 offset0:10 offset1:11
	;; [unrolled: 1-line block ×3, first 2 shown]
	v_mov_b32_e32 v249, 0
	v_mov_b32_e32 v247, 0
	;; [unrolled: 1-line block ×4, first 2 shown]
	v_dot4c_i32_i8_e32 v249, v186, v4
	v_dot4c_i32_i8_e32 v247, v152, v4
	s_waitcnt lgkmcnt(8)
	v_dot4c_i32_i8_e32 v246, v166, v4
	s_waitcnt lgkmcnt(2)
	v_dot4c_i32_i8_e32 v245, v124, v4
	v_dot4c_i32_i8_e32 v249, v187, v5
	;; [unrolled: 1-line block ×5, first 2 shown]
	ds_read2_b32 v[118:119], v118 offset0:14 offset1:15
	v_dot4c_i32_i8_e32 v249, v188, v6
	v_dot4c_i32_i8_e32 v247, v160, v6
	;; [unrolled: 1-line block ×3, first 2 shown]
	s_waitcnt lgkmcnt(2)
	v_dot4c_i32_i8_e32 v245, v122, v6
	v_dot4c_i32_i8_e32 v249, v189, v7
	;; [unrolled: 1-line block ×8, first 2 shown]
	s_waitcnt lgkmcnt(1)
	v_dot4c_i32_i8_e32 v245, v120, v0
	v_dot4c_i32_i8_e32 v249, v191, v1
	;; [unrolled: 1-line block ×5, first 2 shown]
	v_or_b32_e32 v0, s18, v205
	v_dot4c_i32_i8_e32 v248, v184, v10
	v_dot4c_i32_i8_e32 v249, v192, v2
	;; [unrolled: 1-line block ×7, first 2 shown]
	s_waitcnt lgkmcnt(0)
	v_dot4c_i32_i8_e32 v245, v118, v2
	v_lshlrev_b32_e32 v1, 2, v0
	v_dot4c_i32_i8_e32 v248, v185, v11
	v_dot4c_i32_i8_e32 v249, v193, v3
	;; [unrolled: 1-line block ×7, first 2 shown]
	v_and_b32_e32 v171, 0xff, v8
	v_cvt_f32_ubyte0_e32 v116, v9
	v_dot4c_i32_i8_e32 v245, v119, v3
	v_lshrrev_b16_e32 v159, 8, v8
	v_cvt_f32_ubyte1_e32 v114, v9
	v_lshrrev_b32_e32 v195, 1, v0
	ds_read_b128 v[12:15], v1 offset:33280
	ds_read_b128 v[8:11], v1 offset:33296
	ds_read_b128 v[4:7], v1 offset:33312
	ds_read_b128 v[0:3], v1 offset:33328
	v_mov_b32_e32 v252, 0
	s_waitcnt lgkmcnt(3)
	v_dot4c_i32_i8_e32 v252, v178, v12
	v_mov_b32_e32 v254, 0
	v_dot4c_i32_i8_e32 v252, v179, v13
	s_waitcnt lgkmcnt(1)
	v_dot4c_i32_i8_e32 v254, v186, v4
	v_dot4c_i32_i8_e32 v252, v180, v14
	;; [unrolled: 1-line block ×7, first 2 shown]
	ds_read_b64 v[250:251], v194 offset:43584
	ds_read_b64 v[196:197], v195 offset:43584
	v_dot4c_i32_i8_e32 v252, v183, v9
	s_waitcnt lgkmcnt(2)
	v_dot4c_i32_i8_e32 v254, v190, v0
	v_dot4c_i32_i8_e32 v252, v184, v10
	;; [unrolled: 1-line block ×6, first 2 shown]
	s_waitcnt lgkmcnt(1)
	v_cvt_f32_f16_e32 v198, v250
	v_cvt_f32_f16_sdwa v200, v250 dst_sel:DWORD dst_unused:UNUSED_PAD src0_sel:WORD_1
	v_mul_lo_u32 v248, v248, v240
	v_mul_lo_u32 v250, v252, v240
	s_waitcnt lgkmcnt(0)
	v_cvt_f32_f16_e32 v199, v196
	v_cvt_f32_f16_sdwa v201, v196 dst_sel:DWORD dst_unused:UNUSED_PAD src0_sel:WORD_1
	v_cvt_f32_f16_e32 v194, v251
	v_cvt_f32_f16_sdwa v196, v251 dst_sel:DWORD dst_unused:UNUSED_PAD src0_sel:WORD_1
	v_cvt_f32_i32_e32 v251, v250
	v_cvt_f32_i32_e32 v250, v248
	v_mul_lo_u32 v248, v249, v241
	v_mul_lo_u32 v249, v254, v241
	v_cvt_f32_f16_e32 v195, v197
	v_cvt_f32_f16_sdwa v197, v197 dst_sel:DWORD dst_unused:UNUSED_PAD src0_sel:WORD_1
	v_cvt_f32_i32_e32 v249, v249
	v_cvt_f32_i32_e32 v248, v248
	v_pk_fma_f32 v[250:251], v[198:199], v[250:251], 0 op_sel_hi:[1,1,0]
	v_pk_fma_f32 v[252:253], v[170:171], v[200:201], 0 op_sel_hi:[0,1,0]
	v_mul_lo_u32 v244, v244, v177
	v_pk_fma_f32 v[248:249], v[194:195], v[248:249], v[250:251]
	v_pk_fma_f32 v[250:251], v[176:177], v[196:197], v[252:253] op_sel_hi:[0,1,1]
	v_pk_mul_f32 v[250:251], v[250:251], v[100:101]
	v_mov_b32_e32 v252, 0
	v_pk_fma_f32 v[248:249], v[248:249], v[98:99], v[250:251] neg_lo:[0,0,1] neg_hi:[0,0,1]
	v_dot4c_i32_i8_e32 v252, v152, v4
	v_pk_add_f32 v[42:43], v[42:43], v[248:249]
	v_mov_b32_e32 v248, 0
	v_dot4c_i32_i8_e32 v248, v134, v12
	v_dot4c_i32_i8_e32 v248, v135, v13
	;; [unrolled: 1-line block ×15, first 2 shown]
	v_pk_fma_f32 v[250:251], v[138:139], v[200:201], 0 op_sel_hi:[0,1,0]
	v_mul_lo_u32 v248, v248, v177
	v_cvt_f32_i32_e32 v249, v248
	v_cvt_f32_i32_e32 v248, v244
	v_mul_lo_u32 v244, v247, v238
	v_mul_lo_u32 v247, v252, v238
	v_cvt_f32_i32_e32 v253, v247
	v_cvt_f32_i32_e32 v252, v244
	v_pk_fma_f32 v[248:249], v[198:199], v[248:249], 0 op_sel_hi:[1,1,0]
	v_pk_fma_f32 v[250:251], v[148:149], v[196:197], v[250:251] op_sel_hi:[0,1,1]
	v_pk_mul_f32 v[250:251], v[250:251], v[104:105]
	v_pk_fma_f32 v[248:249], v[194:195], v[252:253], v[248:249]
	v_mul_lo_u32 v243, v243, v237
	v_pk_fma_f32 v[248:249], v[248:249], v[102:103], v[250:251] neg_lo:[0,0,1] neg_hi:[0,0,1]
	v_mov_b32_e32 v244, 0
	v_pk_add_f32 v[52:53], v[52:53], v[248:249]
	v_cvt_f32_i32_e32 v248, v243
	v_mul_lo_u32 v243, v246, v239
	v_cvt_f32_i32_e32 v246, v243
	v_mov_b32_e32 v243, 0
	v_dot4c_i32_i8_e32 v244, v136, v12
	v_dot4c_i32_i8_e32 v243, v126, v12
	;; [unrolled: 1-line block ×10, first 2 shown]
	v_mov_b32_e32 v8, 0
	v_dot4c_i32_i8_e32 v8, v124, v4
	v_mov_b32_e32 v247, 0
	v_dot4c_i32_i8_e32 v8, v125, v5
	v_dot4c_i32_i8_e32 v247, v166, v4
	;; [unrolled: 1-line block ×16, first 2 shown]
	v_mul_lo_u32 v0, v242, v171
	v_mul_lo_u32 v1, v243, v171
	v_dot4c_i32_i8_e32 v244, v155, v9
	v_cvt_f32_i32_e32 v1, v1
	v_cvt_f32_i32_e32 v0, v0
	v_mul_lo_u32 v4, v245, v159
	v_mul_lo_u32 v5, v8, v159
	v_dot4c_i32_i8_e32 v244, v156, v10
	v_cvt_f32_i32_e32 v5, v5
	v_cvt_f32_i32_e32 v4, v4
	v_dot4c_i32_i8_e32 v244, v157, v11
	v_dot4c_i32_i8_e32 v247, v174, v2
	;; [unrolled: 1-line block ×3, first 2 shown]
	v_pk_fma_f32 v[2:3], v[116:117], v[200:201], 0 op_sel_hi:[0,1,0]
	v_mul_lo_u32 v244, v244, v237
	v_cvt_f32_i32_e32 v249, v244
	v_mul_lo_u32 v244, v247, v239
	v_pk_fma_f32 v[0:1], v[198:199], v[0:1], 0 op_sel_hi:[1,1,0]
	v_pk_fma_f32 v[2:3], v[114:115], v[196:197], v[2:3] op_sel_hi:[0,1,1]
	v_cvt_f32_i32_e32 v247, v244
	v_pk_fma_f32 v[0:1], v[194:195], v[4:5], v[0:1]
	v_pk_mul_f32 v[2:3], v[2:3], v[112:113]
	v_pk_fma_f32 v[248:249], v[198:199], v[248:249], 0 op_sel_hi:[1,1,0]
	v_pk_fma_f32 v[0:1], v[0:1], v[110:111], v[2:3] neg_lo:[0,0,1] neg_hi:[0,0,1]
	v_pk_fma_f32 v[250:251], v[140:141], v[200:201], 0 op_sel_hi:[0,1,0]
	v_pk_add_f32 v[40:41], v[40:41], v[0:1]
	v_or_b32_e32 v0, s18, v206
	v_lshlrev_b32_e32 v1, 2, v0
	v_pk_fma_f32 v[246:247], v[194:195], v[246:247], v[248:249]
	v_pk_fma_f32 v[248:249], v[158:159], v[196:197], v[250:251] op_sel_hi:[0,1,1]
	v_lshrrev_b32_e32 v194, 1, v0
	ds_read_b128 v[12:15], v1 offset:33280
	ds_read_b128 v[8:11], v1 offset:33296
	;; [unrolled: 1-line block ×4, first 2 shown]
	v_pk_mul_f32 v[248:249], v[248:249], v[108:109]
	v_mov_b32_e32 v250, 0
	v_pk_fma_f32 v[246:247], v[246:247], v[106:107], v[248:249] neg_lo:[0,0,1] neg_hi:[0,0,1]
	v_mov_b32_e32 v252, 0
	v_pk_add_f32 v[46:47], v[46:47], v[246:247]
	v_mov_b32_e32 v246, 0
	v_mov_b32_e32 v247, 0
	;; [unrolled: 1-line block ×6, first 2 shown]
	s_waitcnt lgkmcnt(3)
	v_dot4c_i32_i8_e32 v250, v178, v12
	s_waitcnt lgkmcnt(1)
	v_dot4c_i32_i8_e32 v252, v186, v4
	v_dot4c_i32_i8_e32 v246, v134, v12
	;; [unrolled: 1-line block ×32, first 2 shown]
	s_waitcnt lgkmcnt(0)
	v_dot4c_i32_i8_e32 v252, v190, v0
	v_dot4c_i32_i8_e32 v246, v144, v8
	;; [unrolled: 1-line block ×15, first 2 shown]
	v_or_b32_e32 v0, s18, v207
	v_dot4c_i32_i8_e32 v250, v184, v10
	v_dot4c_i32_i8_e32 v252, v192, v2
	v_dot4c_i32_i8_e32 v246, v146, v10
	v_dot4c_i32_i8_e32 v247, v164, v2
	v_dot4c_i32_i8_e32 v244, v156, v10
	v_dot4c_i32_i8_e32 v245, v174, v2
	v_dot4c_i32_i8_e32 v242, v132, v10
	v_dot4c_i32_i8_e32 v243, v118, v2
	v_lshlrev_b32_e32 v1, 2, v0
	v_dot4c_i32_i8_e32 v250, v185, v11
	v_dot4c_i32_i8_e32 v252, v193, v3
	;; [unrolled: 1-line block ×8, first 2 shown]
	v_lshrrev_b32_e32 v195, 1, v0
	ds_read_b128 v[12:15], v1 offset:33280
	ds_read_b128 v[8:11], v1 offset:33296
	;; [unrolled: 1-line block ×4, first 2 shown]
	v_mov_b32_e32 v251, 0
	s_waitcnt lgkmcnt(3)
	v_dot4c_i32_i8_e32 v251, v178, v12
	v_mov_b32_e32 v253, 0
	v_dot4c_i32_i8_e32 v251, v179, v13
	s_waitcnt lgkmcnt(1)
	v_dot4c_i32_i8_e32 v253, v186, v4
	v_dot4c_i32_i8_e32 v251, v180, v14
	;; [unrolled: 1-line block ×5, first 2 shown]
	ds_read_b64 v[248:249], v194 offset:43584
	ds_read_b64 v[196:197], v195 offset:43584
	v_dot4c_i32_i8_e32 v251, v182, v8
	v_dot4c_i32_i8_e32 v253, v189, v7
	;; [unrolled: 1-line block ×3, first 2 shown]
	s_waitcnt lgkmcnt(2)
	v_dot4c_i32_i8_e32 v253, v190, v0
	v_dot4c_i32_i8_e32 v251, v184, v10
	;; [unrolled: 1-line block ×6, first 2 shown]
	s_waitcnt lgkmcnt(0)
	v_cvt_f32_f16_e32 v199, v196
	v_cvt_f32_f16_e32 v198, v248
	v_cvt_f32_f16_sdwa v201, v196 dst_sel:DWORD dst_unused:UNUSED_PAD src0_sel:WORD_1
	v_cvt_f32_f16_sdwa v200, v248 dst_sel:DWORD dst_unused:UNUSED_PAD src0_sel:WORD_1
	v_cvt_f32_f16_e32 v194, v249
	v_cvt_f32_f16_sdwa v196, v249 dst_sel:DWORD dst_unused:UNUSED_PAD src0_sel:WORD_1
	v_mul_lo_u32 v248, v250, v240
	v_mul_lo_u32 v249, v251, v240
	v_cvt_f32_f16_e32 v195, v197
	v_cvt_f32_f16_sdwa v197, v197 dst_sel:DWORD dst_unused:UNUSED_PAD src0_sel:WORD_1
	v_cvt_f32_i32_e32 v249, v249
	v_cvt_f32_i32_e32 v248, v248
	v_mul_lo_u32 v252, v252, v241
	v_mul_lo_u32 v253, v253, v241
	v_cvt_f32_i32_e32 v253, v253
	v_cvt_f32_i32_e32 v252, v252
	v_pk_fma_f32 v[250:251], v[170:171], v[200:201], 0 op_sel_hi:[0,1,0]
	v_pk_fma_f32 v[248:249], v[248:249], v[198:199], 0 op_sel_hi:[1,1,0]
	;; [unrolled: 1-line block ×3, first 2 shown]
	v_pk_fma_f32 v[248:249], v[252:253], v[194:195], v[248:249]
	v_pk_mul_f32 v[250:251], v[250:251], v[100:101]
	v_mov_b32_e32 v252, 0
	v_pk_fma_f32 v[248:249], v[248:249], v[98:99], v[250:251] neg_lo:[0,0,1] neg_hi:[0,0,1]
	v_dot4c_i32_i8_e32 v252, v152, v4
	v_pk_add_f32 v[38:39], v[38:39], v[248:249]
	v_mov_b32_e32 v248, 0
	v_dot4c_i32_i8_e32 v248, v134, v12
	v_dot4c_i32_i8_e32 v248, v135, v13
	;; [unrolled: 1-line block ×15, first 2 shown]
	v_mul_lo_u32 v246, v246, v177
	v_mul_lo_u32 v248, v248, v177
	v_cvt_f32_i32_e32 v249, v248
	v_cvt_f32_i32_e32 v248, v246
	v_mul_lo_u32 v246, v247, v238
	v_mul_lo_u32 v247, v252, v238
	v_cvt_f32_i32_e32 v247, v247
	v_cvt_f32_i32_e32 v246, v246
	v_pk_fma_f32 v[248:249], v[248:249], v[198:199], 0 op_sel_hi:[1,1,0]
	v_pk_fma_f32 v[250:251], v[138:139], v[200:201], 0 op_sel_hi:[0,1,0]
	v_mul_lo_u32 v244, v244, v237
	v_pk_fma_f32 v[246:247], v[246:247], v[194:195], v[248:249]
	v_pk_fma_f32 v[248:249], v[148:149], v[196:197], v[250:251] op_sel_hi:[0,1,1]
	v_pk_mul_f32 v[248:249], v[248:249], v[104:105]
	v_mov_b32_e32 v250, 0
	v_pk_fma_f32 v[246:247], v[246:247], v[102:103], v[248:249] neg_lo:[0,0,1] neg_hi:[0,0,1]
	v_dot4c_i32_i8_e32 v250, v166, v4
	v_pk_add_f32 v[36:37], v[36:37], v[246:247]
	v_mov_b32_e32 v246, 0
	v_dot4c_i32_i8_e32 v246, v136, v12
	v_dot4c_i32_i8_e32 v246, v137, v13
	;; [unrolled: 1-line block ×15, first 2 shown]
	v_pk_fma_f32 v[248:249], v[140:141], v[200:201], 0 op_sel_hi:[0,1,0]
	v_mul_lo_u32 v246, v246, v237
	v_cvt_f32_i32_e32 v247, v246
	v_cvt_f32_i32_e32 v246, v244
	v_mul_lo_u32 v244, v245, v239
	v_mul_lo_u32 v245, v250, v239
	v_cvt_f32_i32_e32 v245, v245
	v_cvt_f32_i32_e32 v244, v244
	v_pk_fma_f32 v[246:247], v[246:247], v[198:199], 0 op_sel_hi:[1,1,0]
	v_mov_b32_e32 v250, 0
	v_mov_b32_e32 v252, 0
	v_pk_fma_f32 v[244:245], v[244:245], v[194:195], v[246:247]
	v_pk_fma_f32 v[246:247], v[158:159], v[196:197], v[248:249] op_sel_hi:[0,1,1]
	v_pk_mul_f32 v[246:247], v[246:247], v[108:109]
	v_mov_b32_e32 v251, 0
	v_pk_fma_f32 v[244:245], v[244:245], v[106:107], v[246:247] neg_lo:[0,0,1] neg_hi:[0,0,1]
	v_mov_b32_e32 v246, 0
	v_pk_add_f32 v[34:35], v[34:35], v[244:245]
	v_mov_b32_e32 v244, 0
	v_dot4c_i32_i8_e32 v244, v126, v12
	v_dot4c_i32_i8_e32 v244, v127, v13
	;; [unrolled: 1-line block ×5, first 2 shown]
	v_mov_b32_e32 v8, 0
	v_dot4c_i32_i8_e32 v8, v124, v4
	v_dot4c_i32_i8_e32 v8, v125, v5
	;; [unrolled: 1-line block ×11, first 2 shown]
	v_mul_lo_u32 v0, v242, v171
	v_mul_lo_u32 v1, v244, v171
	v_cvt_f32_i32_e32 v1, v1
	v_cvt_f32_i32_e32 v0, v0
	v_mul_lo_u32 v4, v243, v159
	v_mul_lo_u32 v5, v8, v159
	v_cvt_f32_i32_e32 v5, v5
	v_cvt_f32_i32_e32 v4, v4
	v_pk_fma_f32 v[2:3], v[116:117], v[200:201], 0 op_sel_hi:[0,1,0]
	v_pk_fma_f32 v[0:1], v[0:1], v[198:199], 0 op_sel_hi:[1,1,0]
	;; [unrolled: 1-line block ×3, first 2 shown]
	v_pk_fma_f32 v[0:1], v[4:5], v[194:195], v[0:1]
	v_pk_mul_f32 v[2:3], v[2:3], v[112:113]
	v_mov_b32_e32 v247, 0
	v_pk_fma_f32 v[0:1], v[0:1], v[110:111], v[2:3] neg_lo:[0,0,1] neg_hi:[0,0,1]
	v_mov_b32_e32 v244, 0
	v_pk_add_f32 v[32:33], v[32:33], v[0:1]
	v_or_b32_e32 v0, s18, v208
	v_lshlrev_b32_e32 v1, 2, v0
	v_lshrrev_b32_e32 v194, 1, v0
	ds_read_b128 v[12:15], v1 offset:33280
	ds_read_b128 v[8:11], v1 offset:33296
	;; [unrolled: 1-line block ×4, first 2 shown]
	v_mov_b32_e32 v245, 0
	v_mov_b32_e32 v242, 0
	;; [unrolled: 1-line block ×3, first 2 shown]
	s_waitcnt lgkmcnt(3)
	v_dot4c_i32_i8_e32 v250, v178, v12
	s_waitcnt lgkmcnt(1)
	v_dot4c_i32_i8_e32 v252, v186, v4
	v_dot4c_i32_i8_e32 v246, v134, v12
	;; [unrolled: 1-line block ×32, first 2 shown]
	s_waitcnt lgkmcnt(0)
	v_dot4c_i32_i8_e32 v252, v190, v0
	v_dot4c_i32_i8_e32 v246, v144, v8
	;; [unrolled: 1-line block ×15, first 2 shown]
	v_or_b32_e32 v0, s18, v209
	v_dot4c_i32_i8_e32 v250, v184, v10
	v_dot4c_i32_i8_e32 v252, v192, v2
	;; [unrolled: 1-line block ×8, first 2 shown]
	v_lshlrev_b32_e32 v1, 2, v0
	v_dot4c_i32_i8_e32 v250, v185, v11
	v_dot4c_i32_i8_e32 v252, v193, v3
	;; [unrolled: 1-line block ×8, first 2 shown]
	v_lshrrev_b32_e32 v195, 1, v0
	ds_read_b128 v[12:15], v1 offset:33280
	ds_read_b128 v[8:11], v1 offset:33296
	;; [unrolled: 1-line block ×4, first 2 shown]
	v_mov_b32_e32 v253, 0
	s_waitcnt lgkmcnt(3)
	v_dot4c_i32_i8_e32 v251, v178, v12
	v_dot4c_i32_i8_e32 v251, v179, v13
	s_waitcnt lgkmcnt(1)
	v_dot4c_i32_i8_e32 v253, v186, v4
	v_dot4c_i32_i8_e32 v251, v180, v14
	;; [unrolled: 1-line block ×5, first 2 shown]
	ds_read_b64 v[248:249], v194 offset:43584
	ds_read_b64 v[196:197], v195 offset:43584
	v_dot4c_i32_i8_e32 v251, v182, v8
	v_dot4c_i32_i8_e32 v253, v189, v7
	v_dot4c_i32_i8_e32 v251, v183, v9
	s_waitcnt lgkmcnt(2)
	v_dot4c_i32_i8_e32 v253, v190, v0
	v_dot4c_i32_i8_e32 v251, v184, v10
	;; [unrolled: 1-line block ×6, first 2 shown]
	s_waitcnt lgkmcnt(0)
	v_cvt_f32_f16_e32 v199, v196
	v_cvt_f32_f16_e32 v198, v248
	v_cvt_f32_f16_sdwa v201, v196 dst_sel:DWORD dst_unused:UNUSED_PAD src0_sel:WORD_1
	v_cvt_f32_f16_sdwa v200, v248 dst_sel:DWORD dst_unused:UNUSED_PAD src0_sel:WORD_1
	v_cvt_f32_f16_e32 v194, v249
	v_cvt_f32_f16_sdwa v196, v249 dst_sel:DWORD dst_unused:UNUSED_PAD src0_sel:WORD_1
	v_mul_lo_u32 v248, v250, v240
	v_mul_lo_u32 v249, v251, v240
	v_cvt_f32_f16_e32 v195, v197
	v_cvt_f32_f16_sdwa v197, v197 dst_sel:DWORD dst_unused:UNUSED_PAD src0_sel:WORD_1
	v_cvt_f32_i32_e32 v249, v249
	v_cvt_f32_i32_e32 v248, v248
	v_mul_lo_u32 v252, v252, v241
	v_mul_lo_u32 v253, v253, v241
	v_cvt_f32_i32_e32 v253, v253
	v_cvt_f32_i32_e32 v252, v252
	v_pk_fma_f32 v[250:251], v[170:171], v[200:201], 0 op_sel_hi:[0,1,0]
	v_pk_fma_f32 v[248:249], v[248:249], v[198:199], 0 op_sel_hi:[1,1,0]
	;; [unrolled: 1-line block ×3, first 2 shown]
	v_pk_fma_f32 v[248:249], v[252:253], v[194:195], v[248:249]
	v_pk_mul_f32 v[250:251], v[250:251], v[100:101]
	v_mov_b32_e32 v252, 0
	v_pk_fma_f32 v[248:249], v[248:249], v[98:99], v[250:251] neg_lo:[0,0,1] neg_hi:[0,0,1]
	v_dot4c_i32_i8_e32 v252, v152, v4
	v_pk_add_f32 v[30:31], v[30:31], v[248:249]
	v_mov_b32_e32 v248, 0
	v_dot4c_i32_i8_e32 v248, v134, v12
	v_dot4c_i32_i8_e32 v248, v135, v13
	;; [unrolled: 1-line block ×15, first 2 shown]
	v_mul_lo_u32 v246, v246, v177
	v_mul_lo_u32 v248, v248, v177
	v_cvt_f32_i32_e32 v249, v248
	v_cvt_f32_i32_e32 v248, v246
	v_mul_lo_u32 v246, v247, v238
	v_mul_lo_u32 v247, v252, v238
	v_cvt_f32_i32_e32 v247, v247
	v_cvt_f32_i32_e32 v246, v246
	v_pk_fma_f32 v[248:249], v[248:249], v[198:199], 0 op_sel_hi:[1,1,0]
	v_pk_fma_f32 v[250:251], v[138:139], v[200:201], 0 op_sel_hi:[0,1,0]
	v_mul_lo_u32 v244, v244, v237
	v_pk_fma_f32 v[246:247], v[246:247], v[194:195], v[248:249]
	v_pk_fma_f32 v[248:249], v[148:149], v[196:197], v[250:251] op_sel_hi:[0,1,1]
	v_pk_mul_f32 v[248:249], v[248:249], v[104:105]
	v_mov_b32_e32 v250, 0
	v_pk_fma_f32 v[246:247], v[246:247], v[102:103], v[248:249] neg_lo:[0,0,1] neg_hi:[0,0,1]
	v_dot4c_i32_i8_e32 v250, v166, v4
	v_pk_add_f32 v[28:29], v[28:29], v[246:247]
	v_mov_b32_e32 v246, 0
	v_dot4c_i32_i8_e32 v246, v136, v12
	v_dot4c_i32_i8_e32 v246, v137, v13
	;; [unrolled: 1-line block ×15, first 2 shown]
	v_pk_fma_f32 v[248:249], v[140:141], v[200:201], 0 op_sel_hi:[0,1,0]
	v_mul_lo_u32 v246, v246, v237
	v_cvt_f32_i32_e32 v247, v246
	v_cvt_f32_i32_e32 v246, v244
	v_mul_lo_u32 v244, v245, v239
	v_mul_lo_u32 v245, v250, v239
	v_cvt_f32_i32_e32 v245, v245
	v_cvt_f32_i32_e32 v244, v244
	v_pk_fma_f32 v[246:247], v[246:247], v[198:199], 0 op_sel_hi:[1,1,0]
	s_mov_b32 s19, 8
	s_and_b64 vcc, exec, s[0:1]
	v_pk_fma_f32 v[244:245], v[244:245], v[194:195], v[246:247]
	v_pk_fma_f32 v[246:247], v[158:159], v[196:197], v[248:249] op_sel_hi:[0,1,1]
	v_pk_mul_f32 v[246:247], v[246:247], v[108:109]
	s_mov_b64 s[0:1], 0
	v_pk_fma_f32 v[244:245], v[244:245], v[106:107], v[246:247] neg_lo:[0,0,1] neg_hi:[0,0,1]
	s_nop 0
	v_pk_add_f32 v[26:27], v[26:27], v[244:245]
	v_mov_b32_e32 v244, 0
	v_dot4c_i32_i8_e32 v244, v126, v12
	v_dot4c_i32_i8_e32 v244, v127, v13
	;; [unrolled: 1-line block ×5, first 2 shown]
	v_mov_b32_e32 v8, 0
	v_dot4c_i32_i8_e32 v8, v124, v4
	v_dot4c_i32_i8_e32 v8, v125, v5
	;; [unrolled: 1-line block ×11, first 2 shown]
	v_mul_lo_u32 v0, v242, v171
	v_mul_lo_u32 v1, v244, v171
	v_cvt_f32_i32_e32 v1, v1
	v_cvt_f32_i32_e32 v0, v0
	v_mul_lo_u32 v4, v243, v159
	v_mul_lo_u32 v5, v8, v159
	v_cvt_f32_i32_e32 v5, v5
	v_cvt_f32_i32_e32 v4, v4
	v_pk_fma_f32 v[2:3], v[116:117], v[200:201], 0 op_sel_hi:[0,1,0]
	v_pk_fma_f32 v[0:1], v[0:1], v[198:199], 0 op_sel_hi:[1,1,0]
	;; [unrolled: 1-line block ×3, first 2 shown]
	v_pk_fma_f32 v[0:1], v[4:5], v[194:195], v[0:1]
	v_pk_mul_f32 v[2:3], v[2:3], v[112:113]
	v_mov_b32_e32 v201, 0
	v_pk_fma_f32 v[0:1], v[0:1], v[110:111], v[2:3] neg_lo:[0,0,1] neg_hi:[0,0,1]
	v_mov_b32_e32 v242, 0
	v_pk_add_f32 v[24:25], v[24:25], v[0:1]
	v_or_b32_e32 v0, s18, v210
	v_lshlrev_b32_e32 v1, 2, v0
	v_lshrrev_b32_e32 v197, 1, v0
	ds_read_b128 v[12:15], v1 offset:33280
	ds_read_b128 v[8:11], v1 offset:33296
	;; [unrolled: 1-line block ×4, first 2 shown]
	v_mov_b32_e32 v199, 0
	v_mov_b32_e32 v200, 0
	;; [unrolled: 1-line block ×6, first 2 shown]
	s_waitcnt lgkmcnt(3)
	v_dot4c_i32_i8_e32 v201, v178, v12
	s_waitcnt lgkmcnt(1)
	v_dot4c_i32_i8_e32 v242, v186, v4
	v_dot4c_i32_i8_e32 v199, v134, v12
	;; [unrolled: 1-line block ×32, first 2 shown]
	s_waitcnt lgkmcnt(0)
	v_dot4c_i32_i8_e32 v242, v190, v0
	v_dot4c_i32_i8_e32 v199, v144, v8
	;; [unrolled: 1-line block ×15, first 2 shown]
	v_or_b32_e32 v0, s18, v211
	v_dot4c_i32_i8_e32 v201, v184, v10
	v_dot4c_i32_i8_e32 v242, v192, v2
	v_dot4c_i32_i8_e32 v199, v146, v10
	v_dot4c_i32_i8_e32 v200, v164, v2
	v_dot4c_i32_i8_e32 v196, v156, v10
	v_dot4c_i32_i8_e32 v198, v174, v2
	v_dot4c_i32_i8_e32 v195, v132, v10
	v_dot4c_i32_i8_e32 v194, v118, v2
	v_lshlrev_b32_e32 v1, 2, v0
	v_dot4c_i32_i8_e32 v201, v185, v11
	v_dot4c_i32_i8_e32 v242, v193, v3
	;; [unrolled: 1-line block ×8, first 2 shown]
	v_lshrrev_b32_e32 v243, 1, v0
	ds_read_b128 v[12:15], v1 offset:33280
	ds_read_b128 v[8:11], v1 offset:33296
	;; [unrolled: 1-line block ×4, first 2 shown]
	v_mov_b32_e32 v244, 0
	v_mov_b32_e32 v245, 0
	s_waitcnt lgkmcnt(3)
	v_dot4c_i32_i8_e32 v244, v178, v12
	s_waitcnt lgkmcnt(1)
	v_dot4c_i32_i8_e32 v245, v186, v4
	v_dot4c_i32_i8_e32 v244, v179, v13
	;; [unrolled: 1-line block ×3, first 2 shown]
	ds_read_b64 v[186:187], v197 offset:43584
	ds_read_b64 v[178:179], v243 offset:43584
	v_dot4c_i32_i8_e32 v244, v180, v14
	v_dot4c_i32_i8_e32 v244, v181, v15
	;; [unrolled: 1-line block ×6, first 2 shown]
	s_waitcnt lgkmcnt(2)
	v_dot4c_i32_i8_e32 v245, v190, v0
	s_waitcnt lgkmcnt(0)
	v_cvt_f32_f16_sdwa v183, v178 dst_sel:DWORD dst_unused:UNUSED_PAD src0_sel:WORD_1
	v_cvt_f32_f16_sdwa v182, v186 dst_sel:DWORD dst_unused:UNUSED_PAD src0_sel:WORD_1
	v_dot4c_i32_i8_e32 v245, v191, v1
	v_dot4c_i32_i8_e32 v245, v192, v2
	;; [unrolled: 1-line block ×3, first 2 shown]
	v_pk_fma_f32 v[188:189], v[170:171], v[182:183], 0 op_sel_hi:[0,1,0]
	v_mul_lo_u32 v170, v242, v241
	v_dot4c_i32_i8_e32 v244, v184, v10
	v_mul_lo_u32 v190, v245, v241
	v_cvt_f32_i32_e32 v191, v190
	v_cvt_f32_i32_e32 v190, v170
	v_mov_b32_e32 v170, 0
	v_dot4c_i32_i8_e32 v170, v134, v12
	v_dot4c_i32_i8_e32 v170, v135, v13
	;; [unrolled: 1-line block ×5, first 2 shown]
	v_mov_b32_e32 v144, 0
	v_dot4c_i32_i8_e32 v144, v152, v4
	v_dot4c_i32_i8_e32 v144, v153, v5
	;; [unrolled: 1-line block ×11, first 2 shown]
	v_mul_lo_u32 v134, v199, v177
	v_mul_lo_u32 v135, v170, v177
	v_dot4c_i32_i8_e32 v244, v185, v11
	v_cvt_f32_f16_e32 v185, v178
	v_cvt_f32_f16_e32 v184, v186
	;; [unrolled: 1-line block ×3, first 2 shown]
	v_cvt_f32_f16_sdwa v179, v179 dst_sel:DWORD dst_unused:UNUSED_PAD src0_sel:WORD_1
	v_cvt_f32_f16_sdwa v178, v187 dst_sel:DWORD dst_unused:UNUSED_PAD src0_sel:WORD_1
	v_cvt_f32_i32_e32 v135, v135
	v_cvt_f32_i32_e32 v134, v134
	v_pk_fma_f32 v[142:143], v[138:139], v[182:183], 0 op_sel_hi:[0,1,0]
	v_mul_lo_u32 v138, v200, v238
	v_mul_lo_u32 v144, v144, v238
	v_cvt_f32_f16_e32 v180, v187
	v_cvt_f32_i32_e32 v145, v144
	v_cvt_f32_i32_e32 v144, v138
	v_pk_fma_f32 v[134:135], v[134:135], v[184:185], 0 op_sel_hi:[1,1,0]
	v_pk_fma_f32 v[142:143], v[148:149], v[178:179], v[142:143] op_sel_hi:[0,1,1]
	v_pk_mul_f32 v[142:143], v[142:143], v[104:105]
	v_pk_fma_f32 v[134:135], v[144:145], v[180:181], v[134:135]
	v_mov_b32_e32 v138, 0
	v_pk_fma_f32 v[134:135], v[134:135], v[102:103], v[142:143] neg_lo:[0,0,1] neg_hi:[0,0,1]
	v_dot4c_i32_i8_e32 v138, v166, v4
	v_pk_add_f32 v[20:21], v[20:21], v[134:135]
	v_mov_b32_e32 v134, 0
	v_dot4c_i32_i8_e32 v134, v136, v12
	v_dot4c_i32_i8_e32 v134, v137, v13
	;; [unrolled: 1-line block ×15, first 2 shown]
	v_mul_lo_u32 v136, v196, v237
	v_mul_lo_u32 v134, v134, v237
	v_cvt_f32_i32_e32 v135, v134
	v_cvt_f32_i32_e32 v134, v136
	v_pk_fma_f32 v[136:137], v[140:141], v[182:183], 0 op_sel_hi:[0,1,0]
	v_mul_lo_u32 v140, v198, v239
	v_mul_lo_u32 v138, v138, v239
	v_cvt_f32_i32_e32 v143, v138
	v_cvt_f32_i32_e32 v142, v140
	v_pk_fma_f32 v[134:135], v[134:135], v[184:185], 0 op_sel_hi:[1,1,0]
	v_pk_fma_f32 v[136:137], v[158:159], v[178:179], v[136:137] op_sel_hi:[0,1,1]
	v_pk_mul_f32 v[136:137], v[136:137], v[108:109]
	v_pk_fma_f32 v[134:135], v[142:143], v[180:181], v[134:135]
	v_mul_lo_u32 v186, v201, v240
	v_pk_fma_f32 v[134:135], v[134:135], v[106:107], v[136:137] neg_lo:[0,0,1] neg_hi:[0,0,1]
	v_mul_lo_u32 v187, v244, v240
	v_pk_add_f32 v[18:19], v[18:19], v[134:135]
	v_mov_b32_e32 v134, 0
	v_dot4c_i32_i8_e32 v134, v126, v12
	v_dot4c_i32_i8_e32 v134, v127, v13
	;; [unrolled: 1-line block ×5, first 2 shown]
	v_mov_b32_e32 v8, 0
	v_dot4c_i32_i8_e32 v8, v124, v4
	v_dot4c_i32_i8_e32 v8, v125, v5
	;; [unrolled: 1-line block ×11, first 2 shown]
	v_mul_lo_u32 v0, v195, v171
	v_mul_lo_u32 v1, v134, v171
	v_cvt_f32_i32_e32 v187, v187
	v_cvt_f32_i32_e32 v186, v186
	v_cvt_f32_i32_e32 v1, v1
	v_cvt_f32_i32_e32 v0, v0
	v_mul_lo_u32 v4, v194, v159
	v_mul_lo_u32 v5, v8, v159
	v_cvt_f32_i32_e32 v5, v5
	v_cvt_f32_i32_e32 v4, v4
	v_pk_fma_f32 v[2:3], v[116:117], v[182:183], 0 op_sel_hi:[0,1,0]
	v_pk_fma_f32 v[186:187], v[186:187], v[184:185], 0 op_sel_hi:[1,1,0]
	;; [unrolled: 1-line block ×5, first 2 shown]
	v_pk_fma_f32 v[186:187], v[190:191], v[180:181], v[186:187]
	v_pk_mul_f32 v[188:189], v[188:189], v[100:101]
	v_pk_fma_f32 v[0:1], v[4:5], v[180:181], v[0:1]
	v_pk_mul_f32 v[2:3], v[2:3], v[112:113]
	v_pk_fma_f32 v[186:187], v[186:187], v[98:99], v[188:189] neg_lo:[0,0,1] neg_hi:[0,0,1]
	v_pk_fma_f32 v[0:1], v[0:1], v[110:111], v[2:3] neg_lo:[0,0,1] neg_hi:[0,0,1]
	v_pk_add_f32 v[22:23], v[22:23], v[186:187]
	v_pk_add_f32 v[16:17], v[16:17], v[0:1]
	s_cbranch_vccnz .LBB133_6
; %bb.7:                                ;   in Loop: Header=BB133_5 Depth=1
	v_add_u32_e32 v14, s17, v141
	v_add_u32_e32 v0, v14, v81
	;; [unrolled: 1-line block ×6, first 2 shown]
	v_mad_i64_i32 v[0:1], s[0:1], v0, 36, v[92:93]
	v_mad_i64_i32 v[2:3], s[0:1], v2, 36, v[92:93]
	;; [unrolled: 1-line block ×4, first 2 shown]
	v_add_u32_e32 v8, v14, v89
	v_add_u32_e32 v10, v14, v91
	;; [unrolled: 1-line block ×4, first 2 shown]
	v_mad_u64_u32 v[98:99], s[0:1], v98, 36, s[2:3]
	s_barrier
	v_mad_i64_i32 v[8:9], s[0:1], v8, 36, v[92:93]
	v_mad_i64_i32 v[10:11], s[0:1], v10, 36, v[92:93]
	;; [unrolled: 1-line block ×4, first 2 shown]
	global_load_dword v98, v[98:99], off
	s_nop 0
	global_load_dword v0, v[0:1], off offset:4
	s_nop 0
	global_load_dword v1, v[2:3], off offset:4
	;; [unrolled: 2-line block ×3, first 2 shown]
	global_load_dword v3, v[6:7], off offset:4
	s_nop 0
	global_load_dword v4, v[8:9], off offset:4
	global_load_dword v5, v[10:11], off offset:4
	;; [unrolled: 1-line block ×4, first 2 shown]
	s_mov_b32 s0, 16
	s_waitcnt vmcnt(8)
	ds_write_b32 v77, v98
	s_waitcnt vmcnt(7)
	ds_write_b32 v216, v0
	;; [unrolled: 2-line block ×9, first 2 shown]
	s_waitcnt lgkmcnt(0)
	s_barrier
	ds_read_b32 v0, v139
	ds_read_b32 v1, v202 offset:128
	ds_read_b32 v2, v203 offset:256
	;; [unrolled: 1-line block ×3, first 2 shown]
	s_waitcnt lgkmcnt(2)
	v_cvt_f32_f16_e32 v102, v1
	v_cvt_f32_f16_e32 v98, v0
	v_cvt_f32_f16_sdwa v100, v0 dst_sel:DWORD dst_unused:UNUSED_PAD src0_sel:WORD_1
	v_cvt_f32_f16_sdwa v104, v1 dst_sel:DWORD dst_unused:UNUSED_PAD src0_sel:WORD_1
	s_waitcnt lgkmcnt(1)
	v_cvt_f32_f16_e32 v106, v2
	v_cvt_f32_f16_sdwa v108, v2 dst_sel:DWORD dst_unused:UNUSED_PAD src0_sel:WORD_1
	s_waitcnt lgkmcnt(0)
	v_cvt_f32_f16_e32 v110, v3
	v_cvt_f32_f16_sdwa v112, v3 dst_sel:DWORD dst_unused:UNUSED_PAD src0_sel:WORD_1
	v_mov_b32_e32 v99, v98
	v_mov_b32_e32 v101, v100
	;; [unrolled: 1-line block ×8, first 2 shown]
.LBB133_8:                              ;   Parent Loop BB133_5 Depth=1
                                        ; =>  This Inner Loop Header: Depth=2
	s_lshr_b32 s1, s0, 2
	s_and_b32 s17, s1, 0x3ffffffe
	s_lshl_b32 s1, s0, 1
	s_and_b32 s1, s1, 16
	v_or_b32_e32 v0, s1, v65
	s_add_i32 s17, s17, 0xa200
	s_lshl_b32 s18, s0, 3
	v_lshlrev_b32_e32 v1, 2, v0
	v_add3_u32 v114, s17, v229, v230
	v_add_u32_e32 v116, s18, v212
	v_lshrrev_b32_e32 v194, 1, v0
	ds_read_b128 v[12:15], v1 offset:33280
	ds_read_b128 v[8:11], v1 offset:33296
	;; [unrolled: 1-line block ×4, first 2 shown]
	ds_read2_b32 v[178:179], v116 offset1:1
	ds_read2_b32 v[180:181], v116 offset0:2 offset1:3
	ds_read2_b32 v[182:183], v116 offset0:4 offset1:5
	;; [unrolled: 1-line block ×3, first 2 shown]
	ds_read_u16 v118, v114
	ds_read_u16 v114, v114 offset:8
	ds_read2_b32 v[160:161], v116 offset0:8 offset1:9
	ds_read2_b32 v[188:189], v116 offset0:10 offset1:11
	;; [unrolled: 1-line block ×4, first 2 shown]
	s_waitcnt lgkmcnt(4)
	v_cvt_f32_ubyte0_e32 v152, v114
	v_cvt_f32_ubyte1_e32 v186, v114
	v_add3_u32 v114, s17, v231, v232
	v_add_u32_e32 v116, s18, v213
	v_and_b32_e32 v237, 0xff, v118
	v_lshrrev_b16_e32 v240, 8, v118
	ds_read2_b32 v[134:135], v116 offset1:1
	ds_read2_b32 v[146:147], v116 offset0:2 offset1:3
	ds_read2_b32 v[148:149], v116 offset0:4 offset1:5
	;; [unrolled: 1-line block ×3, first 2 shown]
	ds_read_u16 v118, v114
	ds_read_u16 v114, v114 offset:8
	ds_read2_b32 v[142:143], v116 offset0:8 offset1:9
	ds_read2_b32 v[166:167], v116 offset0:10 offset1:11
	;; [unrolled: 1-line block ×4, first 2 shown]
	s_waitcnt lgkmcnt(4)
	v_cvt_f32_ubyte0_e32 v138, v114
	v_cvt_f32_ubyte1_e32 v162, v114
	v_add3_u32 v114, s17, v233, v234
	v_add_u32_e32 v116, s18, v214
	v_add_u32_e32 v122, s18, v215
	v_and_b32_e32 v165, 0xff, v118
	v_lshrrev_b16_e32 v238, 8, v118
	ds_read2_b32 v[136:137], v116 offset1:1
	ds_read2_b32 v[150:151], v116 offset0:2 offset1:3
	ds_read2_b32 v[156:157], v116 offset0:4 offset1:5
	;; [unrolled: 1-line block ×3, first 2 shown]
	ds_read_u16 v118, v114
	ds_read_u16 v114, v114 offset:8
	ds_read2_b32 v[126:127], v122 offset1:1
	ds_read2_b32 v[128:129], v122 offset0:2 offset1:3
	ds_read2_b32 v[130:131], v122 offset0:4 offset1:5
	ds_read2_b32 v[132:133], v122 offset0:6 offset1:7
	v_mov_b32_e32 v244, 0
	v_mov_b32_e32 v243, 0
	;; [unrolled: 1-line block ×4, first 2 shown]
	v_dot4c_i32_i8_e32 v244, v178, v12
	v_dot4c_i32_i8_e32 v243, v134, v12
	s_waitcnt lgkmcnt(9)
	v_dot4c_i32_i8_e32 v242, v136, v12
	s_waitcnt lgkmcnt(3)
	v_dot4c_i32_i8_e32 v241, v126, v12
	v_dot4c_i32_i8_e32 v244, v179, v13
	;; [unrolled: 1-line block ×8, first 2 shown]
	s_waitcnt lgkmcnt(2)
	v_dot4c_i32_i8_e32 v241, v128, v14
	v_dot4c_i32_i8_e32 v244, v181, v15
	;; [unrolled: 1-line block ×8, first 2 shown]
	v_cvt_f32_ubyte0_e32 v140, v114
	v_cvt_f32_ubyte1_e32 v164, v114
	v_add3_u32 v114, s17, v235, v236
	s_waitcnt lgkmcnt(1)
	v_dot4c_i32_i8_e32 v241, v130, v8
	v_dot4c_i32_i8_e32 v244, v183, v9
	;; [unrolled: 1-line block ×4, first 2 shown]
	ds_read2_b32 v[144:145], v116 offset0:8 offset1:9
	ds_read2_b32 v[170:171], v116 offset0:10 offset1:11
	;; [unrolled: 1-line block ×4, first 2 shown]
	v_dot4c_i32_i8_e32 v241, v131, v9
	ds_read_u16 v8, v114
	ds_read_u16 v9, v114 offset:8
	ds_read2_b32 v[124:125], v122 offset0:8 offset1:9
	ds_read2_b32 v[120:121], v122 offset0:12 offset1:13
	v_and_b32_e32 v187, 0xff, v118
	v_lshrrev_b16_e32 v239, 8, v118
	ds_read2_b32 v[118:119], v122 offset0:10 offset1:11
	v_mov_b32_e32 v248, 0
	v_mov_b32_e32 v247, 0
	;; [unrolled: 1-line block ×4, first 2 shown]
	v_dot4c_i32_i8_e32 v248, v160, v4
	v_dot4c_i32_i8_e32 v247, v142, v4
	s_waitcnt lgkmcnt(8)
	v_dot4c_i32_i8_e32 v246, v144, v4
	s_waitcnt lgkmcnt(2)
	v_dot4c_i32_i8_e32 v245, v124, v4
	v_dot4c_i32_i8_e32 v248, v161, v5
	;; [unrolled: 1-line block ×5, first 2 shown]
	ds_read2_b32 v[122:123], v122 offset0:14 offset1:15
	v_dot4c_i32_i8_e32 v248, v188, v6
	v_dot4c_i32_i8_e32 v247, v166, v6
	;; [unrolled: 1-line block ×3, first 2 shown]
	s_waitcnt lgkmcnt(1)
	v_dot4c_i32_i8_e32 v245, v118, v6
	v_dot4c_i32_i8_e32 v248, v189, v7
	;; [unrolled: 1-line block ×13, first 2 shown]
	v_or_b32_e32 v0, s1, v205
	v_dot4c_i32_i8_e32 v244, v184, v10
	v_dot4c_i32_i8_e32 v248, v192, v2
	;; [unrolled: 1-line block ×7, first 2 shown]
	s_waitcnt lgkmcnt(0)
	v_dot4c_i32_i8_e32 v245, v122, v2
	v_lshlrev_b32_e32 v1, 2, v0
	v_dot4c_i32_i8_e32 v244, v185, v11
	v_dot4c_i32_i8_e32 v248, v193, v3
	;; [unrolled: 1-line block ×7, first 2 shown]
	v_and_b32_e32 v163, 0xff, v8
	v_cvt_f32_ubyte0_e32 v116, v9
	v_dot4c_i32_i8_e32 v245, v123, v3
	v_lshrrev_b16_e32 v153, 8, v8
	v_cvt_f32_ubyte1_e32 v114, v9
	v_lshrrev_b32_e32 v195, 1, v0
	ds_read_b128 v[12:15], v1 offset:33280
	ds_read_b128 v[8:11], v1 offset:33296
	;; [unrolled: 1-line block ×4, first 2 shown]
	v_mov_b32_e32 v249, 0
	s_waitcnt lgkmcnt(3)
	v_dot4c_i32_i8_e32 v249, v178, v12
	v_mov_b32_e32 v254, 0
	v_dot4c_i32_i8_e32 v249, v179, v13
	s_waitcnt lgkmcnt(1)
	v_dot4c_i32_i8_e32 v254, v160, v4
	v_dot4c_i32_i8_e32 v249, v180, v14
	v_dot4c_i32_i8_e32 v254, v161, v5
	v_dot4c_i32_i8_e32 v249, v181, v15
	v_dot4c_i32_i8_e32 v254, v188, v6
	v_dot4c_i32_i8_e32 v249, v182, v8
	v_dot4c_i32_i8_e32 v254, v189, v7
	ds_read_b64 v[250:251], v194 offset:43584
	ds_read_b64 v[196:197], v195 offset:43584
	v_dot4c_i32_i8_e32 v249, v183, v9
	s_waitcnt lgkmcnt(2)
	v_dot4c_i32_i8_e32 v254, v190, v0
	v_dot4c_i32_i8_e32 v249, v184, v10
	;; [unrolled: 1-line block ×6, first 2 shown]
	v_mul_lo_u32 v244, v244, v237
	v_mul_lo_u32 v249, v249, v237
	s_waitcnt lgkmcnt(0)
	v_cvt_f32_f16_e32 v199, v196
	v_cvt_f32_f16_e32 v198, v250
	v_cvt_f32_f16_sdwa v201, v196 dst_sel:DWORD dst_unused:UNUSED_PAD src0_sel:WORD_1
	v_cvt_f32_f16_sdwa v200, v250 dst_sel:DWORD dst_unused:UNUSED_PAD src0_sel:WORD_1
	v_cvt_f32_f16_e32 v194, v251
	v_cvt_f32_f16_sdwa v196, v251 dst_sel:DWORD dst_unused:UNUSED_PAD src0_sel:WORD_1
	v_cvt_f32_i32_e32 v251, v249
	v_cvt_f32_i32_e32 v250, v244
	v_mul_lo_u32 v244, v248, v240
	v_mul_lo_u32 v248, v254, v240
	v_cvt_f32_f16_e32 v195, v197
	v_cvt_f32_f16_sdwa v197, v197 dst_sel:DWORD dst_unused:UNUSED_PAD src0_sel:WORD_1
	v_cvt_f32_i32_e32 v249, v248
	v_cvt_f32_i32_e32 v248, v244
	v_pk_fma_f32 v[250:251], v[198:199], v[250:251], 0 op_sel_hi:[1,1,0]
	v_pk_fma_f32 v[252:253], v[152:153], v[200:201], 0 op_sel_hi:[0,1,0]
	v_mov_b32_e32 v244, 0
	v_pk_fma_f32 v[248:249], v[194:195], v[248:249], v[250:251]
	v_pk_fma_f32 v[250:251], v[186:187], v[196:197], v[252:253] op_sel_hi:[0,1,1]
	v_dot4c_i32_i8_e32 v244, v134, v12
	v_mov_b32_e32 v252, 0
	v_dot4c_i32_i8_e32 v244, v135, v13
	v_dot4c_i32_i8_e32 v252, v142, v4
	;; [unrolled: 1-line block ×10, first 2 shown]
	v_pk_mul_f32 v[250:251], v[250:251], v[100:101]
	v_dot4c_i32_i8_e32 v244, v154, v10
	v_dot4c_i32_i8_e32 v252, v169, v1
	v_pk_fma_f32 v[248:249], v[248:249], v[98:99], v[250:251] neg_lo:[0,0,1] neg_hi:[0,0,1]
	v_dot4c_i32_i8_e32 v244, v155, v11
	v_dot4c_i32_i8_e32 v252, v172, v2
	v_mul_lo_u32 v243, v243, v165
	v_pk_add_f32 v[42:43], v[42:43], v[248:249]
	v_dot4c_i32_i8_e32 v252, v173, v3
	v_mul_lo_u32 v244, v244, v165
	v_cvt_f32_i32_e32 v248, v243
	v_mul_lo_u32 v243, v247, v238
	v_cvt_f32_i32_e32 v249, v244
	v_mul_lo_u32 v244, v252, v238
	v_cvt_f32_i32_e32 v252, v243
	v_mov_b32_e32 v243, 0
	v_cvt_f32_i32_e32 v253, v244
	v_dot4c_i32_i8_e32 v243, v136, v12
	v_mov_b32_e32 v244, 0
	v_dot4c_i32_i8_e32 v243, v137, v13
	v_dot4c_i32_i8_e32 v244, v144, v4
	;; [unrolled: 1-line block ×15, first 2 shown]
	v_mul_lo_u32 v242, v242, v187
	v_mul_lo_u32 v243, v243, v187
	v_pk_fma_f32 v[250:251], v[138:139], v[200:201], 0 op_sel_hi:[0,1,0]
	v_cvt_f32_i32_e32 v243, v243
	v_cvt_f32_i32_e32 v242, v242
	v_mul_lo_u32 v246, v246, v239
	v_mul_lo_u32 v244, v244, v239
	v_pk_fma_f32 v[248:249], v[198:199], v[248:249], 0 op_sel_hi:[1,1,0]
	v_pk_fma_f32 v[250:251], v[162:163], v[196:197], v[250:251] op_sel_hi:[0,1,1]
	v_cvt_f32_i32_e32 v247, v244
	v_cvt_f32_i32_e32 v246, v246
	v_pk_fma_f32 v[248:249], v[194:195], v[252:253], v[248:249]
	v_pk_mul_f32 v[250:251], v[250:251], v[104:105]
	v_pk_fma_f32 v[242:243], v[198:199], v[242:243], 0 op_sel_hi:[1,1,0]
	v_pk_fma_f32 v[248:249], v[248:249], v[102:103], v[250:251] neg_lo:[0,0,1] neg_hi:[0,0,1]
	v_pk_fma_f32 v[242:243], v[194:195], v[246:247], v[242:243]
	v_pk_add_f32 v[52:53], v[52:53], v[248:249]
	v_pk_fma_f32 v[248:249], v[140:141], v[200:201], 0 op_sel_hi:[0,1,0]
	v_pk_fma_f32 v[246:247], v[164:165], v[196:197], v[248:249] op_sel_hi:[0,1,1]
	v_pk_mul_f32 v[246:247], v[246:247], v[108:109]
	v_mov_b32_e32 v252, 0
	v_pk_fma_f32 v[242:243], v[242:243], v[106:107], v[246:247] neg_lo:[0,0,1] neg_hi:[0,0,1]
	v_mov_b32_e32 v247, 0
	v_pk_add_f32 v[46:47], v[46:47], v[242:243]
	v_mov_b32_e32 v242, 0
	v_dot4c_i32_i8_e32 v242, v126, v12
	v_dot4c_i32_i8_e32 v242, v127, v13
	;; [unrolled: 1-line block ×5, first 2 shown]
	v_mov_b32_e32 v8, 0
	v_dot4c_i32_i8_e32 v8, v124, v4
	v_dot4c_i32_i8_e32 v8, v125, v5
	;; [unrolled: 1-line block ×11, first 2 shown]
	v_mul_lo_u32 v0, v241, v163
	v_mul_lo_u32 v1, v242, v163
	v_cvt_f32_i32_e32 v1, v1
	v_cvt_f32_i32_e32 v0, v0
	v_mul_lo_u32 v4, v245, v153
	v_mul_lo_u32 v5, v8, v153
	v_cvt_f32_i32_e32 v5, v5
	v_cvt_f32_i32_e32 v4, v4
	v_pk_fma_f32 v[2:3], v[116:117], v[200:201], 0 op_sel_hi:[0,1,0]
	v_pk_fma_f32 v[0:1], v[198:199], v[0:1], 0 op_sel_hi:[1,1,0]
	;; [unrolled: 1-line block ×3, first 2 shown]
	v_pk_fma_f32 v[0:1], v[194:195], v[4:5], v[0:1]
	v_pk_mul_f32 v[2:3], v[2:3], v[112:113]
	v_mov_b32_e32 v245, 0
	v_pk_fma_f32 v[0:1], v[0:1], v[110:111], v[2:3] neg_lo:[0,0,1] neg_hi:[0,0,1]
	v_mov_b32_e32 v246, 0
	v_pk_add_f32 v[40:41], v[40:41], v[0:1]
	v_or_b32_e32 v0, s1, v206
	v_lshlrev_b32_e32 v1, 2, v0
	v_lshrrev_b32_e32 v194, 1, v0
	ds_read_b128 v[12:15], v1 offset:33280
	ds_read_b128 v[8:11], v1 offset:33296
	;; [unrolled: 1-line block ×4, first 2 shown]
	v_mov_b32_e32 v243, 0
	v_mov_b32_e32 v244, 0
	;; [unrolled: 1-line block ×4, first 2 shown]
	s_waitcnt lgkmcnt(3)
	v_dot4c_i32_i8_e32 v247, v178, v12
	s_waitcnt lgkmcnt(1)
	v_dot4c_i32_i8_e32 v252, v160, v4
	v_dot4c_i32_i8_e32 v245, v134, v12
	;; [unrolled: 1-line block ×32, first 2 shown]
	s_waitcnt lgkmcnt(0)
	v_dot4c_i32_i8_e32 v252, v190, v0
	v_dot4c_i32_i8_e32 v245, v148, v8
	;; [unrolled: 1-line block ×15, first 2 shown]
	v_or_b32_e32 v0, s1, v207
	v_dot4c_i32_i8_e32 v247, v184, v10
	v_dot4c_i32_i8_e32 v252, v192, v2
	;; [unrolled: 1-line block ×8, first 2 shown]
	v_lshlrev_b32_e32 v1, 2, v0
	v_dot4c_i32_i8_e32 v247, v185, v11
	v_dot4c_i32_i8_e32 v252, v193, v3
	;; [unrolled: 1-line block ×8, first 2 shown]
	v_lshrrev_b32_e32 v195, 1, v0
	ds_read_b128 v[12:15], v1 offset:33280
	ds_read_b128 v[8:11], v1 offset:33296
	;; [unrolled: 1-line block ×4, first 2 shown]
	v_mov_b32_e32 v250, 0
	s_waitcnt lgkmcnt(3)
	v_dot4c_i32_i8_e32 v250, v178, v12
	v_mov_b32_e32 v253, 0
	v_dot4c_i32_i8_e32 v250, v179, v13
	s_waitcnt lgkmcnt(1)
	v_dot4c_i32_i8_e32 v253, v160, v4
	v_dot4c_i32_i8_e32 v250, v180, v14
	;; [unrolled: 1-line block ×7, first 2 shown]
	ds_read_b64 v[248:249], v194 offset:43584
	ds_read_b64 v[196:197], v195 offset:43584
	v_dot4c_i32_i8_e32 v250, v183, v9
	s_waitcnt lgkmcnt(2)
	v_dot4c_i32_i8_e32 v253, v190, v0
	v_dot4c_i32_i8_e32 v250, v184, v10
	;; [unrolled: 1-line block ×6, first 2 shown]
	s_waitcnt lgkmcnt(1)
	v_cvt_f32_f16_e32 v198, v248
	v_cvt_f32_f16_sdwa v200, v248 dst_sel:DWORD dst_unused:UNUSED_PAD src0_sel:WORD_1
	v_mul_lo_u32 v247, v247, v237
	v_mul_lo_u32 v248, v250, v237
	s_waitcnt lgkmcnt(0)
	v_cvt_f32_f16_e32 v199, v196
	v_cvt_f32_f16_sdwa v201, v196 dst_sel:DWORD dst_unused:UNUSED_PAD src0_sel:WORD_1
	v_cvt_f32_f16_e32 v194, v249
	v_cvt_f32_f16_sdwa v196, v249 dst_sel:DWORD dst_unused:UNUSED_PAD src0_sel:WORD_1
	v_cvt_f32_i32_e32 v249, v248
	v_cvt_f32_i32_e32 v248, v247
	v_mul_lo_u32 v247, v252, v240
	v_mul_lo_u32 v252, v253, v240
	v_cvt_f32_f16_e32 v195, v197
	v_cvt_f32_i32_e32 v253, v252
	v_cvt_f32_i32_e32 v252, v247
	v_pk_fma_f32 v[248:249], v[248:249], v[198:199], 0 op_sel_hi:[1,1,0]
	v_mov_b32_e32 v247, 0
	v_dot4c_i32_i8_e32 v247, v134, v12
	v_pk_fma_f32 v[248:249], v[252:253], v[194:195], v[248:249]
	v_mov_b32_e32 v252, 0
	v_dot4c_i32_i8_e32 v247, v135, v13
	v_dot4c_i32_i8_e32 v252, v142, v4
	v_cvt_f32_f16_sdwa v197, v197 dst_sel:DWORD dst_unused:UNUSED_PAD src0_sel:WORD_1
	v_dot4c_i32_i8_e32 v247, v146, v14
	v_dot4c_i32_i8_e32 v252, v143, v5
	;; [unrolled: 1-line block ×6, first 2 shown]
	v_pk_fma_f32 v[250:251], v[152:153], v[200:201], 0 op_sel_hi:[0,1,0]
	v_dot4c_i32_i8_e32 v247, v149, v9
	v_dot4c_i32_i8_e32 v252, v168, v0
	v_pk_fma_f32 v[250:251], v[186:187], v[196:197], v[250:251] op_sel_hi:[0,1,1]
	v_dot4c_i32_i8_e32 v247, v154, v10
	v_dot4c_i32_i8_e32 v252, v169, v1
	v_pk_mul_f32 v[250:251], v[250:251], v[100:101]
	v_dot4c_i32_i8_e32 v247, v155, v11
	v_dot4c_i32_i8_e32 v252, v172, v2
	v_pk_fma_f32 v[248:249], v[248:249], v[98:99], v[250:251] neg_lo:[0,0,1] neg_hi:[0,0,1]
	v_dot4c_i32_i8_e32 v252, v173, v3
	v_mul_lo_u32 v245, v245, v165
	v_mul_lo_u32 v247, v247, v165
	v_pk_add_f32 v[38:39], v[38:39], v[248:249]
	v_cvt_f32_i32_e32 v249, v247
	v_cvt_f32_i32_e32 v248, v245
	v_mul_lo_u32 v245, v246, v238
	v_mul_lo_u32 v246, v252, v238
	v_cvt_f32_i32_e32 v247, v246
	v_cvt_f32_i32_e32 v246, v245
	v_pk_fma_f32 v[248:249], v[248:249], v[198:199], 0 op_sel_hi:[1,1,0]
	v_pk_fma_f32 v[250:251], v[138:139], v[200:201], 0 op_sel_hi:[0,1,0]
	v_mov_b32_e32 v245, 0
	v_pk_fma_f32 v[246:247], v[246:247], v[194:195], v[248:249]
	v_pk_fma_f32 v[248:249], v[162:163], v[196:197], v[250:251] op_sel_hi:[0,1,1]
	v_mov_b32_e32 v250, 0
	v_dot4c_i32_i8_e32 v245, v136, v12
	v_dot4c_i32_i8_e32 v250, v144, v4
	;; [unrolled: 1-line block ×12, first 2 shown]
	v_pk_mul_f32 v[248:249], v[248:249], v[104:105]
	v_dot4c_i32_i8_e32 v245, v158, v10
	v_dot4c_i32_i8_e32 v250, v176, v2
	v_pk_fma_f32 v[246:247], v[246:247], v[102:103], v[248:249] neg_lo:[0,0,1] neg_hi:[0,0,1]
	v_dot4c_i32_i8_e32 v245, v159, v11
	v_dot4c_i32_i8_e32 v250, v177, v3
	v_mul_lo_u32 v243, v243, v187
	v_pk_add_f32 v[36:37], v[36:37], v[246:247]
	v_mul_lo_u32 v245, v245, v187
	v_cvt_f32_i32_e32 v246, v243
	v_mul_lo_u32 v243, v244, v239
	v_mul_lo_u32 v244, v250, v239
	v_cvt_f32_i32_e32 v247, v245
	v_cvt_f32_i32_e32 v245, v244
	;; [unrolled: 1-line block ×3, first 2 shown]
	v_mov_b32_e32 v243, 0
	v_dot4c_i32_i8_e32 v243, v126, v12
	v_dot4c_i32_i8_e32 v243, v127, v13
	v_dot4c_i32_i8_e32 v243, v128, v14
	v_dot4c_i32_i8_e32 v243, v129, v15
	v_dot4c_i32_i8_e32 v243, v130, v8
	v_mov_b32_e32 v8, 0
	v_dot4c_i32_i8_e32 v8, v124, v4
	v_dot4c_i32_i8_e32 v8, v125, v5
	v_dot4c_i32_i8_e32 v8, v118, v6
	v_dot4c_i32_i8_e32 v8, v119, v7
	v_dot4c_i32_i8_e32 v243, v131, v9
	v_dot4c_i32_i8_e32 v8, v120, v0
	v_dot4c_i32_i8_e32 v243, v132, v10
	v_dot4c_i32_i8_e32 v8, v121, v1
	v_dot4c_i32_i8_e32 v243, v133, v11
	v_dot4c_i32_i8_e32 v8, v122, v2
	v_dot4c_i32_i8_e32 v8, v123, v3
	v_mul_lo_u32 v0, v241, v163
	v_mul_lo_u32 v1, v243, v163
	v_cvt_f32_i32_e32 v1, v1
	v_cvt_f32_i32_e32 v0, v0
	v_mul_lo_u32 v4, v242, v153
	v_mul_lo_u32 v5, v8, v153
	v_cvt_f32_i32_e32 v5, v5
	v_cvt_f32_i32_e32 v4, v4
	v_pk_fma_f32 v[2:3], v[116:117], v[200:201], 0 op_sel_hi:[0,1,0]
	v_pk_fma_f32 v[0:1], v[0:1], v[198:199], 0 op_sel_hi:[1,1,0]
	;; [unrolled: 1-line block ×3, first 2 shown]
	v_pk_fma_f32 v[0:1], v[4:5], v[194:195], v[0:1]
	v_pk_mul_f32 v[2:3], v[2:3], v[112:113]
	v_pk_fma_f32 v[246:247], v[246:247], v[198:199], 0 op_sel_hi:[1,1,0]
	v_pk_fma_f32 v[0:1], v[0:1], v[110:111], v[2:3] neg_lo:[0,0,1] neg_hi:[0,0,1]
	v_pk_fma_f32 v[248:249], v[140:141], v[200:201], 0 op_sel_hi:[0,1,0]
	v_pk_add_f32 v[32:33], v[32:33], v[0:1]
	v_or_b32_e32 v0, s1, v208
	v_lshlrev_b32_e32 v1, 2, v0
	v_pk_fma_f32 v[244:245], v[244:245], v[194:195], v[246:247]
	v_pk_fma_f32 v[246:247], v[164:165], v[196:197], v[248:249] op_sel_hi:[0,1,1]
	v_lshrrev_b32_e32 v194, 1, v0
	ds_read_b128 v[12:15], v1 offset:33280
	ds_read_b128 v[8:11], v1 offset:33296
	ds_read_b128 v[4:7], v1 offset:33312
	ds_read_b128 v[0:3], v1 offset:33328
	v_pk_mul_f32 v[246:247], v[246:247], v[108:109]
	v_mov_b32_e32 v252, 0
	v_pk_fma_f32 v[244:245], v[244:245], v[106:107], v[246:247] neg_lo:[0,0,1] neg_hi:[0,0,1]
	v_mov_b32_e32 v247, 0
	v_pk_add_f32 v[34:35], v[34:35], v[244:245]
	v_mov_b32_e32 v245, 0
	v_mov_b32_e32 v246, 0
	;; [unrolled: 1-line block ×6, first 2 shown]
	s_waitcnt lgkmcnt(3)
	v_dot4c_i32_i8_e32 v247, v178, v12
	s_waitcnt lgkmcnt(1)
	v_dot4c_i32_i8_e32 v252, v160, v4
	v_dot4c_i32_i8_e32 v245, v134, v12
	;; [unrolled: 1-line block ×32, first 2 shown]
	s_waitcnt lgkmcnt(0)
	v_dot4c_i32_i8_e32 v252, v190, v0
	v_dot4c_i32_i8_e32 v245, v148, v8
	;; [unrolled: 1-line block ×15, first 2 shown]
	v_or_b32_e32 v0, s1, v209
	v_dot4c_i32_i8_e32 v247, v184, v10
	v_dot4c_i32_i8_e32 v252, v192, v2
	;; [unrolled: 1-line block ×8, first 2 shown]
	v_lshlrev_b32_e32 v1, 2, v0
	v_dot4c_i32_i8_e32 v247, v185, v11
	v_dot4c_i32_i8_e32 v252, v193, v3
	;; [unrolled: 1-line block ×8, first 2 shown]
	v_lshrrev_b32_e32 v195, 1, v0
	ds_read_b128 v[12:15], v1 offset:33280
	ds_read_b128 v[8:11], v1 offset:33296
	ds_read_b128 v[4:7], v1 offset:33312
	ds_read_b128 v[0:3], v1 offset:33328
	v_mov_b32_e32 v250, 0
	s_waitcnt lgkmcnt(3)
	v_dot4c_i32_i8_e32 v250, v178, v12
	v_mov_b32_e32 v253, 0
	v_dot4c_i32_i8_e32 v250, v179, v13
	s_waitcnt lgkmcnt(1)
	v_dot4c_i32_i8_e32 v253, v160, v4
	v_dot4c_i32_i8_e32 v250, v180, v14
	;; [unrolled: 1-line block ×7, first 2 shown]
	ds_read_b64 v[248:249], v194 offset:43584
	ds_read_b64 v[196:197], v195 offset:43584
	v_dot4c_i32_i8_e32 v250, v183, v9
	s_waitcnt lgkmcnt(2)
	v_dot4c_i32_i8_e32 v253, v190, v0
	v_dot4c_i32_i8_e32 v250, v184, v10
	;; [unrolled: 1-line block ×6, first 2 shown]
	s_waitcnt lgkmcnt(1)
	v_cvt_f32_f16_e32 v198, v248
	v_cvt_f32_f16_sdwa v200, v248 dst_sel:DWORD dst_unused:UNUSED_PAD src0_sel:WORD_1
	v_mul_lo_u32 v247, v247, v237
	v_mul_lo_u32 v248, v250, v237
	s_waitcnt lgkmcnt(0)
	v_cvt_f32_f16_e32 v199, v196
	v_cvt_f32_f16_sdwa v201, v196 dst_sel:DWORD dst_unused:UNUSED_PAD src0_sel:WORD_1
	v_cvt_f32_f16_e32 v194, v249
	v_cvt_f32_f16_sdwa v196, v249 dst_sel:DWORD dst_unused:UNUSED_PAD src0_sel:WORD_1
	v_cvt_f32_i32_e32 v249, v248
	v_cvt_f32_i32_e32 v248, v247
	v_mul_lo_u32 v247, v252, v240
	v_mul_lo_u32 v252, v253, v240
	v_cvt_f32_f16_e32 v195, v197
	v_cvt_f32_i32_e32 v253, v252
	v_cvt_f32_i32_e32 v252, v247
	v_pk_fma_f32 v[248:249], v[248:249], v[198:199], 0 op_sel_hi:[1,1,0]
	v_mov_b32_e32 v247, 0
	v_dot4c_i32_i8_e32 v247, v134, v12
	v_pk_fma_f32 v[248:249], v[252:253], v[194:195], v[248:249]
	v_mov_b32_e32 v252, 0
	v_dot4c_i32_i8_e32 v247, v135, v13
	v_dot4c_i32_i8_e32 v252, v142, v4
	v_cvt_f32_f16_sdwa v197, v197 dst_sel:DWORD dst_unused:UNUSED_PAD src0_sel:WORD_1
	v_dot4c_i32_i8_e32 v247, v146, v14
	v_dot4c_i32_i8_e32 v252, v143, v5
	;; [unrolled: 1-line block ×6, first 2 shown]
	v_pk_fma_f32 v[250:251], v[152:153], v[200:201], 0 op_sel_hi:[0,1,0]
	v_dot4c_i32_i8_e32 v247, v149, v9
	v_dot4c_i32_i8_e32 v252, v168, v0
	v_pk_fma_f32 v[250:251], v[186:187], v[196:197], v[250:251] op_sel_hi:[0,1,1]
	v_dot4c_i32_i8_e32 v247, v154, v10
	v_dot4c_i32_i8_e32 v252, v169, v1
	v_pk_mul_f32 v[250:251], v[250:251], v[100:101]
	v_dot4c_i32_i8_e32 v247, v155, v11
	v_dot4c_i32_i8_e32 v252, v172, v2
	v_pk_fma_f32 v[248:249], v[248:249], v[98:99], v[250:251] neg_lo:[0,0,1] neg_hi:[0,0,1]
	v_dot4c_i32_i8_e32 v252, v173, v3
	v_mul_lo_u32 v245, v245, v165
	v_mul_lo_u32 v247, v247, v165
	v_pk_add_f32 v[30:31], v[30:31], v[248:249]
	v_cvt_f32_i32_e32 v249, v247
	v_cvt_f32_i32_e32 v248, v245
	v_mul_lo_u32 v245, v246, v238
	v_mul_lo_u32 v246, v252, v238
	v_cvt_f32_i32_e32 v247, v246
	v_cvt_f32_i32_e32 v246, v245
	v_pk_fma_f32 v[248:249], v[248:249], v[198:199], 0 op_sel_hi:[1,1,0]
	v_pk_fma_f32 v[250:251], v[138:139], v[200:201], 0 op_sel_hi:[0,1,0]
	v_mov_b32_e32 v245, 0
	v_pk_fma_f32 v[246:247], v[246:247], v[194:195], v[248:249]
	v_pk_fma_f32 v[248:249], v[162:163], v[196:197], v[250:251] op_sel_hi:[0,1,1]
	v_mov_b32_e32 v250, 0
	v_dot4c_i32_i8_e32 v245, v136, v12
	v_dot4c_i32_i8_e32 v250, v144, v4
	;; [unrolled: 1-line block ×12, first 2 shown]
	v_pk_mul_f32 v[248:249], v[248:249], v[104:105]
	v_dot4c_i32_i8_e32 v245, v158, v10
	v_dot4c_i32_i8_e32 v250, v176, v2
	v_pk_fma_f32 v[246:247], v[246:247], v[102:103], v[248:249] neg_lo:[0,0,1] neg_hi:[0,0,1]
	v_dot4c_i32_i8_e32 v245, v159, v11
	v_dot4c_i32_i8_e32 v250, v177, v3
	v_mul_lo_u32 v243, v243, v187
	v_pk_add_f32 v[28:29], v[28:29], v[246:247]
	v_mul_lo_u32 v245, v245, v187
	v_cvt_f32_i32_e32 v246, v243
	v_mul_lo_u32 v243, v244, v239
	v_mul_lo_u32 v244, v250, v239
	v_cvt_f32_i32_e32 v247, v245
	v_cvt_f32_i32_e32 v245, v244
	;; [unrolled: 1-line block ×3, first 2 shown]
	v_mov_b32_e32 v243, 0
	v_dot4c_i32_i8_e32 v243, v126, v12
	v_dot4c_i32_i8_e32 v243, v127, v13
	;; [unrolled: 1-line block ×5, first 2 shown]
	v_mov_b32_e32 v8, 0
	v_dot4c_i32_i8_e32 v8, v124, v4
	v_dot4c_i32_i8_e32 v8, v125, v5
	;; [unrolled: 1-line block ×11, first 2 shown]
	v_mul_lo_u32 v0, v241, v163
	v_mul_lo_u32 v1, v243, v163
	v_cvt_f32_i32_e32 v1, v1
	v_cvt_f32_i32_e32 v0, v0
	v_mul_lo_u32 v4, v242, v153
	v_mul_lo_u32 v5, v8, v153
	v_cvt_f32_i32_e32 v5, v5
	v_cvt_f32_i32_e32 v4, v4
	v_pk_fma_f32 v[2:3], v[116:117], v[200:201], 0 op_sel_hi:[0,1,0]
	v_pk_fma_f32 v[0:1], v[0:1], v[198:199], 0 op_sel_hi:[1,1,0]
	;; [unrolled: 1-line block ×3, first 2 shown]
	v_pk_fma_f32 v[0:1], v[4:5], v[194:195], v[0:1]
	v_pk_mul_f32 v[2:3], v[2:3], v[112:113]
	v_pk_fma_f32 v[246:247], v[246:247], v[198:199], 0 op_sel_hi:[1,1,0]
	v_pk_fma_f32 v[0:1], v[0:1], v[110:111], v[2:3] neg_lo:[0,0,1] neg_hi:[0,0,1]
	v_pk_fma_f32 v[248:249], v[140:141], v[200:201], 0 op_sel_hi:[0,1,0]
	v_pk_add_f32 v[24:25], v[24:25], v[0:1]
	v_or_b32_e32 v0, s1, v210
	v_lshlrev_b32_e32 v1, 2, v0
	v_lshrrev_b32_e32 v199, 1, v0
	ds_read_b128 v[12:15], v1 offset:33280
	ds_read_b128 v[8:11], v1 offset:33296
	;; [unrolled: 1-line block ×4, first 2 shown]
	v_pk_fma_f32 v[244:245], v[244:245], v[194:195], v[246:247]
	v_pk_fma_f32 v[246:247], v[164:165], v[196:197], v[248:249] op_sel_hi:[0,1,1]
	v_mov_b32_e32 v201, 0
	v_mov_b32_e32 v241, 0
	;; [unrolled: 1-line block ×8, first 2 shown]
	s_waitcnt lgkmcnt(3)
	v_dot4c_i32_i8_e32 v201, v178, v12
	s_waitcnt lgkmcnt(1)
	v_dot4c_i32_i8_e32 v241, v160, v4
	v_dot4c_i32_i8_e32 v198, v134, v12
	;; [unrolled: 1-line block ×32, first 2 shown]
	s_waitcnt lgkmcnt(0)
	v_dot4c_i32_i8_e32 v241, v190, v0
	v_dot4c_i32_i8_e32 v198, v148, v8
	v_dot4c_i32_i8_e32 v200, v168, v0
	v_dot4c_i32_i8_e32 v196, v156, v8
	v_dot4c_i32_i8_e32 v197, v174, v0
	v_dot4c_i32_i8_e32 v195, v130, v8
	v_dot4c_i32_i8_e32 v194, v120, v0
	v_dot4c_i32_i8_e32 v201, v183, v9
	v_dot4c_i32_i8_e32 v241, v191, v1
	v_dot4c_i32_i8_e32 v198, v149, v9
	v_dot4c_i32_i8_e32 v200, v169, v1
	v_dot4c_i32_i8_e32 v196, v157, v9
	v_dot4c_i32_i8_e32 v197, v175, v1
	v_dot4c_i32_i8_e32 v195, v131, v9
	v_dot4c_i32_i8_e32 v194, v121, v1
	v_or_b32_e32 v0, s1, v211
	v_dot4c_i32_i8_e32 v201, v184, v10
	v_dot4c_i32_i8_e32 v241, v192, v2
	;; [unrolled: 1-line block ×8, first 2 shown]
	v_lshlrev_b32_e32 v1, 2, v0
	v_dot4c_i32_i8_e32 v201, v185, v11
	v_dot4c_i32_i8_e32 v241, v193, v3
	;; [unrolled: 1-line block ×8, first 2 shown]
	v_lshrrev_b32_e32 v242, 1, v0
	ds_read_b128 v[12:15], v1 offset:33280
	ds_read_b128 v[8:11], v1 offset:33296
	;; [unrolled: 1-line block ×4, first 2 shown]
	v_mov_b32_e32 v243, 0
	s_waitcnt lgkmcnt(3)
	v_dot4c_i32_i8_e32 v243, v178, v12
	v_dot4c_i32_i8_e32 v243, v179, v13
	;; [unrolled: 1-line block ×3, first 2 shown]
	v_pk_mul_f32 v[246:247], v[246:247], v[108:109]
	v_dot4c_i32_i8_e32 v243, v181, v15
	v_pk_fma_f32 v[244:245], v[244:245], v[106:107], v[246:247] neg_lo:[0,0,1] neg_hi:[0,0,1]
	s_waitcnt lgkmcnt(2)
	v_dot4c_i32_i8_e32 v243, v182, v8
	v_pk_add_f32 v[26:27], v[26:27], v[244:245]
	v_dot4c_i32_i8_e32 v243, v183, v9
	v_mov_b32_e32 v244, 0
	v_dot4c_i32_i8_e32 v243, v184, v10
	s_waitcnt lgkmcnt(1)
	v_dot4c_i32_i8_e32 v244, v160, v4
	v_dot4c_i32_i8_e32 v243, v185, v11
	v_dot4c_i32_i8_e32 v244, v161, v5
	ds_read_b64 v[184:185], v199 offset:43584
	ds_read_b64 v[160:161], v242 offset:43584
	v_dot4c_i32_i8_e32 v244, v188, v6
	v_dot4c_i32_i8_e32 v244, v189, v7
	s_waitcnt lgkmcnt(2)
	v_dot4c_i32_i8_e32 v244, v190, v0
	s_waitcnt lgkmcnt(1)
	v_cvt_f32_f16_sdwa v180, v184 dst_sel:DWORD dst_unused:UNUSED_PAD src0_sel:WORD_1
	s_waitcnt lgkmcnt(0)
	v_cvt_f32_f16_sdwa v181, v160 dst_sel:DWORD dst_unused:UNUSED_PAD src0_sel:WORD_1
	v_dot4c_i32_i8_e32 v244, v191, v1
	v_dot4c_i32_i8_e32 v244, v192, v2
	;; [unrolled: 1-line block ×3, first 2 shown]
	v_pk_fma_f32 v[188:189], v[152:153], v[180:181], 0 op_sel_hi:[0,1,0]
	v_mul_lo_u32 v152, v241, v240
	v_cvt_f32_f16_e32 v183, v160
	v_mul_lo_u32 v190, v244, v240
	v_cvt_f32_i32_e32 v191, v190
	v_cvt_f32_i32_e32 v190, v152
	v_mov_b32_e32 v152, 0
	v_dot4c_i32_i8_e32 v152, v134, v12
	v_dot4c_i32_i8_e32 v152, v135, v13
	;; [unrolled: 1-line block ×3, first 2 shown]
	v_mov_b32_e32 v146, 0
	v_dot4c_i32_i8_e32 v146, v142, v4
	v_dot4c_i32_i8_e32 v146, v143, v5
	;; [unrolled: 1-line block ×13, first 2 shown]
	v_mul_lo_u32 v134, v198, v165
	v_mul_lo_u32 v135, v152, v165
	v_cvt_f32_f16_e32 v182, v184
	v_cvt_f32_f16_e32 v179, v161
	v_cvt_f32_f16_sdwa v161, v161 dst_sel:DWORD dst_unused:UNUSED_PAD src0_sel:WORD_1
	v_cvt_f32_f16_sdwa v160, v185 dst_sel:DWORD dst_unused:UNUSED_PAD src0_sel:WORD_1
	v_cvt_f32_i32_e32 v135, v135
	v_cvt_f32_i32_e32 v134, v134
	v_pk_fma_f32 v[142:143], v[138:139], v[180:181], 0 op_sel_hi:[0,1,0]
	v_mul_lo_u32 v138, v200, v238
	v_mul_lo_u32 v146, v146, v238
	v_cvt_f32_f16_e32 v178, v185
	v_cvt_f32_i32_e32 v147, v146
	v_cvt_f32_i32_e32 v146, v138
	v_pk_fma_f32 v[134:135], v[134:135], v[182:183], 0 op_sel_hi:[1,1,0]
	v_pk_fma_f32 v[142:143], v[162:163], v[160:161], v[142:143] op_sel_hi:[0,1,1]
	v_pk_mul_f32 v[142:143], v[142:143], v[104:105]
	v_pk_fma_f32 v[134:135], v[146:147], v[178:179], v[134:135]
	v_mov_b32_e32 v138, 0
	v_pk_fma_f32 v[134:135], v[134:135], v[102:103], v[142:143] neg_lo:[0,0,1] neg_hi:[0,0,1]
	v_dot4c_i32_i8_e32 v138, v144, v4
	v_pk_add_f32 v[20:21], v[20:21], v[134:135]
	v_mov_b32_e32 v134, 0
	v_dot4c_i32_i8_e32 v134, v136, v12
	v_dot4c_i32_i8_e32 v134, v137, v13
	;; [unrolled: 1-line block ×15, first 2 shown]
	v_mul_lo_u32 v136, v196, v187
	v_mul_lo_u32 v134, v134, v187
	v_cvt_f32_i32_e32 v135, v134
	v_cvt_f32_i32_e32 v134, v136
	v_pk_fma_f32 v[136:137], v[140:141], v[180:181], 0 op_sel_hi:[0,1,0]
	v_mul_lo_u32 v140, v197, v239
	v_mul_lo_u32 v138, v138, v239
	v_cvt_f32_i32_e32 v143, v138
	v_cvt_f32_i32_e32 v142, v140
	v_pk_fma_f32 v[134:135], v[134:135], v[182:183], 0 op_sel_hi:[1,1,0]
	v_pk_fma_f32 v[136:137], v[164:165], v[160:161], v[136:137] op_sel_hi:[0,1,1]
	v_pk_mul_f32 v[136:137], v[136:137], v[108:109]
	v_pk_fma_f32 v[134:135], v[142:143], v[178:179], v[134:135]
	v_mul_lo_u32 v184, v201, v237
	v_pk_fma_f32 v[134:135], v[134:135], v[106:107], v[136:137] neg_lo:[0,0,1] neg_hi:[0,0,1]
	v_mul_lo_u32 v185, v243, v237
	v_pk_add_f32 v[18:19], v[18:19], v[134:135]
	v_mov_b32_e32 v134, 0
	v_dot4c_i32_i8_e32 v134, v126, v12
	v_dot4c_i32_i8_e32 v134, v127, v13
	;; [unrolled: 1-line block ×5, first 2 shown]
	v_mov_b32_e32 v8, 0
	v_dot4c_i32_i8_e32 v8, v124, v4
	v_dot4c_i32_i8_e32 v8, v125, v5
	;; [unrolled: 1-line block ×11, first 2 shown]
	v_mul_lo_u32 v0, v195, v163
	v_mul_lo_u32 v1, v134, v163
	v_cvt_f32_i32_e32 v185, v185
	v_cvt_f32_i32_e32 v184, v184
	v_cvt_f32_i32_e32 v1, v1
	v_cvt_f32_i32_e32 v0, v0
	v_mul_lo_u32 v4, v194, v153
	v_mul_lo_u32 v5, v8, v153
	v_cvt_f32_i32_e32 v5, v5
	v_cvt_f32_i32_e32 v4, v4
	v_pk_fma_f32 v[2:3], v[116:117], v[180:181], 0 op_sel_hi:[0,1,0]
	v_pk_fma_f32 v[184:185], v[184:185], v[182:183], 0 op_sel_hi:[1,1,0]
	;; [unrolled: 1-line block ×5, first 2 shown]
	v_pk_fma_f32 v[184:185], v[190:191], v[178:179], v[184:185]
	v_pk_mul_f32 v[188:189], v[188:189], v[100:101]
	v_pk_fma_f32 v[0:1], v[4:5], v[178:179], v[0:1]
	v_pk_mul_f32 v[2:3], v[2:3], v[112:113]
	v_pk_fma_f32 v[184:185], v[184:185], v[98:99], v[188:189] neg_lo:[0,0,1] neg_hi:[0,0,1]
	v_pk_fma_f32 v[0:1], v[0:1], v[110:111], v[2:3] neg_lo:[0,0,1] neg_hi:[0,0,1]
	s_add_i32 s1, s0, 8
	v_pk_add_f32 v[22:23], v[22:23], v[184:185]
	v_pk_add_f32 v[16:17], v[16:17], v[0:1]
	s_cmp_lt_u32 s0, 24
	s_mov_b32 s0, s1
	s_cbranch_scc1 .LBB133_8
; %bb.9:                                ;   in Loop: Header=BB133_5 Depth=1
	s_add_i32 s14, s14, 1
	s_cmp_eq_u32 s14, s4
	s_barrier
	s_cbranch_scc0 .LBB133_5
; %bb.10:
	v_mov_b32_e32 v1, v55
.LBB133_11:
	v_cmp_gt_u32_e32 vcc, s8, v57
	s_and_saveexec_b64 s[0:1], vcc
	s_cbranch_execz .LBB133_62
; %bb.12:
	v_add_u32_e32 v0, s6, v45
	v_mul_lo_u32 v5, v57, s10
	v_cmp_gt_u32_e32 vcc, s10, v0
	s_and_saveexec_b64 s[0:1], vcc
	s_cbranch_execz .LBB133_14
; %bb.13:
	v_add_u32_e32 v2, v0, v5
	v_mov_b32_e32 v3, 0
	s_waitcnt lgkmcnt(0)
	v_lshl_add_u64 v[2:3], v[2:3], 2, s[12:13]
	global_store_dword v[2:3], v42, off
.LBB133_14:
	s_or_b64 exec, exec, s[0:1]
	v_add_u32_e32 v2, 32, v0
	v_cmp_gt_u32_e64 s[0:1], s10, v2
	s_and_saveexec_b64 s[2:3], s[0:1]
	s_cbranch_execz .LBB133_16
; %bb.15:
	v_add_u32_e32 v6, v2, v5
	v_mov_b32_e32 v7, 0
	s_waitcnt lgkmcnt(0)
	v_lshl_add_u64 v[6:7], v[6:7], 2, s[12:13]
	global_store_dword v[6:7], v52, off
.LBB133_16:
	s_or_b64 exec, exec, s[2:3]
	v_add_u32_e32 v3, 64, v0
	v_cmp_gt_u32_e64 s[2:3], s10, v3
	s_and_saveexec_b64 s[4:5], s[2:3]
	;; [unrolled: 12-line block ×3, first 2 shown]
	s_cbranch_execz .LBB133_20
; %bb.19:
	v_add_u32_e32 v6, v4, v5
	v_mov_b32_e32 v7, 0
	s_waitcnt lgkmcnt(0)
	v_lshl_add_u64 v[6:7], v[6:7], 2, s[12:13]
	global_store_dword v[6:7], v40, off
.LBB133_20:
	s_or_b64 exec, exec, s[6:7]
	v_add3_u32 v5, v1, s11, 8
	v_cmp_gt_u32_e64 s[6:7], s8, v5
	s_and_b64 exec, exec, s[6:7]
	s_cbranch_execz .LBB133_62
; %bb.21:
	v_mul_lo_u32 v5, v5, s10
	s_and_saveexec_b64 s[6:7], vcc
	s_cbranch_execnz .LBB133_63
; %bb.22:
	s_or_b64 exec, exec, s[6:7]
	s_and_saveexec_b64 s[6:7], s[0:1]
	s_cbranch_execnz .LBB133_64
.LBB133_23:
	s_or_b64 exec, exec, s[6:7]
	s_and_saveexec_b64 s[6:7], s[2:3]
	s_cbranch_execnz .LBB133_65
.LBB133_24:
	s_or_b64 exec, exec, s[6:7]
	s_and_saveexec_b64 s[6:7], s[4:5]
	s_cbranch_execz .LBB133_26
.LBB133_25:
	v_add_u32_e32 v6, v5, v4
	v_mov_b32_e32 v7, 0
	s_waitcnt lgkmcnt(0)
	v_lshl_add_u64 v[6:7], v[6:7], 2, s[12:13]
	global_store_dword v[6:7], v41, off
.LBB133_26:
	s_or_b64 exec, exec, s[6:7]
	v_add3_u32 v5, v1, s11, 16
	v_cmp_gt_u32_e64 s[6:7], s8, v5
	s_and_b64 exec, exec, s[6:7]
	s_cbranch_execz .LBB133_62
; %bb.27:
	v_mul_lo_u32 v5, v5, s10
	s_and_saveexec_b64 s[6:7], vcc
	s_cbranch_execnz .LBB133_66
; %bb.28:
	s_or_b64 exec, exec, s[6:7]
	s_and_saveexec_b64 s[6:7], s[0:1]
	s_cbranch_execnz .LBB133_67
.LBB133_29:
	s_or_b64 exec, exec, s[6:7]
	s_and_saveexec_b64 s[6:7], s[2:3]
	s_cbranch_execnz .LBB133_68
.LBB133_30:
	s_or_b64 exec, exec, s[6:7]
	s_and_saveexec_b64 s[6:7], s[4:5]
	s_cbranch_execz .LBB133_32
.LBB133_31:
	v_add_u32_e32 v6, v5, v4
	v_mov_b32_e32 v7, 0
	s_waitcnt lgkmcnt(0)
	v_lshl_add_u64 v[6:7], v[6:7], 2, s[12:13]
	global_store_dword v[6:7], v32, off
.LBB133_32:
	s_or_b64 exec, exec, s[6:7]
	v_add3_u32 v5, v1, s11, 24
	v_cmp_gt_u32_e64 s[6:7], s8, v5
	s_and_b64 exec, exec, s[6:7]
	s_cbranch_execz .LBB133_62
; %bb.33:
	v_mul_lo_u32 v5, v5, s10
	s_and_saveexec_b64 s[6:7], vcc
	s_cbranch_execnz .LBB133_69
; %bb.34:
	s_or_b64 exec, exec, s[6:7]
	s_and_saveexec_b64 s[6:7], s[0:1]
	s_cbranch_execnz .LBB133_70
.LBB133_35:
	s_or_b64 exec, exec, s[6:7]
	s_and_saveexec_b64 s[6:7], s[2:3]
	s_cbranch_execnz .LBB133_71
.LBB133_36:
	s_or_b64 exec, exec, s[6:7]
	s_and_saveexec_b64 s[6:7], s[4:5]
	s_cbranch_execz .LBB133_38
.LBB133_37:
	v_add_u32_e32 v6, v5, v4
	v_mov_b32_e32 v7, 0
	s_waitcnt lgkmcnt(0)
	v_lshl_add_u64 v[6:7], v[6:7], 2, s[12:13]
	global_store_dword v[6:7], v33, off
.LBB133_38:
	s_or_b64 exec, exec, s[6:7]
	v_add3_u32 v5, v1, s11, 32
	v_cmp_gt_u32_e64 s[6:7], s8, v5
	s_and_b64 exec, exec, s[6:7]
	s_cbranch_execz .LBB133_62
; %bb.39:
	v_mul_lo_u32 v5, v5, s10
	s_and_saveexec_b64 s[6:7], vcc
	s_cbranch_execnz .LBB133_72
; %bb.40:
	s_or_b64 exec, exec, s[6:7]
	s_and_saveexec_b64 s[6:7], s[0:1]
	s_cbranch_execnz .LBB133_73
.LBB133_41:
	s_or_b64 exec, exec, s[6:7]
	s_and_saveexec_b64 s[6:7], s[2:3]
	s_cbranch_execnz .LBB133_74
.LBB133_42:
	s_or_b64 exec, exec, s[6:7]
	s_and_saveexec_b64 s[6:7], s[4:5]
	s_cbranch_execz .LBB133_44
.LBB133_43:
	v_add_u32_e32 v6, v5, v4
	v_mov_b32_e32 v7, 0
	s_waitcnt lgkmcnt(0)
	v_lshl_add_u64 v[6:7], v[6:7], 2, s[12:13]
	global_store_dword v[6:7], v24, off
.LBB133_44:
	s_or_b64 exec, exec, s[6:7]
	v_add3_u32 v5, v1, s11, 40
	v_cmp_gt_u32_e64 s[6:7], s8, v5
	s_and_b64 exec, exec, s[6:7]
	s_cbranch_execz .LBB133_62
; %bb.45:
	v_mul_lo_u32 v5, v5, s10
	s_and_saveexec_b64 s[6:7], vcc
	s_cbranch_execnz .LBB133_75
; %bb.46:
	s_or_b64 exec, exec, s[6:7]
	s_and_saveexec_b64 s[6:7], s[0:1]
	s_cbranch_execnz .LBB133_76
.LBB133_47:
	s_or_b64 exec, exec, s[6:7]
	s_and_saveexec_b64 s[6:7], s[2:3]
	s_cbranch_execnz .LBB133_77
.LBB133_48:
	s_or_b64 exec, exec, s[6:7]
	s_and_saveexec_b64 s[6:7], s[4:5]
	s_cbranch_execz .LBB133_50
.LBB133_49:
	v_add_u32_e32 v6, v5, v4
	v_mov_b32_e32 v7, 0
	s_waitcnt lgkmcnt(0)
	v_lshl_add_u64 v[6:7], v[6:7], 2, s[12:13]
	global_store_dword v[6:7], v25, off
.LBB133_50:
	s_or_b64 exec, exec, s[6:7]
	v_add3_u32 v5, v1, s11, 48
	v_cmp_gt_u32_e64 s[6:7], s8, v5
	s_and_b64 exec, exec, s[6:7]
	s_cbranch_execz .LBB133_62
; %bb.51:
	v_mul_lo_u32 v5, v5, s10
	s_and_saveexec_b64 s[6:7], vcc
	s_cbranch_execnz .LBB133_78
; %bb.52:
	s_or_b64 exec, exec, s[6:7]
	s_and_saveexec_b64 s[6:7], s[0:1]
	s_cbranch_execnz .LBB133_79
.LBB133_53:
	s_or_b64 exec, exec, s[6:7]
	s_and_saveexec_b64 s[6:7], s[2:3]
	s_cbranch_execnz .LBB133_80
.LBB133_54:
	s_or_b64 exec, exec, s[6:7]
	s_and_saveexec_b64 s[6:7], s[4:5]
	s_cbranch_execz .LBB133_56
.LBB133_55:
	v_add_u32_e32 v6, v5, v4
	v_mov_b32_e32 v7, 0
	s_waitcnt lgkmcnt(0)
	v_lshl_add_u64 v[6:7], v[6:7], 2, s[12:13]
	global_store_dword v[6:7], v16, off
.LBB133_56:
	s_or_b64 exec, exec, s[6:7]
	v_add3_u32 v1, v1, s11, 56
	v_cmp_gt_u32_e64 s[6:7], s8, v1
	s_and_b64 exec, exec, s[6:7]
	s_cbranch_execz .LBB133_62
; %bb.57:
	v_mul_lo_u32 v1, v1, s10
	s_and_saveexec_b64 s[6:7], vcc
	s_cbranch_execnz .LBB133_81
; %bb.58:
	s_or_b64 exec, exec, s[6:7]
	s_and_saveexec_b64 s[6:7], s[0:1]
	s_cbranch_execnz .LBB133_82
.LBB133_59:
	s_or_b64 exec, exec, s[6:7]
	s_and_saveexec_b64 s[0:1], s[2:3]
	s_cbranch_execnz .LBB133_83
.LBB133_60:
	s_or_b64 exec, exec, s[0:1]
	s_and_b64 exec, exec, s[4:5]
	s_cbranch_execz .LBB133_62
.LBB133_61:
	v_add_u32_e32 v0, v1, v4
	v_mov_b32_e32 v1, 0
	s_waitcnt lgkmcnt(0)
	v_lshl_add_u64 v[0:1], v[0:1], 2, s[12:13]
	global_store_dword v[0:1], v17, off
.LBB133_62:
	s_endpgm
.LBB133_63:
	v_add_u32_e32 v6, v5, v0
	v_mov_b32_e32 v7, 0
	s_waitcnt lgkmcnt(0)
	v_lshl_add_u64 v[6:7], v[6:7], 2, s[12:13]
	global_store_dword v[6:7], v43, off
	s_or_b64 exec, exec, s[6:7]
	s_and_saveexec_b64 s[6:7], s[0:1]
	s_cbranch_execz .LBB133_23
.LBB133_64:
	v_add_u32_e32 v6, v5, v2
	v_mov_b32_e32 v7, 0
	s_waitcnt lgkmcnt(0)
	v_lshl_add_u64 v[6:7], v[6:7], 2, s[12:13]
	global_store_dword v[6:7], v53, off
	s_or_b64 exec, exec, s[6:7]
	s_and_saveexec_b64 s[6:7], s[2:3]
	s_cbranch_execz .LBB133_24
.LBB133_65:
	v_add_u32_e32 v6, v5, v3
	v_mov_b32_e32 v7, 0
	s_waitcnt lgkmcnt(0)
	v_lshl_add_u64 v[6:7], v[6:7], 2, s[12:13]
	global_store_dword v[6:7], v47, off
	s_or_b64 exec, exec, s[6:7]
	s_and_saveexec_b64 s[6:7], s[4:5]
	s_cbranch_execnz .LBB133_25
	s_branch .LBB133_26
.LBB133_66:
	v_add_u32_e32 v6, v5, v0
	v_mov_b32_e32 v7, 0
	s_waitcnt lgkmcnt(0)
	v_lshl_add_u64 v[6:7], v[6:7], 2, s[12:13]
	global_store_dword v[6:7], v38, off
	s_or_b64 exec, exec, s[6:7]
	s_and_saveexec_b64 s[6:7], s[0:1]
	s_cbranch_execz .LBB133_29
.LBB133_67:
	v_add_u32_e32 v6, v5, v2
	v_mov_b32_e32 v7, 0
	s_waitcnt lgkmcnt(0)
	v_lshl_add_u64 v[6:7], v[6:7], 2, s[12:13]
	global_store_dword v[6:7], v36, off
	s_or_b64 exec, exec, s[6:7]
	s_and_saveexec_b64 s[6:7], s[2:3]
	s_cbranch_execz .LBB133_30
.LBB133_68:
	v_add_u32_e32 v6, v5, v3
	v_mov_b32_e32 v7, 0
	s_waitcnt lgkmcnt(0)
	v_lshl_add_u64 v[6:7], v[6:7], 2, s[12:13]
	global_store_dword v[6:7], v34, off
	s_or_b64 exec, exec, s[6:7]
	s_and_saveexec_b64 s[6:7], s[4:5]
	s_cbranch_execnz .LBB133_31
	s_branch .LBB133_32
.LBB133_69:
	v_add_u32_e32 v6, v5, v0
	v_mov_b32_e32 v7, 0
	s_waitcnt lgkmcnt(0)
	v_lshl_add_u64 v[6:7], v[6:7], 2, s[12:13]
	global_store_dword v[6:7], v39, off
	s_or_b64 exec, exec, s[6:7]
	s_and_saveexec_b64 s[6:7], s[0:1]
	s_cbranch_execz .LBB133_35
.LBB133_70:
	v_add_u32_e32 v6, v5, v2
	v_mov_b32_e32 v7, 0
	s_waitcnt lgkmcnt(0)
	v_lshl_add_u64 v[6:7], v[6:7], 2, s[12:13]
	global_store_dword v[6:7], v37, off
	s_or_b64 exec, exec, s[6:7]
	s_and_saveexec_b64 s[6:7], s[2:3]
	s_cbranch_execz .LBB133_36
.LBB133_71:
	v_add_u32_e32 v6, v5, v3
	v_mov_b32_e32 v7, 0
	s_waitcnt lgkmcnt(0)
	v_lshl_add_u64 v[6:7], v[6:7], 2, s[12:13]
	global_store_dword v[6:7], v35, off
	s_or_b64 exec, exec, s[6:7]
	s_and_saveexec_b64 s[6:7], s[4:5]
	s_cbranch_execnz .LBB133_37
	s_branch .LBB133_38
.LBB133_72:
	v_add_u32_e32 v6, v5, v0
	v_mov_b32_e32 v7, 0
	s_waitcnt lgkmcnt(0)
	v_lshl_add_u64 v[6:7], v[6:7], 2, s[12:13]
	global_store_dword v[6:7], v30, off
	s_or_b64 exec, exec, s[6:7]
	s_and_saveexec_b64 s[6:7], s[0:1]
	s_cbranch_execz .LBB133_41
.LBB133_73:
	v_add_u32_e32 v6, v5, v2
	v_mov_b32_e32 v7, 0
	s_waitcnt lgkmcnt(0)
	v_lshl_add_u64 v[6:7], v[6:7], 2, s[12:13]
	global_store_dword v[6:7], v28, off
	s_or_b64 exec, exec, s[6:7]
	s_and_saveexec_b64 s[6:7], s[2:3]
	s_cbranch_execz .LBB133_42
.LBB133_74:
	v_add_u32_e32 v6, v5, v3
	v_mov_b32_e32 v7, 0
	s_waitcnt lgkmcnt(0)
	v_lshl_add_u64 v[6:7], v[6:7], 2, s[12:13]
	global_store_dword v[6:7], v26, off
	s_or_b64 exec, exec, s[6:7]
	s_and_saveexec_b64 s[6:7], s[4:5]
	s_cbranch_execnz .LBB133_43
	s_branch .LBB133_44
.LBB133_75:
	v_add_u32_e32 v6, v5, v0
	v_mov_b32_e32 v7, 0
	s_waitcnt lgkmcnt(0)
	v_lshl_add_u64 v[6:7], v[6:7], 2, s[12:13]
	global_store_dword v[6:7], v31, off
	s_or_b64 exec, exec, s[6:7]
	s_and_saveexec_b64 s[6:7], s[0:1]
	s_cbranch_execz .LBB133_47
.LBB133_76:
	v_add_u32_e32 v6, v5, v2
	v_mov_b32_e32 v7, 0
	s_waitcnt lgkmcnt(0)
	v_lshl_add_u64 v[6:7], v[6:7], 2, s[12:13]
	global_store_dword v[6:7], v29, off
	s_or_b64 exec, exec, s[6:7]
	s_and_saveexec_b64 s[6:7], s[2:3]
	s_cbranch_execz .LBB133_48
.LBB133_77:
	v_add_u32_e32 v6, v5, v3
	v_mov_b32_e32 v7, 0
	s_waitcnt lgkmcnt(0)
	v_lshl_add_u64 v[6:7], v[6:7], 2, s[12:13]
	global_store_dword v[6:7], v27, off
	s_or_b64 exec, exec, s[6:7]
	s_and_saveexec_b64 s[6:7], s[4:5]
	s_cbranch_execnz .LBB133_49
	s_branch .LBB133_50
.LBB133_78:
	v_add_u32_e32 v6, v5, v0
	v_mov_b32_e32 v7, 0
	s_waitcnt lgkmcnt(0)
	v_lshl_add_u64 v[6:7], v[6:7], 2, s[12:13]
	global_store_dword v[6:7], v22, off
	s_or_b64 exec, exec, s[6:7]
	s_and_saveexec_b64 s[6:7], s[0:1]
	s_cbranch_execz .LBB133_53
.LBB133_79:
	v_add_u32_e32 v6, v5, v2
	v_mov_b32_e32 v7, 0
	s_waitcnt lgkmcnt(0)
	v_lshl_add_u64 v[6:7], v[6:7], 2, s[12:13]
	global_store_dword v[6:7], v20, off
	s_or_b64 exec, exec, s[6:7]
	s_and_saveexec_b64 s[6:7], s[2:3]
	s_cbranch_execz .LBB133_54
.LBB133_80:
	v_add_u32_e32 v6, v5, v3
	v_mov_b32_e32 v7, 0
	s_waitcnt lgkmcnt(0)
	v_lshl_add_u64 v[6:7], v[6:7], 2, s[12:13]
	global_store_dword v[6:7], v18, off
	s_or_b64 exec, exec, s[6:7]
	s_and_saveexec_b64 s[6:7], s[4:5]
	s_cbranch_execnz .LBB133_55
	s_branch .LBB133_56
.LBB133_81:
	v_add_u32_e32 v6, v1, v0
	v_mov_b32_e32 v7, 0
	s_waitcnt lgkmcnt(0)
	v_lshl_add_u64 v[6:7], v[6:7], 2, s[12:13]
	global_store_dword v[6:7], v23, off
	s_or_b64 exec, exec, s[6:7]
	s_and_saveexec_b64 s[6:7], s[0:1]
	s_cbranch_execz .LBB133_59
.LBB133_82:
	v_add_u32_e32 v6, v1, v2
	v_mov_b32_e32 v7, 0
	s_waitcnt lgkmcnt(0)
	v_lshl_add_u64 v[6:7], v[6:7], 2, s[12:13]
	global_store_dword v[6:7], v21, off
	s_or_b64 exec, exec, s[6:7]
	s_and_saveexec_b64 s[0:1], s[2:3]
	s_cbranch_execz .LBB133_60
.LBB133_83:
	v_add_u32_e32 v2, v1, v3
	v_mov_b32_e32 v3, 0
	s_waitcnt lgkmcnt(0)
	v_lshl_add_u64 v[2:3], v[2:3], 2, s[12:13]
	global_store_dword v[2:3], v19, off
	s_or_b64 exec, exec, s[0:1]
	s_and_b64 exec, exec, s[4:5]
	s_cbranch_execnz .LBB133_61
	s_branch .LBB133_62
	.section	.rodata,"a",@progbits
	.p2align	6, 0x0
	.amdhsa_kernel _ZL12mul_mat_q5_KIfLb0EEvPKvS1_PT_iiiii
		.amdhsa_group_segment_fixed_size 45136
		.amdhsa_private_segment_fixed_size 0
		.amdhsa_kernarg_size 44
		.amdhsa_user_sgpr_count 2
		.amdhsa_user_sgpr_dispatch_ptr 0
		.amdhsa_user_sgpr_queue_ptr 0
		.amdhsa_user_sgpr_kernarg_segment_ptr 1
		.amdhsa_user_sgpr_dispatch_id 0
		.amdhsa_user_sgpr_kernarg_preload_length 0
		.amdhsa_user_sgpr_kernarg_preload_offset 0
		.amdhsa_user_sgpr_private_segment_size 0
		.amdhsa_uses_dynamic_stack 0
		.amdhsa_enable_private_segment 0
		.amdhsa_system_sgpr_workgroup_id_x 1
		.amdhsa_system_sgpr_workgroup_id_y 1
		.amdhsa_system_sgpr_workgroup_id_z 0
		.amdhsa_system_sgpr_workgroup_info 0
		.amdhsa_system_vgpr_workitem_id 1
		.amdhsa_next_free_vgpr 255
		.amdhsa_next_free_sgpr 96
		.amdhsa_accum_offset 256
		.amdhsa_reserve_vcc 1
		.amdhsa_float_round_mode_32 0
		.amdhsa_float_round_mode_16_64 0
		.amdhsa_float_denorm_mode_32 3
		.amdhsa_float_denorm_mode_16_64 3
		.amdhsa_dx10_clamp 1
		.amdhsa_ieee_mode 1
		.amdhsa_fp16_overflow 0
		.amdhsa_tg_split 0
		.amdhsa_exception_fp_ieee_invalid_op 0
		.amdhsa_exception_fp_denorm_src 0
		.amdhsa_exception_fp_ieee_div_zero 0
		.amdhsa_exception_fp_ieee_overflow 0
		.amdhsa_exception_fp_ieee_underflow 0
		.amdhsa_exception_fp_ieee_inexact 0
		.amdhsa_exception_int_div_zero 0
	.end_amdhsa_kernel
	.section	.text._ZL12mul_mat_q5_KIfLb0EEvPKvS1_PT_iiiii,"axG",@progbits,_ZL12mul_mat_q5_KIfLb0EEvPKvS1_PT_iiiii,comdat
.Lfunc_end133:
	.size	_ZL12mul_mat_q5_KIfLb0EEvPKvS1_PT_iiiii, .Lfunc_end133-_ZL12mul_mat_q5_KIfLb0EEvPKvS1_PT_iiiii
                                        ; -- End function
	.set _ZL12mul_mat_q5_KIfLb0EEvPKvS1_PT_iiiii.num_vgpr, 255
	.set _ZL12mul_mat_q5_KIfLb0EEvPKvS1_PT_iiiii.num_agpr, 0
	.set _ZL12mul_mat_q5_KIfLb0EEvPKvS1_PT_iiiii.numbered_sgpr, 21
	.set _ZL12mul_mat_q5_KIfLb0EEvPKvS1_PT_iiiii.num_named_barrier, 0
	.set _ZL12mul_mat_q5_KIfLb0EEvPKvS1_PT_iiiii.private_seg_size, 0
	.set _ZL12mul_mat_q5_KIfLb0EEvPKvS1_PT_iiiii.uses_vcc, 1
	.set _ZL12mul_mat_q5_KIfLb0EEvPKvS1_PT_iiiii.uses_flat_scratch, 0
	.set _ZL12mul_mat_q5_KIfLb0EEvPKvS1_PT_iiiii.has_dyn_sized_stack, 0
	.set _ZL12mul_mat_q5_KIfLb0EEvPKvS1_PT_iiiii.has_recursion, 0
	.set _ZL12mul_mat_q5_KIfLb0EEvPKvS1_PT_iiiii.has_indirect_call, 0
	.section	.AMDGPU.csdata,"",@progbits
; Kernel info:
; codeLenInByte = 16696
; TotalNumSgprs: 27
; NumVgprs: 255
; NumAgprs: 0
; TotalNumVgprs: 255
; ScratchSize: 0
; MemoryBound: 0
; FloatMode: 240
; IeeeMode: 1
; LDSByteSize: 45136 bytes/workgroup (compile time only)
; SGPRBlocks: 12
; VGPRBlocks: 31
; NumSGPRsForWavesPerEU: 102
; NumVGPRsForWavesPerEU: 255
; AccumOffset: 256
; Occupancy: 2
; WaveLimiterHint : 0
; COMPUTE_PGM_RSRC2:SCRATCH_EN: 0
; COMPUTE_PGM_RSRC2:USER_SGPR: 2
; COMPUTE_PGM_RSRC2:TRAP_HANDLER: 0
; COMPUTE_PGM_RSRC2:TGID_X_EN: 1
; COMPUTE_PGM_RSRC2:TGID_Y_EN: 1
; COMPUTE_PGM_RSRC2:TGID_Z_EN: 0
; COMPUTE_PGM_RSRC2:TIDIG_COMP_CNT: 1
; COMPUTE_PGM_RSRC3_GFX90A:ACCUM_OFFSET: 63
; COMPUTE_PGM_RSRC3_GFX90A:TG_SPLIT: 0
	.section	.text._ZL12mul_mat_q5_KIfLb1EEvPKvS1_PT_iiiii,"axG",@progbits,_ZL12mul_mat_q5_KIfLb1EEvPKvS1_PT_iiiii,comdat
	.globl	_ZL12mul_mat_q5_KIfLb1EEvPKvS1_PT_iiiii ; -- Begin function _ZL12mul_mat_q5_KIfLb1EEvPKvS1_PT_iiiii
	.p2align	8
	.type	_ZL12mul_mat_q5_KIfLb1EEvPKvS1_PT_iiiii,@function
_ZL12mul_mat_q5_KIfLb1EEvPKvS1_PT_iiiii: ; @_ZL12mul_mat_q5_KIfLb1EEvPKvS1_PT_iiiii
; %bb.0:
	s_load_dwordx4 s[8:11], s[0:1], 0x18
	s_load_dword s14, s[0:1], 0x28
	s_lshl_b32 s15, s3, 6
	v_bfe_u32 v41, v0, 10, 10
	s_waitcnt lgkmcnt(0)
	s_cmpk_gt_i32 s8, 0xff
	s_cbranch_scc1 .LBB134_2
; %bb.1:
	v_bfe_u32 v1, v0, 10, 10
	v_and_b32_e32 v2, 0x3ff, v0
	v_add_u32_e32 v3, s15, v1
	s_mov_b64 s[4:5], 0
	s_branch .LBB134_3
.LBB134_2:
	s_mov_b64 s[4:5], -1
                                        ; implicit-def: $vgpr1
                                        ; implicit-def: $vgpr2
                                        ; implicit-def: $vgpr3
.LBB134_3:
	s_load_dwordx2 s[12:13], s[0:1], 0x10
	s_lshl_b32 s6, s2, 7
	v_mov_b32_e32 v17, 0
	s_andn2_b64 vcc, exec, s[4:5]
	v_mov_b32_e32 v16, 0
	v_mov_b32_e32 v25, 0
	;; [unrolled: 1-line block ×31, first 2 shown]
	s_cbranch_vccnz .LBB134_11
; %bb.4:
	s_ashr_i32 s4, s8, 31
	s_load_dwordx4 s[0:3], s[0:1], 0x0
	s_lshr_b32 s4, s4, 24
	s_add_i32 s4, s8, s4
	s_ashr_i32 s5, s11, 31
	s_ashr_i32 s4, s4, 8
	s_lshr_b32 s5, s5, 27
	s_add_i32 s5, s11, s5
	s_mul_i32 s7, s4, s6
	s_ashr_i32 s11, s5, 5
	s_mul_hi_i32 s8, s7, 0xb0
	s_mulk_i32 s7, 0xb0
	s_waitcnt lgkmcnt(0)
	s_add_u32 s7, s0, s7
	s_addc_u32 s8, s1, s8
	s_not_b32 s0, s6
	s_add_i32 s1, s9, s0
	v_lshlrev_b32_e32 v1, 1, v0
	v_and_b32_e32 v2, 7, v0
	v_min_i32_e32 v4, s1, v41
	v_bfe_u32 v3, v0, 2, 8
	v_and_or_b32 v1, v1, 48, v2
	v_mul_lo_u32 v2, v4, s4
	scratch_store_dwordx2 off, v[2:3], off  ; 8-byte Folded Spill
	v_lshlrev_b32_e32 v2, 2, v1
	s_movk_i32 s0, 0x104
	v_mad_u64_u32 v[4:5], s[16:17], v4, s0, v[2:3]
	scratch_store_dwordx2 off, v[4:5], off offset:8 ; 8-byte Folded Spill
	v_add_u32_e32 v5, 8, v41
	v_min_i32_e32 v1, s1, v5
	v_mad_u64_u32 v[6:7], s[16:17], v1, s0, v[2:3]
	scratch_store_dwordx2 off, v[6:7], off offset:24 ; 8-byte Folded Spill
	v_add_u32_e32 v7, 16, v41
	v_mul_lo_u32 v4, v1, s4
	v_min_i32_e32 v1, s1, v7
	v_add_u32_e32 v10, 24, v41
	scratch_store_dwordx2 off, v[4:5], off offset:16 ; 8-byte Folded Spill
	v_mul_lo_u32 v4, v1, s4
	v_mad_u64_u32 v[8:9], s[16:17], v1, s0, v[2:3]
	v_min_i32_e32 v1, s1, v10
	v_add_u32_e32 v11, 32, v41
	scratch_store_dwordx2 off, v[4:5], off offset:32 ; 8-byte Folded Spill
	scratch_store_dwordx2 off, v[8:9], off offset:40 ; 8-byte Folded Spill
	v_mul_lo_u32 v4, v1, s4
	v_mad_u64_u32 v[8:9], s[16:17], v1, s0, v[2:3]
	v_min_i32_e32 v1, s1, v11
	v_add_u32_e32 v12, 40, v41
	scratch_store_dwordx2 off, v[4:5], off offset:48 ; 8-byte Folded Spill
	;; [unrolled: 6-line block ×3, first 2 shown]
	scratch_store_dwordx2 off, v[8:9], off offset:72 ; 8-byte Folded Spill
	v_mul_lo_u32 v4, v1, s4
	v_mad_u64_u32 v[8:9], s[16:17], v1, s0, v[2:3]
	v_min_i32_e32 v1, s1, v13
	v_add_u32_e32 v14, 56, v41
	v_mul_lo_u32 v78, v1, s4
	v_mad_u64_u32 v[80:81], s[16:17], v1, s0, v[2:3]
	v_min_i32_e32 v1, s1, v14
	v_mul_lo_u32 v82, v1, s4
	v_mad_u64_u32 v[84:85], s[16:17], v1, s0, v[2:3]
	v_add_u32_e32 v1, 64, v41
	v_min_i32_e32 v1, s1, v1
	v_mul_lo_u32 v86, v1, s4
	v_mad_u64_u32 v[88:89], s[16:17], v1, s0, v[2:3]
	v_add_u32_e32 v1, 0x48, v41
	;; [unrolled: 4-line block ×8, first 2 shown]
	v_and_b32_e32 v26, 0x3ff, v0
	v_min_i32_e32 v1, s1, v1
	v_lshlrev_b32_e32 v55, 5, v41
	v_mul_lo_u32 v114, v1, s4
	v_mad_u64_u32 v[116:117], s[16:17], v1, s0, v[2:3]
	v_add_u32_e32 v1, v55, v26
	v_and_b32_e32 v1, 0x7f, v1
	v_min_i32_e32 v1, s1, v1
	v_ashrrev_i32_e32 v2, 31, v1
	v_lshrrev_b32_e32 v2, 27, v2
	v_add_u32_e32 v2, v1, v2
	v_ashrrev_i32_e32 v2, 5, v2
	v_mul_lo_u32 v118, v1, s4
	v_lshlrev_b32_e32 v2, 2, v2
	v_lshlrev_b32_e32 v1, 2, v1
	s_mov_b32 s18, 0xae40
	v_add3_u32 v62, v2, v1, s18
	v_and_b32_e32 v2, 3, v0
	v_and_b32_e32 v59, 6, v3
	v_lshl_add_u32 v1, v41, 3, v3
	v_add_u32_e32 v3, 0xfe, v2
	v_and_b32_e32 v3, 0xff, v3
	v_cmp_gt_u32_e32 vcc, 2, v2
	scratch_store_dwordx2 off, v[4:5], off offset:80 ; 8-byte Folded Spill
	scratch_store_dwordx2 off, v[8:9], off offset:88 ; 8-byte Folded Spill
	v_cndmask_b32_e32 v3, v3, v2, vcc
	v_cmp_ne_u32_e32 vcc, 0, v2
	v_lshlrev_b32_e32 v72, 1, v3
	v_lshlrev_b32_e32 v15, 2, v2
	v_addc_co_u32_e32 v4, vcc, 0, v3, vcc
	v_and_b32_e32 v3, 0x7f, v1
	v_min_i32_e32 v3, s1, v3
	v_ashrrev_i32_e32 v8, 31, v3
	v_lshrrev_b32_e32 v8, 29, v8
	v_add_u32_e32 v8, v3, v8
	v_ashrrev_i32_e32 v8, 3, v8
	v_lshlrev_b32_e32 v8, 2, v8
	s_mov_b32 s16, 0xa200
	v_add3_u32 v16, v8, v15, s16
	v_mov_b32_e32 v8, 0x7f
	v_bitop3_b32 v8, v1, 64, v8 bitop3:0x6c
	v_min_i32_e32 v8, s1, v8
	v_ashrrev_i32_e32 v9, 31, v8
	v_lshrrev_b32_e32 v9, 29, v9
	v_add_u32_e32 v9, v8, v9
	v_ashrrev_i32_e32 v9, 3, v9
	v_and_b32_e32 v19, 31, v0
	v_mov_b32_e32 v20, 0x8200
	v_and_b32_e32 v1, 63, v1
	v_lshlrev_b32_e32 v9, 2, v9
	v_add_u32_e32 v25, s15, v41
	s_add_i32 s1, s10, -1
	v_lshl_or_b32 v19, v19, 2, v20
	v_or_b32_e32 v20, s15, v1
	v_lshl_or_b32 v1, v1, 4, v15
	v_bfe_u32 v40, v0, 5, 5
	v_mul_lo_u32 v122, v8, s4
	v_add3_u32 v17, v9, v15, s16
	v_lshlrev_b32_e32 v18, 4, v8
	v_cvt_f64_i32_e32 v[8:9], s1
	v_add_u32_e32 v71, 0xaa40, v1
	v_bfe_u32 v73, v0, 3, 7
	v_cvt_f64_u32_e32 v[0:1], v25
	v_min_f64 v[0:1], v[0:1], v[8:9]
	v_cvt_i32_f64_e32 v0, v[0:1]
	v_mul_lo_u32 v77, s11, v0
	v_add_u32_e32 v0, 8, v25
	v_cvt_f64_u32_e32 v[0:1], v0
	v_min_f64 v[0:1], v[0:1], v[8:9]
	v_cvt_i32_f64_e32 v0, v[0:1]
	v_mul_lo_u32 v79, s11, v0
	v_add_u32_e32 v0, 16, v25
	;; [unrolled: 5-line block ×7, first 2 shown]
	v_cvt_f64_u32_e32 v[0:1], v0
	v_min_f64 v[0:1], v[0:1], v[8:9]
	v_lshlrev_b32_e32 v53, 2, v26
	v_cvt_i32_f64_e32 v0, v[0:1]
	v_lshlrev_b32_e32 v1, 2, v40
	v_add3_u32 v93, v1, v53, s18
	v_add_u32_e32 v1, 32, v26
	v_lshrrev_b32_e32 v95, 3, v1
	v_lshlrev_b32_e32 v8, 2, v1
	v_and_b32_e32 v1, 60, v95
	v_add3_u32 v97, v53, v1, s18
	v_add_u32_e32 v1, 64, v26
	v_lshrrev_b32_e32 v99, 3, v1
	v_lshlrev_b32_e32 v9, 2, v1
	v_and_b32_e32 v1, 60, v99
	v_add3_u32 v101, v53, v1, s18
	v_add_u32_e32 v1, 0x60, v26
	v_lshrrev_b32_e32 v103, 3, v1
	scratch_store_dword off, v25, off offset:104 ; 4-byte Folded Spill
	v_lshlrev_b32_e32 v25, 2, v1
	v_and_b32_e32 v1, 60, v103
	v_mul_lo_u32 v120, v3, s4
	v_lshlrev_b32_e32 v3, 4, v3
	v_min_i32_e32 v20, s1, v20
	v_add3_u32 v105, v53, v1, s18
	v_mov_b32_e32 v1, 0x2080
	v_mov_b32_e32 v43, 0
	v_and_b32_e32 v6, 4, v53
	v_cmp_lt_u32_e32 vcc, 1, v2
	v_mad_u64_u32 v[124:125], s[16:17], v20, s11, v[2:3]
	v_mad_u32_u24 v123, v26, s0, v1
	v_mov_b32_e32 v1, 0x4100
	v_and_b32_e32 v44, 28, v53
	v_mov_b32_e32 v45, v43
	v_cndmask_b32_e32 v70, 0, v6, vcc
	v_cndmask_b32_e64 v6, 0, 1, vcc
	v_lshlrev_b32_e32 v2, 7, v41
	v_lshlrev_b32_e32 v15, 7, v5
	;; [unrolled: 1-line block ×7, first 2 shown]
	v_mul_lo_u32 v91, s11, v0
	v_lshlrev_b32_e32 v0, 7, v14
	v_mad_u32_u24 v125, v26, s0, v1
	v_mov_b32_e32 v1, 0x6180
	v_mov_b32_e32 v68, v43
	;; [unrolled: 1-line block ×3, first 2 shown]
	s_movk_i32 s5, 0xb0
	s_mov_b32 s9, 0
	v_and_b32_e32 v42, 0x7c, v53
	v_or_b32_e32 v63, 1, v59
	v_lshlrev_b32_e32 v107, 5, v5
	v_lshlrev_b32_e32 v109, 5, v7
	;; [unrolled: 1-line block ×7, first 2 shown]
	v_mul_u32_u24_e32 v121, 0x104, v26
	scratch_store_dword off, v26, off offset:96 ; 4-byte Folded Spill
	v_mad_u32_u24 v149, v26, s0, v1
	v_lshl_add_u64 v[126:127], s[2:3], 0, v[44:45]
	s_mov_b32 s11, 0x10101010
	v_lshlrev_b32_e32 v128, 2, v4
	v_mov_b32_e32 v129, v43
	v_lshlrev_b32_e32 v130, 2, v6
	v_mov_b32_e32 v131, v43
	s_mov_b32 s16, 0x30303030
	v_add_u32_e32 v151, v16, v3
	v_add_u32_e32 v221, v17, v18
	;; [unrolled: 1-line block ×10, first 2 shown]
	v_lshlrev_b32_e32 v244, 2, v8
	v_lshlrev_b32_e32 v245, 2, v9
	;; [unrolled: 1-line block ×3, first 2 shown]
	v_mov_b64_e32 v[38:39], v[68:69]
	v_mov_b64_e32 v[30:31], v[68:69]
	;; [unrolled: 1-line block ×15, first 2 shown]
	scratch_store_dword off, v41, off offset:100 ; 4-byte Folded Spill
.LBB134_5:                              ; =>This Loop Header: Depth=1
                                        ;     Child Loop BB134_6 Depth 2
                                        ;     Child Loop BB134_8 Depth 2
	scratch_load_dwordx2 v[4:5], off, off   ; 8-byte Folded Reload
	s_mul_i32 s0, s9, 0xb0
	s_mul_hi_u32 s1, s9, 0xb0
	s_add_u32 s0, s7, s0
	s_addc_u32 s1, s8, s1
	v_mov_b64_e32 v[0:1], s[0:1]
	v_mad_u64_u32 v[2:3], s[0:1], v40, s5, v[0:1]
	s_lshl_b32 s17, s9, 3
	v_add_u32_e32 v161, s17, v124
	s_mov_b32 s19, 0
	s_waitcnt vmcnt(0)
	v_mad_i64_i32 v[4:5], s[0:1], v4, s5, v[2:3]
	v_lshl_add_u64 v[6:7], v[4:5], 0, v[42:43]
	global_load_dword v12, v[6:7], off offset:48
	v_lshl_add_u64 v[4:5], v[4:5], 0, v[44:45]
	scratch_load_dwordx2 v[6:7], off, off offset:16 ; 8-byte Folded Reload
	s_waitcnt vmcnt(0)
	v_mad_i64_i32 v[6:7], s[0:1], v6, s5, v[2:3]
	v_lshl_add_u64 v[8:9], v[6:7], 0, v[42:43]
	v_lshl_add_u64 v[6:7], v[6:7], 0, v[44:45]
	global_load_dword v13, v[4:5], off offset:16
	global_load_dword v14, v[8:9], off offset:48
	;; [unrolled: 1-line block ×3, first 2 shown]
	s_nop 0
	scratch_load_dwordx2 v[4:5], off, off offset:32 ; 8-byte Folded Reload
	v_mad_i64_i32 v[8:9], s[0:1], v90, s5, v[2:3]
	s_waitcnt vmcnt(0)
	v_mad_i64_i32 v[4:5], s[0:1], v4, s5, v[2:3]
	v_lshl_add_u64 v[6:7], v[4:5], 0, v[42:43]
	v_lshl_add_u64 v[4:5], v[4:5], 0, v[44:45]
	global_load_dword v41, v[6:7], off offset:48
	global_load_dword v48, v[4:5], off offset:16
	s_nop 0
	scratch_load_dwordx2 v[4:5], off, off offset:48 ; 8-byte Folded Reload
	s_waitcnt vmcnt(0)
	v_mad_i64_i32 v[4:5], s[0:1], v4, s5, v[2:3]
	v_lshl_add_u64 v[6:7], v[4:5], 0, v[42:43]
	v_lshl_add_u64 v[4:5], v[4:5], 0, v[44:45]
	global_load_dword v49, v[6:7], off offset:48
	global_load_dword v50, v[4:5], off offset:16
	s_nop 0
	scratch_load_dwordx2 v[4:5], off, off offset:64 ; 8-byte Folded Reload
	;; [unrolled: 8-line block ×3, first 2 shown]
	s_waitcnt vmcnt(0)
	v_mad_i64_i32 v[4:5], s[0:1], v4, s5, v[2:3]
	v_lshl_add_u64 v[6:7], v[4:5], 0, v[42:43]
	v_lshl_add_u64 v[4:5], v[4:5], 0, v[44:45]
	global_load_dword v54, v[6:7], off offset:48
	global_load_dword v58, v[4:5], off offset:16
	v_mad_i64_i32 v[4:5], s[0:1], v78, s5, v[2:3]
	v_lshl_add_u64 v[6:7], v[4:5], 0, v[42:43]
	global_load_dword v60, v[6:7], off offset:48
	v_mad_i64_i32 v[6:7], s[0:1], v82, s5, v[2:3]
	v_lshl_add_u64 v[4:5], v[4:5], 0, v[44:45]
	v_lshl_add_u64 v[10:11], v[6:7], 0, v[42:43]
	;; [unrolled: 1-line block ×3, first 2 shown]
	global_load_dword v61, v[4:5], off offset:16
	global_load_dword v64, v[10:11], off offset:48
	;; [unrolled: 1-line block ×3, first 2 shown]
	v_mad_i64_i32 v[4:5], s[0:1], v86, s5, v[2:3]
	v_lshl_add_u64 v[10:11], v[4:5], 0, v[42:43]
	v_lshl_add_u64 v[4:5], v[4:5], 0, v[44:45]
	;; [unrolled: 1-line block ×3, first 2 shown]
	global_load_dword v66, v[10:11], off offset:48
	global_load_dword v67, v[4:5], off offset:16
	;; [unrolled: 1-line block ×3, first 2 shown]
	v_and_b32_e32 v4, 0xf0f0f0f, v12
	v_lshrrev_b32_e32 v5, 4, v12
	v_ashrrev_i32_e32 v6, v59, v13
	v_ashrrev_i32_e32 v7, v63, v13
	v_lshrrev_b32_e32 v11, 4, v14
	v_ashrrev_i32_e32 v12, v59, v15
	v_ashrrev_i32_e32 v13, v63, v15
	v_and_b32_e32 v10, 0xf0f0f0f, v14
	v_and_b32_e32 v5, 0xf0f0f0f, v5
	v_lshlrev_b32_e32 v6, 4, v6
	v_lshlrev_b32_e32 v7, 4, v7
	v_and_b32_e32 v11, 0xf0f0f0f, v11
	v_lshlrev_b32_e32 v12, 4, v12
	v_lshlrev_b32_e32 v13, 4, v13
	v_and_or_b32 v4, v6, s11, v4
	v_and_or_b32 v5, v7, s11, v5
	;; [unrolled: 1-line block ×4, first 2 shown]
	scratch_load_dwordx2 v[10:11], off, off offset:8 ; 8-byte Folded Reload
	v_and_b32_e32 v14, 0xf0f0f0f, v41
	v_lshrrev_b32_e32 v15, 4, v41
	v_ashrrev_i32_e32 v41, v59, v48
	v_ashrrev_i32_e32 v48, v63, v48
	v_and_b32_e32 v15, 0xf0f0f0f, v15
	v_lshlrev_b32_e32 v41, 4, v41
	s_waitcnt vmcnt(0)
	ds_write2_b32 v10, v4, v5 offset1:8
	scratch_load_dwordx2 v[4:5], off, off offset:24 ; 8-byte Folded Reload
	s_waitcnt vmcnt(0)
	ds_write2_b32 v4, v6, v7 offset1:8
	scratch_load_dwordx2 v[6:7], off, off offset:40 ; 8-byte Folded Reload
	v_lshl_add_u64 v[4:5], v[8:9], 0, v[44:45]
	global_load_dword v12, v[4:5], off offset:16
	v_lshlrev_b32_e32 v4, 4, v48
	v_and_or_b32 v5, v41, s11, v14
	v_and_or_b32 v4, v4, s11, v15
	s_waitcnt vmcnt(1)
	v_ashrrev_i32_e32 v7, v63, v50
	v_lshlrev_b32_e32 v7, 4, v7
	v_mad_i64_i32 v[8:9], s[0:1], v98, s5, v[2:3]
	v_lshl_add_u64 v[10:11], v[8:9], 0, v[42:43]
	v_lshl_add_u64 v[8:9], v[8:9], 0, v[44:45]
	ds_write2_b32 v6, v5, v4 offset1:8
	v_lshrrev_b32_e32 v5, 4, v49
	v_ashrrev_i32_e32 v6, v59, v50
	v_and_b32_e32 v4, 0xf0f0f0f, v49
	v_and_b32_e32 v5, 0xf0f0f0f, v5
	v_lshlrev_b32_e32 v6, 4, v6
	v_and_or_b32 v4, v6, s11, v4
	v_and_or_b32 v5, v7, s11, v5
	scratch_load_dwordx2 v[6:7], off, off offset:56 ; 8-byte Folded Reload
	s_waitcnt vmcnt(0)
	v_ashrrev_i32_e32 v7, v63, v52
	v_lshlrev_b32_e32 v7, 4, v7
	ds_write2_b32 v6, v4, v5 offset1:8
	v_lshrrev_b32_e32 v5, 4, v51
	v_ashrrev_i32_e32 v6, v59, v52
	v_and_b32_e32 v4, 0xf0f0f0f, v51
	v_and_b32_e32 v5, 0xf0f0f0f, v5
	v_lshlrev_b32_e32 v6, 4, v6
	v_and_or_b32 v4, v6, s11, v4
	v_and_or_b32 v5, v7, s11, v5
	scratch_load_dwordx2 v[6:7], off, off offset:72 ; 8-byte Folded Reload
	s_waitcnt vmcnt(0)
	v_ashrrev_i32_e32 v7, v63, v58
	v_lshlrev_b32_e32 v7, 4, v7
	;; [unrolled: 12-line block ×3, first 2 shown]
	ds_write2_b32 v6, v4, v5 offset1:8
	v_lshrrev_b32_e32 v5, 4, v60
	v_ashrrev_i32_e32 v6, v59, v61
	v_and_b32_e32 v4, 0xf0f0f0f, v60
	v_and_b32_e32 v5, 0xf0f0f0f, v5
	v_lshlrev_b32_e32 v6, 4, v6
	v_and_or_b32 v4, v6, s11, v4
	v_and_or_b32 v5, v7, s11, v5
	ds_write2_b32 v80, v4, v5 offset1:8
	v_lshrrev_b32_e32 v5, 4, v64
	v_ashrrev_i32_e32 v6, v59, v65
	v_ashrrev_i32_e32 v7, v63, v65
	v_and_b32_e32 v4, 0xf0f0f0f, v64
	v_and_b32_e32 v5, 0xf0f0f0f, v5
	v_lshlrev_b32_e32 v6, 4, v6
	v_lshlrev_b32_e32 v7, 4, v7
	v_and_or_b32 v4, v6, s11, v4
	v_and_or_b32 v5, v7, s11, v5
	ds_write2_b32 v84, v4, v5 offset1:8
	v_mad_i64_i32 v[4:5], s[0:1], v94, s5, v[2:3]
	v_lshl_add_u64 v[6:7], v[4:5], 0, v[42:43]
	v_lshl_add_u64 v[4:5], v[4:5], 0, v[44:45]
	global_load_dword v41, v[6:7], off offset:48
	global_load_dword v50, v[4:5], off offset:16
	;; [unrolled: 1-line block ×4, first 2 shown]
	v_lshrrev_b32_e32 v5, 4, v66
	v_ashrrev_i32_e32 v6, v59, v67
	v_ashrrev_i32_e32 v7, v63, v67
	v_and_b32_e32 v4, 0xf0f0f0f, v66
	v_and_b32_e32 v5, 0xf0f0f0f, v5
	v_lshlrev_b32_e32 v6, 4, v6
	v_lshlrev_b32_e32 v7, 4, v7
	v_and_or_b32 v4, v6, s11, v4
	v_and_or_b32 v5, v7, s11, v5
	ds_write2_b32 v88, v4, v5 offset1:8
	v_lshrrev_b32_e32 v5, 4, v132
	v_ashrrev_i32_e32 v6, v59, v12
	v_ashrrev_i32_e32 v7, v63, v12
	v_and_b32_e32 v4, 0xf0f0f0f, v132
	v_and_b32_e32 v5, 0xf0f0f0f, v5
	v_lshlrev_b32_e32 v6, 4, v6
	v_lshlrev_b32_e32 v7, 4, v7
	v_and_or_b32 v4, v6, s11, v4
	v_and_or_b32 v5, v7, s11, v5
	ds_write2_b32 v92, v4, v5 offset1:8
	v_mad_i64_i32 v[4:5], s[0:1], v102, s5, v[2:3]
	v_mad_i64_i32 v[8:9], s[0:1], v106, s5, v[2:3]
	v_mad_i64_i32 v[12:13], s[0:1], v110, s5, v[2:3]
	v_mad_i64_i32 v[2:3], s[0:1], v114, s5, v[2:3]
	v_lshl_add_u64 v[6:7], v[4:5], 0, v[42:43]
	v_lshl_add_u64 v[48:49], v[2:3], 0, v[42:43]
	v_lshl_add_u64 v[4:5], v[4:5], 0, v[44:45]
	v_lshl_add_u64 v[10:11], v[8:9], 0, v[42:43]
	v_lshl_add_u64 v[8:9], v[8:9], 0, v[44:45]
	v_lshl_add_u64 v[14:15], v[12:13], 0, v[42:43]
	v_lshl_add_u64 v[12:13], v[12:13], 0, v[44:45]
	v_lshl_add_u64 v[2:3], v[2:3], 0, v[44:45]
	global_load_dword v54, v[6:7], off offset:48
	global_load_dword v58, v[4:5], off offset:16
	global_load_dword v60, v[10:11], off offset:48
	global_load_dword v61, v[8:9], off offset:16
	global_load_dword v64, v[14:15], off offset:48
	global_load_dword v65, v[12:13], off offset:16
	s_nop 0
	global_load_dword v48, v[48:49], off offset:48
	s_nop 0
	global_load_dword v49, v[2:3], off offset:16
	v_mad_i64_i32 v[2:3], s[0:1], v118, s5, v[0:1]
	v_mad_i64_i32 v[4:5], s[0:1], v120, s5, v[0:1]
	;; [unrolled: 1-line block ×3, first 2 shown]
	v_lshl_add_u64 v[6:7], v[4:5], 0, v[128:129]
	v_lshl_add_u64 v[4:5], v[4:5], 0, v[130:131]
	;; [unrolled: 1-line block ×4, first 2 shown]
	global_load_dword v66, v[2:3], off
	global_load_dword v67, v[6:7], off offset:4
	global_load_dword v132, v[4:5], off offset:4
	global_load_dword v133, v[8:9], off offset:4
	global_load_dword v134, v[0:1], off offset:4
	v_add_u32_e32 v14, s17, v73
	v_add_u32_e32 v0, v14, v77
	;; [unrolled: 1-line block ×6, first 2 shown]
	v_mad_i64_i32 v[0:1], s[0:1], v0, 36, v[126:127]
	v_mad_i64_i32 v[2:3], s[0:1], v2, 36, v[126:127]
	;; [unrolled: 1-line block ×5, first 2 shown]
	v_add_u32_e32 v10, v14, v87
	v_add_u32_e32 v12, v14, v89
	;; [unrolled: 1-line block ×3, first 2 shown]
	v_mad_i64_i32 v[10:11], s[0:1], v10, 36, v[126:127]
	v_mad_i64_i32 v[12:13], s[0:1], v12, 36, v[126:127]
	;; [unrolled: 1-line block ×3, first 2 shown]
	global_load_dword v135, v[0:1], off offset:4
	s_nop 0
	global_load_dword v2, v[2:3], off offset:4
	s_nop 0
	;; [unrolled: 2-line block ×3, first 2 shown]
	global_load_dword v4, v[6:7], off offset:4
	global_load_dword v5, v[8:9], off offset:4
	s_nop 0
	global_load_dword v6, v[10:11], off offset:4
	global_load_dword v7, v[12:13], off offset:4
	;; [unrolled: 1-line block ×3, first 2 shown]
	v_mad_u64_u32 v[0:1], s[0:1], v161, 36, s[2:3]
	global_load_dword v0, v[0:1], off
	s_waitcnt vmcnt(25)
	v_lshrrev_b32_e32 v9, 4, v41
	s_waitcnt vmcnt(24)
	v_ashrrev_i32_e32 v10, v59, v50
	v_ashrrev_i32_e32 v11, v63, v50
	v_and_b32_e32 v1, 0xf0f0f0f, v41
	v_and_b32_e32 v9, 0xf0f0f0f, v9
	v_lshlrev_b32_e32 v10, 4, v10
	v_lshlrev_b32_e32 v11, 4, v11
	v_and_or_b32 v1, v10, s11, v1
	v_and_or_b32 v9, v11, s11, v9
	ds_write2_b32 v96, v1, v9 offset1:8
	s_waitcnt vmcnt(23)
	v_lshrrev_b32_e32 v9, 4, v51
	s_waitcnt vmcnt(22)
	v_ashrrev_i32_e32 v10, v59, v52
	v_ashrrev_i32_e32 v11, v63, v52
	v_and_b32_e32 v1, 0xf0f0f0f, v51
	v_and_b32_e32 v9, 0xf0f0f0f, v9
	v_lshlrev_b32_e32 v10, 4, v10
	v_lshlrev_b32_e32 v11, 4, v11
	v_and_or_b32 v1, v10, s11, v1
	v_and_or_b32 v9, v11, s11, v9
	ds_write2_b32 v100, v1, v9 offset1:8
	s_mov_b64 s[0:1], -1
	s_waitcnt vmcnt(21)
	v_lshrrev_b32_e32 v9, 4, v54
	s_waitcnt vmcnt(20)
	v_ashrrev_i32_e32 v10, v59, v58
	v_ashrrev_i32_e32 v11, v63, v58
	v_and_b32_e32 v1, 0xf0f0f0f, v54
	v_and_b32_e32 v9, 0xf0f0f0f, v9
	v_lshlrev_b32_e32 v10, 4, v10
	v_lshlrev_b32_e32 v11, 4, v11
	v_and_or_b32 v1, v10, s11, v1
	v_and_or_b32 v9, v11, s11, v9
	ds_write2_b32 v104, v1, v9 offset1:8
	s_waitcnt vmcnt(19)
	v_lshrrev_b32_e32 v9, 4, v60
	s_waitcnt vmcnt(18)
	v_ashrrev_i32_e32 v10, v59, v61
	v_ashrrev_i32_e32 v11, v63, v61
	v_and_b32_e32 v1, 0xf0f0f0f, v60
	v_and_b32_e32 v9, 0xf0f0f0f, v9
	v_lshlrev_b32_e32 v10, 4, v10
	v_lshlrev_b32_e32 v11, 4, v11
	v_and_or_b32 v1, v10, s11, v1
	v_and_or_b32 v9, v11, s11, v9
	ds_write2_b32 v108, v1, v9 offset1:8
	;; [unrolled: 12-line block ×4, first 2 shown]
	s_waitcnt vmcnt(13)
	ds_write_b32 v62, v66
	s_waitcnt vmcnt(12)
	v_ashrrev_i32_e32 v1, v70, v67
	v_and_b32_e32 v1, 0xf0f0f0f, v1
	s_waitcnt vmcnt(11)
	v_ashrrev_i32_e32 v9, v72, v132
	v_and_or_b32 v1, v9, s16, v1
	ds_write_b32 v151, v1
	s_waitcnt vmcnt(10)
	v_ashrrev_i32_e32 v1, v70, v133
	v_and_b32_e32 v1, 0xf0f0f0f, v1
	s_waitcnt vmcnt(9)
	v_ashrrev_i32_e32 v9, v72, v134
	v_and_or_b32 v1, v9, s16, v1
	ds_write_b32 v221, v1
	s_waitcnt vmcnt(8)
	ds_write_b32 v236, v135
	s_waitcnt vmcnt(7)
	;; [unrolled: 2-line block ×9, first 2 shown]
	ds_write_b32 v71, v0
	s_waitcnt lgkmcnt(0)
	s_barrier
	ds_read_b32 v0, v93
	ds_read_b32 v1, v97 offset:128
	ds_read_b32 v2, v101 offset:256
	;; [unrolled: 1-line block ×3, first 2 shown]
	s_waitcnt lgkmcnt(3)
	v_cvt_f32_f16_e32 v132, v0
	v_cvt_f32_f16_sdwa v134, v0 dst_sel:DWORD dst_unused:UNUSED_PAD src0_sel:WORD_1
	s_waitcnt lgkmcnt(2)
	v_cvt_f32_f16_e32 v136, v1
	v_cvt_f32_f16_sdwa v138, v1 dst_sel:DWORD dst_unused:UNUSED_PAD src0_sel:WORD_1
	;; [unrolled: 3-line block ×4, first 2 shown]
	v_mov_b32_e32 v133, v132
	v_mov_b32_e32 v135, v134
	;; [unrolled: 1-line block ×8, first 2 shown]
.LBB134_6:                              ;   Parent Loop BB134_5 Depth=1
                                        ; =>  This Inner Loop Header: Depth=2
	s_lshr_b32 s20, s19, 2
	s_lshl_b32 s18, s19, 1
	s_add_i32 s20, s20, 0xa200
	v_or_b32_e32 v0, s18, v55
	v_lshlrev_b32_e32 v247, 2, v73
	v_lshlrev_b32_e32 v248, 2, v53
	s_lshl_b32 s19, s19, 3
	v_lshlrev_b32_e32 v1, 2, v0
	v_add3_u32 v41, s20, v247, v248
	v_add_u32_e32 v49, s19, v121
	v_lshrrev_b32_e32 v228, 1, v0
	ds_read_b128 v[12:15], v1 offset:33280
	ds_read_b128 v[8:11], v1 offset:33296
	;; [unrolled: 1-line block ×4, first 2 shown]
	ds_read2_b32 v[212:213], v49 offset1:1
	ds_read2_b32 v[214:215], v49 offset0:2 offset1:3
	ds_read2_b32 v[216:217], v49 offset0:4 offset1:5
	;; [unrolled: 1-line block ×3, first 2 shown]
	ds_read_u16 v50, v41
	ds_read_u16 v41, v41 offset:8
	v_lshlrev_b32_e32 v249, 2, v95
	ds_read2_b32 v[210:211], v49 offset0:8 offset1:9
	ds_read2_b32 v[222:223], v49 offset0:10 offset1:11
	;; [unrolled: 1-line block ×4, first 2 shown]
	s_waitcnt lgkmcnt(5)
	v_and_b32_e32 v254, 0xff, v50
	s_waitcnt lgkmcnt(4)
	v_cvt_f32_ubyte0_e32 v202, v41
	v_lshrrev_b16_e32 v255, 8, v50
	v_cvt_f32_ubyte1_e32 v220, v41
	v_add3_u32 v41, s20, v249, v244
	v_add_u32_e32 v50, s19, v123
	ds_read2_b32 v[190:191], v50 offset1:1
	ds_read2_b32 v[194:195], v50 offset0:2 offset1:3
	ds_read2_b32 v[196:197], v50 offset0:4 offset1:5
	;; [unrolled: 1-line block ×3, first 2 shown]
	ds_read_u16 v51, v41
	ds_read_u16 v41, v41 offset:8
	v_lshlrev_b32_e32 v250, 2, v99
	ds_read2_b32 v[192:193], v50 offset0:8 offset1:9
	ds_read2_b32 v[204:205], v50 offset0:10 offset1:11
	;; [unrolled: 1-line block ×4, first 2 shown]
	s_waitcnt lgkmcnt(4)
	v_cvt_f32_ubyte0_e32 v188, v41
	v_cvt_f32_ubyte1_e32 v200, v41
	v_add3_u32 v41, s20, v250, v245
	v_add_u32_e32 v50, s19, v125
	ds_read2_b32 v[162:163], v50 offset1:1
	ds_read2_b32 v[168:169], v50 offset0:2 offset1:3
	ds_read2_b32 v[170:171], v50 offset0:4 offset1:5
	;; [unrolled: 1-line block ×3, first 2 shown]
	ds_read_u16 v60, v41
	ds_read_u16 v41, v41 offset:8
	v_mov_b32_e32 v48, 0
	v_mov_b32_e32 v49, 0
	v_and_b32_e32 v252, 0xff, v51
	s_waitcnt lgkmcnt(1)
	v_and_b32_e32 v201, 0xff, v60
	v_lshrrev_b16_e32 v203, 8, v60
	v_add_u32_e32 v60, s19, v149
	ds_read2_b32 v[166:167], v60 offset1:1
	ds_read2_b32 v[172:173], v60 offset0:2 offset1:3
	ds_read2_b32 v[176:177], v60 offset0:4 offset1:5
	;; [unrolled: 1-line block ×3, first 2 shown]
	v_lshrrev_b16_e32 v253, 8, v51
	v_mov_b32_e32 v51, 0
	s_waitcnt lgkmcnt(4)
	v_cvt_f32_ubyte0_e32 v160, v41
	v_cvt_f32_ubyte1_e32 v180, v41
	v_mov_b32_e32 v41, 0
	v_dot4c_i32_i8_e32 v48, v212, v12
	v_dot4c_i32_i8_e32 v49, v190, v12
	;; [unrolled: 1-line block ×3, first 2 shown]
	s_waitcnt lgkmcnt(3)
	v_dot4c_i32_i8_e32 v41, v166, v12
	v_dot4c_i32_i8_e32 v48, v213, v13
	;; [unrolled: 1-line block ×8, first 2 shown]
	s_waitcnt lgkmcnt(2)
	v_dot4c_i32_i8_e32 v41, v172, v14
	v_dot4c_i32_i8_e32 v48, v215, v15
	;; [unrolled: 1-line block ×4, first 2 shown]
	v_lshlrev_b32_e32 v251, 2, v103
	v_dot4c_i32_i8_e32 v41, v173, v15
	v_dot4c_i32_i8_e32 v48, v216, v8
	;; [unrolled: 1-line block ×4, first 2 shown]
	ds_read2_b32 v[164:165], v50 offset0:8 offset1:9
	ds_read2_b32 v[182:183], v50 offset0:10 offset1:11
	ds_read2_b32 v[184:185], v50 offset0:12 offset1:13
	ds_read2_b32 v[186:187], v50 offset0:14 offset1:15
	v_add3_u32 v50, s20, v251, v246
	s_waitcnt lgkmcnt(5)
	v_dot4c_i32_i8_e32 v41, v176, v8
	v_dot4c_i32_i8_e32 v48, v217, v9
	;; [unrolled: 1-line block ×5, first 2 shown]
	ds_read_u16 v8, v50
	ds_read_u16 v9, v50 offset:8
	ds_read2_b32 v[158:159], v60 offset0:8 offset1:9
	ds_read2_b32 v[152:153], v60 offset0:10 offset1:11
	;; [unrolled: 1-line block ×4, first 2 shown]
	v_mov_b32_e32 v58, 0
	v_mov_b32_e32 v54, 0
	;; [unrolled: 1-line block ×4, first 2 shown]
	v_dot4c_i32_i8_e32 v58, v210, v4
	v_dot4c_i32_i8_e32 v54, v192, v4
	s_waitcnt lgkmcnt(9)
	v_dot4c_i32_i8_e32 v52, v164, v4
	s_waitcnt lgkmcnt(3)
	v_dot4c_i32_i8_e32 v50, v158, v4
	v_dot4c_i32_i8_e32 v58, v211, v5
	;; [unrolled: 1-line block ×8, first 2 shown]
	s_waitcnt lgkmcnt(2)
	v_dot4c_i32_i8_e32 v50, v152, v6
	v_dot4c_i32_i8_e32 v58, v223, v7
	;; [unrolled: 1-line block ×8, first 2 shown]
	s_waitcnt lgkmcnt(1)
	v_dot4c_i32_i8_e32 v50, v154, v0
	v_dot4c_i32_i8_e32 v58, v225, v1
	;; [unrolled: 1-line block ×5, first 2 shown]
	v_or_b32_e32 v0, s18, v107
	v_dot4c_i32_i8_e32 v48, v218, v10
	v_dot4c_i32_i8_e32 v58, v226, v2
	v_dot4c_i32_i8_e32 v49, v198, v10
	v_dot4c_i32_i8_e32 v54, v208, v2
	v_dot4c_i32_i8_e32 v51, v174, v10
	v_dot4c_i32_i8_e32 v52, v186, v2
	v_dot4c_i32_i8_e32 v41, v178, v10
	s_waitcnt lgkmcnt(0)
	v_dot4c_i32_i8_e32 v50, v156, v2
	v_lshlrev_b32_e32 v1, 2, v0
	v_dot4c_i32_i8_e32 v48, v219, v11
	v_dot4c_i32_i8_e32 v58, v227, v3
	;; [unrolled: 1-line block ×7, first 2 shown]
	v_and_b32_e32 v189, 0xff, v8
	v_cvt_f32_ubyte0_e32 v150, v9
	v_dot4c_i32_i8_e32 v50, v157, v3
	v_lshrrev_b16_e32 v181, 8, v8
	v_cvt_f32_ubyte1_e32 v148, v9
	v_lshrrev_b32_e32 v64, 1, v0
	ds_read_b128 v[12:15], v1 offset:33280
	ds_read_b128 v[8:11], v1 offset:33296
	;; [unrolled: 1-line block ×4, first 2 shown]
	v_mov_b32_e32 v65, 0
	s_waitcnt lgkmcnt(3)
	v_dot4c_i32_i8_e32 v65, v212, v12
	v_dot4c_i32_i8_e32 v65, v213, v13
	v_mov_b32_e32 v66, 0
	v_dot4c_i32_i8_e32 v65, v214, v14
	s_waitcnt lgkmcnt(1)
	v_dot4c_i32_i8_e32 v66, v210, v4
	v_dot4c_i32_i8_e32 v65, v215, v15
	;; [unrolled: 1-line block ×5, first 2 shown]
	ds_read_b64 v[60:61], v228 offset:43584
	ds_read_b64 v[230:231], v64 offset:43584
	v_dot4c_i32_i8_e32 v65, v217, v9
	v_dot4c_i32_i8_e32 v66, v223, v7
	;; [unrolled: 1-line block ×3, first 2 shown]
	s_waitcnt lgkmcnt(2)
	v_dot4c_i32_i8_e32 v66, v224, v0
	v_dot4c_i32_i8_e32 v65, v219, v11
	;; [unrolled: 1-line block ×4, first 2 shown]
	s_waitcnt lgkmcnt(1)
	v_cvt_f32_f16_e32 v232, v60
	v_cvt_f32_f16_sdwa v234, v60 dst_sel:DWORD dst_unused:UNUSED_PAD src0_sel:WORD_1
	v_mul_lo_u32 v48, v48, v254
	v_mul_lo_u32 v60, v65, v254
	v_dot4c_i32_i8_e32 v66, v227, v3
	s_waitcnt lgkmcnt(0)
	v_cvt_f32_f16_e32 v233, v230
	v_cvt_f32_f16_sdwa v235, v230 dst_sel:DWORD dst_unused:UNUSED_PAD src0_sel:WORD_1
	v_cvt_f32_f16_e32 v228, v61
	v_cvt_f32_f16_sdwa v230, v61 dst_sel:DWORD dst_unused:UNUSED_PAD src0_sel:WORD_1
	v_cvt_f32_i32_e32 v61, v60
	v_cvt_f32_i32_e32 v60, v48
	v_mul_lo_u32 v48, v58, v255
	v_mul_lo_u32 v58, v66, v255
	v_cvt_f32_i32_e32 v66, v48
	v_mov_b32_e32 v48, 0
	v_cvt_f32_i32_e32 v67, v58
	v_dot4c_i32_i8_e32 v48, v190, v12
	v_mov_b32_e32 v58, 0
	v_cvt_f32_f16_e32 v229, v231
	v_cvt_f32_f16_sdwa v231, v231 dst_sel:DWORD dst_unused:UNUSED_PAD src0_sel:WORD_1
	v_dot4c_i32_i8_e32 v48, v191, v13
	v_dot4c_i32_i8_e32 v58, v192, v4
	;; [unrolled: 1-line block ×6, first 2 shown]
	v_pk_fma_f32 v[64:65], v[202:203], v[234:235], 0 op_sel_hi:[0,1,0]
	v_dot4c_i32_i8_e32 v48, v196, v8
	v_dot4c_i32_i8_e32 v58, v205, v7
	v_pk_fma_f32 v[60:61], v[232:233], v[60:61], 0 op_sel_hi:[1,1,0]
	v_pk_fma_f32 v[64:65], v[220:221], v[230:231], v[64:65] op_sel_hi:[0,1,1]
	v_dot4c_i32_i8_e32 v48, v197, v9
	v_dot4c_i32_i8_e32 v58, v206, v0
	v_pk_fma_f32 v[60:61], v[228:229], v[66:67], v[60:61]
	v_pk_mul_f32 v[64:65], v[64:65], v[134:135]
	v_dot4c_i32_i8_e32 v48, v198, v10
	v_dot4c_i32_i8_e32 v58, v207, v1
	v_pk_fma_f32 v[60:61], v[60:61], v[132:133], v[64:65] neg_lo:[0,0,1] neg_hi:[0,0,1]
	v_dot4c_i32_i8_e32 v48, v199, v11
	v_dot4c_i32_i8_e32 v58, v208, v2
	v_pk_add_f32 v[68:69], v[68:69], v[60:61]
	v_dot4c_i32_i8_e32 v58, v209, v3
	v_mul_lo_u32 v60, v49, v252
	v_mul_lo_u32 v48, v48, v252
	v_cvt_f32_i32_e32 v49, v48
	v_cvt_f32_i32_e32 v48, v60
	v_mul_lo_u32 v54, v54, v253
	v_mul_lo_u32 v58, v58, v253
	v_cvt_f32_i32_e32 v65, v58
	v_cvt_f32_i32_e32 v64, v54
	v_pk_fma_f32 v[60:61], v[188:189], v[234:235], 0 op_sel_hi:[0,1,0]
	v_pk_fma_f32 v[48:49], v[232:233], v[48:49], 0 op_sel_hi:[1,1,0]
	;; [unrolled: 1-line block ×3, first 2 shown]
	v_pk_fma_f32 v[48:49], v[228:229], v[64:65], v[48:49]
	v_pk_mul_f32 v[60:61], v[60:61], v[138:139]
	v_mov_b32_e32 v54, 0
	v_pk_fma_f32 v[48:49], v[48:49], v[136:137], v[60:61] neg_lo:[0,0,1] neg_hi:[0,0,1]
	v_dot4c_i32_i8_e32 v54, v164, v4
	v_pk_add_f32 v[74:75], v[74:75], v[48:49]
	v_mov_b32_e32 v48, 0
	v_dot4c_i32_i8_e32 v48, v162, v12
	v_dot4c_i32_i8_e32 v48, v163, v13
	;; [unrolled: 1-line block ×15, first 2 shown]
	v_mul_lo_u32 v51, v51, v201
	v_mul_lo_u32 v48, v48, v201
	v_cvt_f32_i32_e32 v49, v48
	v_cvt_f32_i32_e32 v48, v51
	v_mul_lo_u32 v51, v52, v203
	v_mul_lo_u32 v52, v54, v203
	v_cvt_f32_i32_e32 v65, v52
	v_cvt_f32_i32_e32 v64, v51
	v_pk_fma_f32 v[60:61], v[160:161], v[234:235], 0 op_sel_hi:[0,1,0]
	v_pk_fma_f32 v[48:49], v[232:233], v[48:49], 0 op_sel_hi:[1,1,0]
	;; [unrolled: 1-line block ×3, first 2 shown]
	v_pk_fma_f32 v[48:49], v[228:229], v[64:65], v[48:49]
	v_pk_mul_f32 v[60:61], v[60:61], v[142:143]
	v_mov_b32_e32 v52, 0
	v_pk_fma_f32 v[48:49], v[48:49], v[140:141], v[60:61] neg_lo:[0,0,1] neg_hi:[0,0,1]
	v_mov_b32_e32 v54, 0
	v_pk_add_f32 v[56:57], v[56:57], v[48:49]
	v_mov_b32_e32 v48, 0
	v_dot4c_i32_i8_e32 v48, v166, v12
	v_dot4c_i32_i8_e32 v48, v167, v13
	;; [unrolled: 1-line block ×5, first 2 shown]
	v_mov_b32_e32 v8, 0
	v_dot4c_i32_i8_e32 v8, v158, v4
	v_dot4c_i32_i8_e32 v8, v159, v5
	;; [unrolled: 1-line block ×11, first 2 shown]
	v_mul_lo_u32 v0, v41, v189
	v_mul_lo_u32 v1, v48, v189
	v_cvt_f32_i32_e32 v1, v1
	v_cvt_f32_i32_e32 v0, v0
	v_mul_lo_u32 v4, v50, v181
	v_mul_lo_u32 v5, v8, v181
	v_cvt_f32_i32_e32 v5, v5
	v_cvt_f32_i32_e32 v4, v4
	v_pk_fma_f32 v[2:3], v[150:151], v[234:235], 0 op_sel_hi:[0,1,0]
	v_pk_fma_f32 v[0:1], v[232:233], v[0:1], 0 op_sel_hi:[1,1,0]
	;; [unrolled: 1-line block ×3, first 2 shown]
	v_pk_fma_f32 v[0:1], v[228:229], v[4:5], v[0:1]
	v_pk_mul_f32 v[2:3], v[2:3], v[146:147]
	v_mov_b32_e32 v58, 0
	v_pk_fma_f32 v[0:1], v[0:1], v[144:145], v[2:3] neg_lo:[0,0,1] neg_hi:[0,0,1]
	v_mov_b32_e32 v76, 0
	v_pk_add_f32 v[46:47], v[46:47], v[0:1]
	v_or_b32_e32 v0, s18, v109
	v_lshlrev_b32_e32 v1, 2, v0
	v_lshrrev_b32_e32 v51, 1, v0
	ds_read_b128 v[12:15], v1 offset:33280
	ds_read_b128 v[8:11], v1 offset:33296
	;; [unrolled: 1-line block ×4, first 2 shown]
	v_mov_b32_e32 v49, 0
	v_mov_b32_e32 v50, 0
	;; [unrolled: 1-line block ×4, first 2 shown]
	s_waitcnt lgkmcnt(3)
	v_dot4c_i32_i8_e32 v52, v212, v12
	s_waitcnt lgkmcnt(1)
	v_dot4c_i32_i8_e32 v54, v210, v4
	v_dot4c_i32_i8_e32 v58, v190, v12
	;; [unrolled: 1-line block ×32, first 2 shown]
	s_waitcnt lgkmcnt(0)
	v_dot4c_i32_i8_e32 v54, v224, v0
	v_dot4c_i32_i8_e32 v58, v196, v8
	;; [unrolled: 1-line block ×15, first 2 shown]
	v_or_b32_e32 v0, s18, v111
	v_dot4c_i32_i8_e32 v52, v218, v10
	v_dot4c_i32_i8_e32 v54, v226, v2
	;; [unrolled: 1-line block ×8, first 2 shown]
	v_lshlrev_b32_e32 v1, 2, v0
	v_dot4c_i32_i8_e32 v52, v219, v11
	v_dot4c_i32_i8_e32 v54, v227, v3
	;; [unrolled: 1-line block ×8, first 2 shown]
	v_lshrrev_b32_e32 v64, 1, v0
	ds_read_b128 v[12:15], v1 offset:33280
	ds_read_b128 v[8:11], v1 offset:33296
	;; [unrolled: 1-line block ×4, first 2 shown]
	v_mov_b32_e32 v66, 0
	s_waitcnt lgkmcnt(3)
	v_dot4c_i32_i8_e32 v66, v212, v12
	v_mov_b32_e32 v67, 0
	v_dot4c_i32_i8_e32 v66, v213, v13
	s_waitcnt lgkmcnt(1)
	v_dot4c_i32_i8_e32 v67, v210, v4
	v_dot4c_i32_i8_e32 v66, v214, v14
	;; [unrolled: 1-line block ×7, first 2 shown]
	ds_read_b64 v[60:61], v51 offset:43584
	ds_read_b64 v[64:65], v64 offset:43584
	v_dot4c_i32_i8_e32 v66, v217, v9
	s_waitcnt lgkmcnt(2)
	v_dot4c_i32_i8_e32 v67, v224, v0
	v_dot4c_i32_i8_e32 v66, v218, v10
	v_dot4c_i32_i8_e32 v67, v225, v1
	v_dot4c_i32_i8_e32 v66, v219, v11
	v_dot4c_i32_i8_e32 v67, v226, v2
	v_mul_lo_u32 v51, v52, v254
	v_dot4c_i32_i8_e32 v67, v227, v3
	s_waitcnt lgkmcnt(1)
	v_cvt_f32_f16_e32 v232, v60
	v_cvt_f32_f16_sdwa v234, v60 dst_sel:DWORD dst_unused:UNUSED_PAD src0_sel:WORD_1
	v_mul_lo_u32 v52, v66, v254
	v_cvt_f32_i32_e32 v60, v51
	v_mul_lo_u32 v51, v54, v255
	v_cvt_f32_f16_e32 v228, v61
	v_cvt_f32_f16_sdwa v230, v61 dst_sel:DWORD dst_unused:UNUSED_PAD src0_sel:WORD_1
	v_cvt_f32_i32_e32 v61, v52
	v_mul_lo_u32 v52, v67, v255
	v_cvt_f32_i32_e32 v66, v51
	v_mov_b32_e32 v51, 0
	v_cvt_f32_i32_e32 v67, v52
	v_dot4c_i32_i8_e32 v51, v190, v12
	v_mov_b32_e32 v52, 0
	s_waitcnt lgkmcnt(0)
	v_cvt_f32_f16_sdwa v235, v64 dst_sel:DWORD dst_unused:UNUSED_PAD src0_sel:WORD_1
	v_dot4c_i32_i8_e32 v51, v191, v13
	v_dot4c_i32_i8_e32 v52, v192, v4
	v_cvt_f32_f16_e32 v233, v64
	v_cvt_f32_f16_sdwa v231, v65 dst_sel:DWORD dst_unused:UNUSED_PAD src0_sel:WORD_1
	v_dot4c_i32_i8_e32 v51, v194, v14
	v_dot4c_i32_i8_e32 v52, v193, v5
	v_cvt_f32_f16_e32 v229, v65
	v_dot4c_i32_i8_e32 v51, v195, v15
	v_dot4c_i32_i8_e32 v52, v204, v6
	;; [unrolled: 1-line block ×4, first 2 shown]
	v_pk_fma_f32 v[64:65], v[202:203], v[234:235], 0 op_sel_hi:[0,1,0]
	v_dot4c_i32_i8_e32 v51, v197, v9
	v_dot4c_i32_i8_e32 v52, v206, v0
	v_pk_fma_f32 v[60:61], v[60:61], v[232:233], 0 op_sel_hi:[1,1,0]
	v_pk_fma_f32 v[64:65], v[220:221], v[230:231], v[64:65] op_sel_hi:[0,1,1]
	v_dot4c_i32_i8_e32 v51, v198, v10
	v_dot4c_i32_i8_e32 v52, v207, v1
	v_pk_fma_f32 v[60:61], v[66:67], v[228:229], v[60:61]
	v_pk_mul_f32 v[64:65], v[64:65], v[134:135]
	v_dot4c_i32_i8_e32 v51, v199, v11
	v_dot4c_i32_i8_e32 v52, v208, v2
	v_pk_fma_f32 v[60:61], v[60:61], v[132:133], v[64:65] neg_lo:[0,0,1] neg_hi:[0,0,1]
	v_dot4c_i32_i8_e32 v52, v209, v3
	v_mul_lo_u32 v51, v51, v252
	v_pk_add_f32 v[38:39], v[38:39], v[60:61]
	v_cvt_f32_i32_e32 v61, v51
	v_mul_lo_u32 v51, v76, v253
	v_mul_lo_u32 v52, v52, v253
	v_cvt_f32_i32_e32 v67, v52
	v_cvt_f32_i32_e32 v66, v51
	v_mov_b32_e32 v51, 0
	v_mov_b32_e32 v52, 0
	v_mul_lo_u32 v54, v58, v252
	v_dot4c_i32_i8_e32 v51, v162, v12
	v_dot4c_i32_i8_e32 v52, v164, v4
	v_cvt_f32_i32_e32 v60, v54
	v_dot4c_i32_i8_e32 v51, v163, v13
	v_dot4c_i32_i8_e32 v52, v165, v5
	;; [unrolled: 1-line block ×6, first 2 shown]
	v_pk_fma_f32 v[64:65], v[188:189], v[234:235], 0 op_sel_hi:[0,1,0]
	v_dot4c_i32_i8_e32 v51, v170, v8
	v_dot4c_i32_i8_e32 v52, v184, v0
	v_pk_fma_f32 v[60:61], v[60:61], v[232:233], 0 op_sel_hi:[1,1,0]
	v_pk_fma_f32 v[64:65], v[200:201], v[230:231], v[64:65] op_sel_hi:[0,1,1]
	v_dot4c_i32_i8_e32 v51, v171, v9
	v_dot4c_i32_i8_e32 v52, v185, v1
	v_pk_fma_f32 v[60:61], v[66:67], v[228:229], v[60:61]
	v_pk_mul_f32 v[64:65], v[64:65], v[138:139]
	v_dot4c_i32_i8_e32 v51, v174, v10
	v_dot4c_i32_i8_e32 v52, v186, v2
	v_pk_fma_f32 v[60:61], v[60:61], v[136:137], v[64:65] neg_lo:[0,0,1] neg_hi:[0,0,1]
	v_dot4c_i32_i8_e32 v51, v175, v11
	v_dot4c_i32_i8_e32 v52, v187, v3
	v_mul_lo_u32 v49, v49, v201
	v_pk_add_f32 v[36:37], v[36:37], v[60:61]
	v_mul_lo_u32 v51, v51, v201
	v_cvt_f32_i32_e32 v60, v49
	v_mul_lo_u32 v49, v50, v203
	v_mul_lo_u32 v50, v52, v203
	v_cvt_f32_i32_e32 v61, v51
	v_cvt_f32_i32_e32 v51, v50
	;; [unrolled: 1-line block ×3, first 2 shown]
	v_mov_b32_e32 v49, 0
	v_dot4c_i32_i8_e32 v49, v166, v12
	v_dot4c_i32_i8_e32 v49, v167, v13
	;; [unrolled: 1-line block ×5, first 2 shown]
	v_mov_b32_e32 v8, 0
	v_dot4c_i32_i8_e32 v8, v158, v4
	v_dot4c_i32_i8_e32 v8, v159, v5
	;; [unrolled: 1-line block ×11, first 2 shown]
	v_mul_lo_u32 v0, v41, v189
	v_mul_lo_u32 v1, v49, v189
	v_cvt_f32_i32_e32 v1, v1
	v_cvt_f32_i32_e32 v0, v0
	v_mul_lo_u32 v4, v48, v181
	v_mul_lo_u32 v5, v8, v181
	v_cvt_f32_i32_e32 v5, v5
	v_cvt_f32_i32_e32 v4, v4
	v_pk_fma_f32 v[2:3], v[150:151], v[234:235], 0 op_sel_hi:[0,1,0]
	v_pk_fma_f32 v[0:1], v[0:1], v[232:233], 0 op_sel_hi:[1,1,0]
	;; [unrolled: 1-line block ×3, first 2 shown]
	v_pk_fma_f32 v[0:1], v[4:5], v[228:229], v[0:1]
	v_pk_mul_f32 v[2:3], v[2:3], v[146:147]
	v_pk_fma_f32 v[60:61], v[60:61], v[232:233], 0 op_sel_hi:[1,1,0]
	v_pk_fma_f32 v[0:1], v[0:1], v[144:145], v[2:3] neg_lo:[0,0,1] neg_hi:[0,0,1]
	v_pk_fma_f32 v[64:65], v[160:161], v[234:235], 0 op_sel_hi:[0,1,0]
	v_pk_add_f32 v[32:33], v[32:33], v[0:1]
	v_or_b32_e32 v0, s18, v113
	v_lshlrev_b32_e32 v1, 2, v0
	v_pk_fma_f32 v[50:51], v[50:51], v[228:229], v[60:61]
	v_pk_fma_f32 v[60:61], v[180:181], v[230:231], v[64:65] op_sel_hi:[0,1,1]
	v_lshrrev_b32_e32 v48, 1, v0
	ds_read_b128 v[12:15], v1 offset:33280
	ds_read_b128 v[8:11], v1 offset:33296
	;; [unrolled: 1-line block ×4, first 2 shown]
	v_pk_mul_f32 v[60:61], v[60:61], v[142:143]
	v_mov_b32_e32 v58, 0
	v_pk_fma_f32 v[50:51], v[50:51], v[140:141], v[60:61] neg_lo:[0,0,1] neg_hi:[0,0,1]
	v_mov_b32_e32 v66, 0
	v_pk_add_f32 v[34:35], v[34:35], v[50:51]
	v_mov_b32_e32 v50, 0
	v_mov_b32_e32 v54, 0
	;; [unrolled: 1-line block ×6, first 2 shown]
	s_waitcnt lgkmcnt(3)
	v_dot4c_i32_i8_e32 v58, v212, v12
	s_waitcnt lgkmcnt(1)
	v_dot4c_i32_i8_e32 v66, v210, v4
	v_dot4c_i32_i8_e32 v50, v190, v12
	v_dot4c_i32_i8_e32 v54, v192, v4
	v_dot4c_i32_i8_e32 v51, v162, v12
	v_dot4c_i32_i8_e32 v49, v164, v4
	v_dot4c_i32_i8_e32 v41, v166, v12
	v_dot4c_i32_i8_e32 v52, v158, v4
	v_dot4c_i32_i8_e32 v58, v213, v13
	v_dot4c_i32_i8_e32 v66, v211, v5
	v_dot4c_i32_i8_e32 v50, v191, v13
	v_dot4c_i32_i8_e32 v54, v193, v5
	v_dot4c_i32_i8_e32 v51, v163, v13
	v_dot4c_i32_i8_e32 v49, v165, v5
	v_dot4c_i32_i8_e32 v41, v167, v13
	v_dot4c_i32_i8_e32 v52, v159, v5
	v_dot4c_i32_i8_e32 v58, v214, v14
	v_dot4c_i32_i8_e32 v66, v222, v6
	v_dot4c_i32_i8_e32 v50, v194, v14
	v_dot4c_i32_i8_e32 v54, v204, v6
	v_dot4c_i32_i8_e32 v51, v168, v14
	v_dot4c_i32_i8_e32 v49, v182, v6
	v_dot4c_i32_i8_e32 v41, v172, v14
	v_dot4c_i32_i8_e32 v52, v152, v6
	v_dot4c_i32_i8_e32 v58, v215, v15
	v_dot4c_i32_i8_e32 v66, v223, v7
	v_dot4c_i32_i8_e32 v50, v195, v15
	v_dot4c_i32_i8_e32 v54, v205, v7
	v_dot4c_i32_i8_e32 v51, v169, v15
	v_dot4c_i32_i8_e32 v49, v183, v7
	v_dot4c_i32_i8_e32 v41, v173, v15
	v_dot4c_i32_i8_e32 v52, v153, v7
	v_dot4c_i32_i8_e32 v58, v216, v8
	s_waitcnt lgkmcnt(0)
	v_dot4c_i32_i8_e32 v66, v224, v0
	v_dot4c_i32_i8_e32 v50, v196, v8
	;; [unrolled: 1-line block ×15, first 2 shown]
	v_or_b32_e32 v0, s18, v115
	v_dot4c_i32_i8_e32 v58, v218, v10
	v_dot4c_i32_i8_e32 v66, v226, v2
	;; [unrolled: 1-line block ×8, first 2 shown]
	v_lshlrev_b32_e32 v1, 2, v0
	v_dot4c_i32_i8_e32 v58, v219, v11
	v_dot4c_i32_i8_e32 v66, v227, v3
	;; [unrolled: 1-line block ×8, first 2 shown]
	v_lshrrev_b32_e32 v64, 1, v0
	ds_read_b128 v[12:15], v1 offset:33280
	ds_read_b128 v[8:11], v1 offset:33296
	;; [unrolled: 1-line block ×4, first 2 shown]
	v_mov_b32_e32 v67, 0
	s_waitcnt lgkmcnt(3)
	v_dot4c_i32_i8_e32 v67, v212, v12
	v_mov_b32_e32 v76, 0
	v_dot4c_i32_i8_e32 v67, v213, v13
	s_waitcnt lgkmcnt(1)
	v_dot4c_i32_i8_e32 v76, v210, v4
	ds_read_b64 v[60:61], v48 offset:43584
	ds_read_b64 v[64:65], v64 offset:43584
	v_dot4c_i32_i8_e32 v67, v214, v14
	v_dot4c_i32_i8_e32 v76, v211, v5
	;; [unrolled: 1-line block ×6, first 2 shown]
	v_mul_lo_u32 v48, v58, v254
	v_dot4c_i32_i8_e32 v67, v217, v9
	s_waitcnt lgkmcnt(2)
	v_dot4c_i32_i8_e32 v76, v224, v0
	s_waitcnt lgkmcnt(1)
	v_cvt_f32_f16_e32 v232, v60
	v_cvt_f32_f16_sdwa v234, v60 dst_sel:DWORD dst_unused:UNUSED_PAD src0_sel:WORD_1
	v_cvt_f32_i32_e32 v60, v48
	v_mul_lo_u32 v48, v66, v255
	v_dot4c_i32_i8_e32 v67, v218, v10
	v_dot4c_i32_i8_e32 v76, v225, v1
	v_cvt_f32_i32_e32 v66, v48
	v_mov_b32_e32 v48, 0
	v_dot4c_i32_i8_e32 v67, v219, v11
	v_dot4c_i32_i8_e32 v76, v226, v2
	;; [unrolled: 1-line block ×4, first 2 shown]
	s_waitcnt lgkmcnt(0)
	v_cvt_f32_f16_sdwa v235, v64 dst_sel:DWORD dst_unused:UNUSED_PAD src0_sel:WORD_1
	v_mul_lo_u32 v58, v67, v254
	v_dot4c_i32_i8_e32 v48, v191, v13
	v_cvt_f32_f16_e32 v233, v64
	v_cvt_f32_f16_e32 v228, v61
	v_cvt_f32_f16_sdwa v231, v65 dst_sel:DWORD dst_unused:UNUSED_PAD src0_sel:WORD_1
	v_cvt_f32_f16_sdwa v230, v61 dst_sel:DWORD dst_unused:UNUSED_PAD src0_sel:WORD_1
	v_cvt_f32_i32_e32 v61, v58
	v_mul_lo_u32 v58, v76, v255
	v_dot4c_i32_i8_e32 v48, v194, v14
	v_cvt_f32_f16_e32 v229, v65
	v_cvt_f32_i32_e32 v67, v58
	v_dot4c_i32_i8_e32 v48, v195, v15
	v_dot4c_i32_i8_e32 v48, v196, v8
	v_pk_fma_f32 v[64:65], v[202:203], v[234:235], 0 op_sel_hi:[0,1,0]
	v_dot4c_i32_i8_e32 v48, v197, v9
	v_pk_fma_f32 v[60:61], v[60:61], v[232:233], 0 op_sel_hi:[1,1,0]
	v_pk_fma_f32 v[64:65], v[220:221], v[230:231], v[64:65] op_sel_hi:[0,1,1]
	v_dot4c_i32_i8_e32 v48, v198, v10
	v_pk_fma_f32 v[60:61], v[66:67], v[228:229], v[60:61]
	v_pk_mul_f32 v[64:65], v[64:65], v[134:135]
	v_dot4c_i32_i8_e32 v48, v199, v11
	v_pk_fma_f32 v[60:61], v[60:61], v[132:133], v[64:65] neg_lo:[0,0,1] neg_hi:[0,0,1]
	v_mov_b32_e32 v58, 0
	v_pk_add_f32 v[30:31], v[30:31], v[60:61]
	v_mul_lo_u32 v48, v48, v252
	v_dot4c_i32_i8_e32 v58, v192, v4
	v_cvt_f32_i32_e32 v61, v48
	v_mul_lo_u32 v48, v54, v253
	v_dot4c_i32_i8_e32 v58, v193, v5
	v_cvt_f32_i32_e32 v66, v48
	v_mov_b32_e32 v48, 0
	v_dot4c_i32_i8_e32 v58, v204, v6
	v_dot4c_i32_i8_e32 v48, v162, v12
	v_mov_b32_e32 v54, 0
	v_dot4c_i32_i8_e32 v58, v205, v7
	v_dot4c_i32_i8_e32 v48, v163, v13
	;; [unrolled: 1-line block ×13, first 2 shown]
	v_mul_lo_u32 v50, v50, v252
	v_dot4c_i32_i8_e32 v48, v171, v9
	v_dot4c_i32_i8_e32 v54, v184, v0
	v_cvt_f32_i32_e32 v60, v50
	v_mul_lo_u32 v50, v58, v253
	v_dot4c_i32_i8_e32 v48, v174, v10
	v_dot4c_i32_i8_e32 v54, v185, v1
	v_cvt_f32_i32_e32 v67, v50
	v_dot4c_i32_i8_e32 v48, v175, v11
	v_dot4c_i32_i8_e32 v54, v186, v2
	;; [unrolled: 1-line block ×3, first 2 shown]
	v_mul_lo_u32 v50, v51, v201
	v_mul_lo_u32 v48, v48, v201
	v_pk_fma_f32 v[64:65], v[188:189], v[234:235], 0 op_sel_hi:[0,1,0]
	v_cvt_f32_i32_e32 v51, v48
	v_cvt_f32_i32_e32 v50, v50
	v_mul_lo_u32 v48, v49, v203
	v_mul_lo_u32 v49, v54, v203
	v_pk_fma_f32 v[60:61], v[60:61], v[232:233], 0 op_sel_hi:[1,1,0]
	v_pk_fma_f32 v[64:65], v[200:201], v[230:231], v[64:65] op_sel_hi:[0,1,1]
	v_cvt_f32_i32_e32 v49, v49
	v_cvt_f32_i32_e32 v48, v48
	v_pk_fma_f32 v[60:61], v[66:67], v[228:229], v[60:61]
	v_pk_mul_f32 v[64:65], v[64:65], v[138:139]
	v_pk_fma_f32 v[50:51], v[50:51], v[232:233], 0 op_sel_hi:[1,1,0]
	v_pk_fma_f32 v[60:61], v[60:61], v[136:137], v[64:65] neg_lo:[0,0,1] neg_hi:[0,0,1]
	v_pk_fma_f32 v[48:49], v[48:49], v[228:229], v[50:51]
	v_pk_add_f32 v[28:29], v[28:29], v[60:61]
	v_pk_fma_f32 v[60:61], v[160:161], v[234:235], 0 op_sel_hi:[0,1,0]
	v_pk_fma_f32 v[50:51], v[180:181], v[230:231], v[60:61] op_sel_hi:[0,1,1]
	v_pk_mul_f32 v[50:51], v[50:51], v[142:143]
	v_mov_b32_e32 v54, 0
	v_pk_fma_f32 v[48:49], v[48:49], v[140:141], v[50:51] neg_lo:[0,0,1] neg_hi:[0,0,1]
	v_mov_b32_e32 v58, 0
	v_pk_add_f32 v[26:27], v[26:27], v[48:49]
	v_mov_b32_e32 v48, 0
	v_dot4c_i32_i8_e32 v48, v166, v12
	v_dot4c_i32_i8_e32 v48, v167, v13
	v_dot4c_i32_i8_e32 v48, v172, v14
	v_dot4c_i32_i8_e32 v48, v173, v15
	v_dot4c_i32_i8_e32 v48, v176, v8
	v_mov_b32_e32 v8, 0
	v_dot4c_i32_i8_e32 v8, v158, v4
	v_dot4c_i32_i8_e32 v8, v159, v5
	;; [unrolled: 1-line block ×11, first 2 shown]
	v_mul_lo_u32 v0, v41, v189
	v_mul_lo_u32 v1, v48, v189
	v_cvt_f32_i32_e32 v1, v1
	v_cvt_f32_i32_e32 v0, v0
	v_mul_lo_u32 v4, v52, v181
	v_mul_lo_u32 v5, v8, v181
	v_cvt_f32_i32_e32 v5, v5
	v_cvt_f32_i32_e32 v4, v4
	v_pk_fma_f32 v[2:3], v[150:151], v[234:235], 0 op_sel_hi:[0,1,0]
	v_pk_fma_f32 v[0:1], v[0:1], v[232:233], 0 op_sel_hi:[1,1,0]
	;; [unrolled: 1-line block ×3, first 2 shown]
	v_pk_fma_f32 v[0:1], v[4:5], v[228:229], v[0:1]
	v_pk_mul_f32 v[2:3], v[2:3], v[146:147]
	v_mov_b32_e32 v52, 0
	v_pk_fma_f32 v[0:1], v[0:1], v[144:145], v[2:3] neg_lo:[0,0,1] neg_hi:[0,0,1]
	v_mov_b32_e32 v64, 0
	v_pk_add_f32 v[24:25], v[24:25], v[0:1]
	v_or_b32_e32 v0, s18, v117
	v_lshlrev_b32_e32 v1, 2, v0
	v_lshrrev_b32_e32 v41, 1, v0
	ds_read_b128 v[12:15], v1 offset:33280
	ds_read_b128 v[8:11], v1 offset:33296
	;; [unrolled: 1-line block ×4, first 2 shown]
	v_mov_b32_e32 v230, 0
	v_mov_b32_e32 v231, 0
	;; [unrolled: 1-line block ×4, first 2 shown]
	s_waitcnt lgkmcnt(3)
	v_dot4c_i32_i8_e32 v52, v212, v12
	s_waitcnt lgkmcnt(1)
	v_dot4c_i32_i8_e32 v54, v210, v4
	v_dot4c_i32_i8_e32 v58, v190, v12
	;; [unrolled: 1-line block ×32, first 2 shown]
	s_waitcnt lgkmcnt(0)
	v_dot4c_i32_i8_e32 v54, v224, v0
	v_dot4c_i32_i8_e32 v58, v196, v8
	;; [unrolled: 1-line block ×15, first 2 shown]
	v_or_b32_e32 v0, s18, v119
	v_dot4c_i32_i8_e32 v52, v218, v10
	v_dot4c_i32_i8_e32 v54, v226, v2
	;; [unrolled: 1-line block ×8, first 2 shown]
	v_lshlrev_b32_e32 v1, 2, v0
	v_dot4c_i32_i8_e32 v52, v219, v11
	v_dot4c_i32_i8_e32 v54, v227, v3
	;; [unrolled: 1-line block ×8, first 2 shown]
	v_lshrrev_b32_e32 v50, 1, v0
	ds_read_b128 v[12:15], v1 offset:33280
	ds_read_b128 v[8:11], v1 offset:33296
	;; [unrolled: 1-line block ×4, first 2 shown]
	v_mov_b32_e32 v60, 0
	s_waitcnt lgkmcnt(3)
	v_dot4c_i32_i8_e32 v60, v212, v12
	v_dot4c_i32_i8_e32 v60, v213, v13
	;; [unrolled: 1-line block ×4, first 2 shown]
	s_waitcnt lgkmcnt(2)
	v_dot4c_i32_i8_e32 v60, v216, v8
	v_mov_b32_e32 v61, 0
	ds_read_b64 v[48:49], v41 offset:43584
	ds_read_b64 v[50:51], v50 offset:43584
	v_dot4c_i32_i8_e32 v60, v217, v9
	s_waitcnt lgkmcnt(3)
	v_dot4c_i32_i8_e32 v61, v210, v4
	v_dot4c_i32_i8_e32 v60, v218, v10
	;; [unrolled: 1-line block ×6, first 2 shown]
	s_waitcnt lgkmcnt(1)
	v_cvt_f32_f16_e32 v216, v48
	v_cvt_f32_f16_sdwa v214, v48 dst_sel:DWORD dst_unused:UNUSED_PAD src0_sel:WORD_1
	v_mul_lo_u32 v41, v52, v254
	v_mul_lo_u32 v48, v60, v254
	v_dot4c_i32_i8_e32 v61, v224, v0
	v_cvt_f32_f16_e32 v212, v49
	v_cvt_f32_f16_sdwa v210, v49 dst_sel:DWORD dst_unused:UNUSED_PAD src0_sel:WORD_1
	v_cvt_f32_i32_e32 v49, v48
	v_cvt_f32_i32_e32 v48, v41
	v_mul_lo_u32 v41, v54, v255
	v_dot4c_i32_i8_e32 v61, v225, v1
	v_cvt_f32_i32_e32 v60, v41
	v_mov_b32_e32 v41, 0
	v_dot4c_i32_i8_e32 v61, v226, v2
	v_dot4c_i32_i8_e32 v41, v190, v12
	;; [unrolled: 1-line block ×3, first 2 shown]
	s_waitcnt lgkmcnt(0)
	v_cvt_f32_f16_sdwa v215, v50 dst_sel:DWORD dst_unused:UNUSED_PAD src0_sel:WORD_1
	v_dot4c_i32_i8_e32 v41, v191, v13
	v_cvt_f32_f16_e32 v217, v50
	v_cvt_f32_f16_sdwa v211, v51 dst_sel:DWORD dst_unused:UNUSED_PAD src0_sel:WORD_1
	v_mul_lo_u32 v52, v61, v255
	v_dot4c_i32_i8_e32 v41, v194, v14
	v_cvt_f32_f16_e32 v213, v51
	v_cvt_f32_i32_e32 v61, v52
	v_dot4c_i32_i8_e32 v41, v195, v15
	v_dot4c_i32_i8_e32 v41, v196, v8
	v_mov_b32_e32 v52, 0
	v_pk_fma_f32 v[50:51], v[202:203], v[214:215], 0 op_sel_hi:[0,1,0]
	v_dot4c_i32_i8_e32 v41, v197, v9
	v_dot4c_i32_i8_e32 v52, v192, v4
	v_pk_fma_f32 v[48:49], v[48:49], v[216:217], 0 op_sel_hi:[1,1,0]
	v_pk_fma_f32 v[50:51], v[220:221], v[210:211], v[50:51] op_sel_hi:[0,1,1]
	v_dot4c_i32_i8_e32 v41, v198, v10
	v_dot4c_i32_i8_e32 v52, v193, v5
	v_pk_fma_f32 v[48:49], v[60:61], v[212:213], v[48:49]
	v_pk_mul_f32 v[50:51], v[50:51], v[134:135]
	v_dot4c_i32_i8_e32 v41, v199, v11
	v_dot4c_i32_i8_e32 v52, v204, v6
	v_pk_fma_f32 v[48:49], v[48:49], v[132:133], v[50:51] neg_lo:[0,0,1] neg_hi:[0,0,1]
	v_dot4c_i32_i8_e32 v52, v205, v7
	v_mul_lo_u32 v41, v41, v252
	v_pk_add_f32 v[22:23], v[22:23], v[48:49]
	v_dot4c_i32_i8_e32 v52, v206, v0
	v_cvt_f32_i32_e32 v49, v41
	v_mul_lo_u32 v41, v64, v253
	v_dot4c_i32_i8_e32 v52, v207, v1
	v_cvt_f32_i32_e32 v60, v41
	v_mov_b32_e32 v41, 0
	v_dot4c_i32_i8_e32 v52, v208, v2
	v_dot4c_i32_i8_e32 v41, v162, v12
	;; [unrolled: 1-line block ×3, first 2 shown]
	v_mul_lo_u32 v48, v58, v252
	v_dot4c_i32_i8_e32 v41, v163, v13
	v_cvt_f32_i32_e32 v48, v48
	v_mul_lo_u32 v52, v52, v253
	v_dot4c_i32_i8_e32 v41, v168, v14
	v_cvt_f32_i32_e32 v61, v52
	v_dot4c_i32_i8_e32 v41, v169, v15
	v_dot4c_i32_i8_e32 v41, v170, v8
	v_pk_fma_f32 v[50:51], v[188:189], v[214:215], 0 op_sel_hi:[0,1,0]
	v_dot4c_i32_i8_e32 v41, v171, v9
	v_pk_fma_f32 v[48:49], v[48:49], v[216:217], 0 op_sel_hi:[1,1,0]
	v_pk_fma_f32 v[50:51], v[200:201], v[210:211], v[50:51] op_sel_hi:[0,1,1]
	v_dot4c_i32_i8_e32 v41, v174, v10
	v_pk_fma_f32 v[48:49], v[60:61], v[212:213], v[48:49]
	v_pk_mul_f32 v[50:51], v[50:51], v[138:139]
	v_dot4c_i32_i8_e32 v41, v175, v11
	v_pk_fma_f32 v[48:49], v[48:49], v[136:137], v[50:51] neg_lo:[0,0,1] neg_hi:[0,0,1]
	v_mov_b32_e32 v52, 0
	v_pk_add_f32 v[20:21], v[20:21], v[48:49]
	v_mul_lo_u32 v41, v41, v201
	v_cvt_f32_i32_e32 v49, v41
	v_mul_lo_u32 v41, v231, v203
	v_cvt_f32_i32_e32 v60, v41
	v_mov_b32_e32 v41, 0
	v_dot4c_i32_i8_e32 v41, v166, v12
	v_dot4c_i32_i8_e32 v41, v167, v13
	;; [unrolled: 1-line block ×5, first 2 shown]
	v_mov_b32_e32 v8, 0
	v_dot4c_i32_i8_e32 v52, v164, v4
	v_dot4c_i32_i8_e32 v8, v158, v4
	;; [unrolled: 1-line block ×18, first 2 shown]
	v_mul_lo_u32 v48, v230, v201
	v_dot4c_i32_i8_e32 v8, v157, v3
	v_mul_lo_u32 v0, v229, v189
	v_mul_lo_u32 v1, v41, v189
	v_cvt_f32_i32_e32 v48, v48
	v_mul_lo_u32 v52, v52, v203
	v_cvt_f32_i32_e32 v1, v1
	v_cvt_f32_i32_e32 v0, v0
	v_mul_lo_u32 v4, v228, v181
	v_mul_lo_u32 v5, v8, v181
	v_cvt_f32_i32_e32 v61, v52
	v_cvt_f32_i32_e32 v5, v5
	v_cvt_f32_i32_e32 v4, v4
	v_pk_fma_f32 v[50:51], v[160:161], v[214:215], 0 op_sel_hi:[0,1,0]
	v_pk_fma_f32 v[2:3], v[150:151], v[214:215], 0 op_sel_hi:[0,1,0]
	;; [unrolled: 1-line block ×6, first 2 shown]
	v_pk_fma_f32 v[48:49], v[60:61], v[212:213], v[48:49]
	v_pk_mul_f32 v[50:51], v[50:51], v[142:143]
	v_pk_fma_f32 v[0:1], v[4:5], v[212:213], v[0:1]
	v_pk_mul_f32 v[2:3], v[2:3], v[146:147]
	v_pk_fma_f32 v[48:49], v[48:49], v[140:141], v[50:51] neg_lo:[0,0,1] neg_hi:[0,0,1]
	v_pk_fma_f32 v[0:1], v[0:1], v[144:145], v[2:3] neg_lo:[0,0,1] neg_hi:[0,0,1]
	v_pk_add_f32 v[18:19], v[18:19], v[48:49]
	v_pk_add_f32 v[16:17], v[16:17], v[0:1]
	s_mov_b32 s19, 8
	s_and_b64 vcc, exec, s[0:1]
	s_mov_b64 s[0:1], 0
	s_cbranch_vccnz .LBB134_6
; %bb.7:                                ;   in Loop: Header=BB134_5 Depth=1
	v_add_u32_e32 v14, s17, v95
	v_add_u32_e32 v0, v14, v77
	v_add_u32_e32 v2, v14, v79
	v_add_u32_e32 v4, v14, v81
	v_add_u32_e32 v6, v14, v83
	v_add_u32_e32 v41, 4, v161
	v_mad_i64_i32 v[0:1], s[0:1], v0, 36, v[126:127]
	v_mad_i64_i32 v[2:3], s[0:1], v2, 36, v[126:127]
	;; [unrolled: 1-line block ×4, first 2 shown]
	v_add_u32_e32 v8, v14, v85
	v_add_u32_e32 v10, v14, v87
	;; [unrolled: 1-line block ×4, first 2 shown]
	v_mad_u64_u32 v[48:49], s[0:1], v41, 36, s[2:3]
	s_barrier
	v_mad_i64_i32 v[8:9], s[0:1], v8, 36, v[126:127]
	v_mad_i64_i32 v[10:11], s[0:1], v10, 36, v[126:127]
	;; [unrolled: 1-line block ×4, first 2 shown]
	global_load_dword v41, v[48:49], off
	s_nop 0
	global_load_dword v0, v[0:1], off offset:4
	s_nop 0
	global_load_dword v1, v[2:3], off offset:4
	;; [unrolled: 2-line block ×3, first 2 shown]
	global_load_dword v3, v[6:7], off offset:4
	s_nop 0
	global_load_dword v4, v[8:9], off offset:4
	global_load_dword v5, v[10:11], off offset:4
	;; [unrolled: 1-line block ×4, first 2 shown]
	s_mov_b32 s0, 16
	s_waitcnt vmcnt(8)
	ds_write_b32 v71, v41
	s_waitcnt vmcnt(7)
	ds_write_b32 v236, v0
	;; [unrolled: 2-line block ×9, first 2 shown]
	s_waitcnt lgkmcnt(0)
	s_barrier
	ds_read_b32 v0, v93
	ds_read_b32 v1, v97 offset:128
	ds_read_b32 v2, v101 offset:256
	;; [unrolled: 1-line block ×3, first 2 shown]
	s_waitcnt lgkmcnt(2)
	v_cvt_f32_f16_e32 v136, v1
	v_cvt_f32_f16_e32 v132, v0
	v_cvt_f32_f16_sdwa v134, v0 dst_sel:DWORD dst_unused:UNUSED_PAD src0_sel:WORD_1
	v_cvt_f32_f16_sdwa v138, v1 dst_sel:DWORD dst_unused:UNUSED_PAD src0_sel:WORD_1
	s_waitcnt lgkmcnt(1)
	v_cvt_f32_f16_e32 v140, v2
	v_cvt_f32_f16_sdwa v142, v2 dst_sel:DWORD dst_unused:UNUSED_PAD src0_sel:WORD_1
	s_waitcnt lgkmcnt(0)
	v_cvt_f32_f16_e32 v144, v3
	v_cvt_f32_f16_sdwa v146, v3 dst_sel:DWORD dst_unused:UNUSED_PAD src0_sel:WORD_1
	v_mov_b32_e32 v133, v132
	v_mov_b32_e32 v135, v134
	;; [unrolled: 1-line block ×8, first 2 shown]
.LBB134_8:                              ;   Parent Loop BB134_5 Depth=1
                                        ; =>  This Inner Loop Header: Depth=2
	s_lshr_b32 s1, s0, 2
	s_and_b32 s17, s1, 0x3ffffffe
	s_lshl_b32 s1, s0, 1
	s_and_b32 s1, s1, 16
	v_or_b32_e32 v0, s1, v55
	s_add_i32 s17, s17, 0xa200
	s_lshl_b32 s18, s0, 3
	v_lshlrev_b32_e32 v1, 2, v0
	v_add3_u32 v41, s17, v247, v248
	v_add_u32_e32 v48, s18, v121
	v_lshrrev_b32_e32 v228, 1, v0
	ds_read_b128 v[12:15], v1 offset:33280
	ds_read_b128 v[8:11], v1 offset:33296
	;; [unrolled: 1-line block ×4, first 2 shown]
	ds_read2_b32 v[212:213], v48 offset1:1
	ds_read2_b32 v[214:215], v48 offset0:2 offset1:3
	ds_read2_b32 v[216:217], v48 offset0:4 offset1:5
	;; [unrolled: 1-line block ×3, first 2 shown]
	ds_read_u16 v50, v41
	ds_read_u16 v41, v41 offset:8
	ds_read2_b32 v[194:195], v48 offset0:8 offset1:9
	ds_read2_b32 v[222:223], v48 offset0:10 offset1:11
	;; [unrolled: 1-line block ×4, first 2 shown]
	s_waitcnt lgkmcnt(4)
	v_cvt_f32_ubyte0_e32 v184, v41
	v_cvt_f32_ubyte1_e32 v220, v41
	v_add3_u32 v41, s17, v249, v244
	v_add_u32_e32 v48, s18, v123
	v_and_b32_e32 v199, 0xff, v50
	v_lshrrev_b16_e32 v254, 8, v50
	ds_read2_b32 v[168:169], v48 offset1:1
	ds_read2_b32 v[180:181], v48 offset0:2 offset1:3
	ds_read2_b32 v[186:187], v48 offset0:4 offset1:5
	;; [unrolled: 1-line block ×3, first 2 shown]
	ds_read_u16 v50, v41
	ds_read_u16 v41, v41 offset:8
	ds_read2_b32 v[176:177], v48 offset0:8 offset1:9
	ds_read2_b32 v[200:201], v48 offset0:10 offset1:11
	;; [unrolled: 1-line block ×4, first 2 shown]
	s_waitcnt lgkmcnt(4)
	v_cvt_f32_ubyte0_e32 v172, v41
	v_cvt_f32_ubyte1_e32 v196, v41
	v_add3_u32 v41, s17, v250, v245
	v_add_u32_e32 v48, s18, v125
	ds_read2_b32 v[170:171], v48 offset1:1
	ds_read2_b32 v[182:183], v48 offset0:2 offset1:3
	ds_read2_b32 v[188:189], v48 offset0:4 offset1:5
	;; [unrolled: 1-line block ×3, first 2 shown]
	ds_read_u16 v58, v41
	ds_read_u16 v41, v41 offset:8
	v_mov_b32_e32 v49, 0
	v_mov_b32_e32 v51, 0
	;; [unrolled: 1-line block ×3, first 2 shown]
	s_waitcnt lgkmcnt(1)
	v_and_b32_e32 v197, 0xff, v58
	v_lshrrev_b16_e32 v253, 8, v58
	v_add_u32_e32 v58, s18, v149
	ds_read2_b32 v[160:161], v58 offset1:1
	ds_read2_b32 v[162:163], v58 offset0:2 offset1:3
	ds_read2_b32 v[164:165], v58 offset0:4 offset1:5
	;; [unrolled: 1-line block ×3, first 2 shown]
	s_waitcnt lgkmcnt(4)
	v_cvt_f32_ubyte0_e32 v174, v41
	v_cvt_f32_ubyte1_e32 v198, v41
	v_mov_b32_e32 v41, 0
	v_dot4c_i32_i8_e32 v49, v212, v12
	v_dot4c_i32_i8_e32 v51, v168, v12
	;; [unrolled: 1-line block ×3, first 2 shown]
	s_waitcnt lgkmcnt(3)
	v_dot4c_i32_i8_e32 v41, v160, v12
	v_dot4c_i32_i8_e32 v49, v213, v13
	;; [unrolled: 1-line block ×8, first 2 shown]
	s_waitcnt lgkmcnt(2)
	v_dot4c_i32_i8_e32 v41, v162, v14
	v_dot4c_i32_i8_e32 v49, v215, v15
	;; [unrolled: 1-line block ×8, first 2 shown]
	ds_read2_b32 v[178:179], v48 offset0:8 offset1:9
	ds_read2_b32 v[202:203], v48 offset0:10 offset1:11
	;; [unrolled: 1-line block ×4, first 2 shown]
	v_add3_u32 v48, s17, v251, v246
	s_waitcnt lgkmcnt(5)
	v_dot4c_i32_i8_e32 v41, v164, v8
	v_dot4c_i32_i8_e32 v49, v217, v9
	;; [unrolled: 1-line block ×5, first 2 shown]
	ds_read_u16 v8, v48
	ds_read_u16 v9, v48 offset:8
	ds_read2_b32 v[158:159], v58 offset0:8 offset1:9
	ds_read2_b32 v[152:153], v58 offset0:10 offset1:11
	;; [unrolled: 1-line block ×4, first 2 shown]
	v_mov_b32_e32 v54, 0
	v_and_b32_e32 v185, 0xff, v50
	v_mov_b32_e32 v52, 0
	v_lshrrev_b16_e32 v252, 8, v50
	v_mov_b32_e32 v50, 0
	v_mov_b32_e32 v48, 0
	v_dot4c_i32_i8_e32 v54, v194, v4
	v_dot4c_i32_i8_e32 v52, v176, v4
	s_waitcnt lgkmcnt(9)
	v_dot4c_i32_i8_e32 v50, v178, v4
	s_waitcnt lgkmcnt(3)
	v_dot4c_i32_i8_e32 v48, v158, v4
	v_dot4c_i32_i8_e32 v54, v195, v5
	;; [unrolled: 1-line block ×8, first 2 shown]
	s_waitcnt lgkmcnt(2)
	v_dot4c_i32_i8_e32 v48, v152, v6
	v_dot4c_i32_i8_e32 v54, v223, v7
	;; [unrolled: 1-line block ×8, first 2 shown]
	s_waitcnt lgkmcnt(1)
	v_dot4c_i32_i8_e32 v48, v154, v0
	v_dot4c_i32_i8_e32 v54, v225, v1
	;; [unrolled: 1-line block ×5, first 2 shown]
	v_or_b32_e32 v0, s1, v107
	v_dot4c_i32_i8_e32 v49, v218, v10
	v_dot4c_i32_i8_e32 v54, v226, v2
	;; [unrolled: 1-line block ×7, first 2 shown]
	s_waitcnt lgkmcnt(0)
	v_dot4c_i32_i8_e32 v48, v156, v2
	v_lshlrev_b32_e32 v1, 2, v0
	v_dot4c_i32_i8_e32 v49, v219, v11
	v_dot4c_i32_i8_e32 v54, v227, v3
	;; [unrolled: 1-line block ×7, first 2 shown]
	v_and_b32_e32 v175, 0xff, v8
	v_cvt_f32_ubyte0_e32 v150, v9
	v_dot4c_i32_i8_e32 v48, v157, v3
	v_lshrrev_b16_e32 v173, 8, v8
	v_cvt_f32_ubyte1_e32 v148, v9
	v_lshrrev_b32_e32 v58, 1, v0
	ds_read_b128 v[12:15], v1 offset:33280
	ds_read_b128 v[8:11], v1 offset:33296
	;; [unrolled: 1-line block ×4, first 2 shown]
	v_mov_b32_e32 v66, 0
	s_waitcnt lgkmcnt(3)
	v_dot4c_i32_i8_e32 v66, v212, v12
	v_mov_b32_e32 v67, 0
	v_dot4c_i32_i8_e32 v66, v213, v13
	s_waitcnt lgkmcnt(1)
	v_dot4c_i32_i8_e32 v67, v194, v4
	v_dot4c_i32_i8_e32 v66, v214, v14
	;; [unrolled: 1-line block ×5, first 2 shown]
	ds_read_b64 v[60:61], v228 offset:43584
	ds_read_b64 v[64:65], v58 offset:43584
	v_dot4c_i32_i8_e32 v66, v216, v8
	v_dot4c_i32_i8_e32 v67, v223, v7
	;; [unrolled: 1-line block ×3, first 2 shown]
	s_waitcnt lgkmcnt(2)
	v_dot4c_i32_i8_e32 v67, v224, v0
	v_dot4c_i32_i8_e32 v66, v218, v10
	;; [unrolled: 1-line block ×3, first 2 shown]
	v_mul_lo_u32 v49, v49, v199
	v_dot4c_i32_i8_e32 v66, v219, v11
	v_dot4c_i32_i8_e32 v67, v226, v2
	s_waitcnt lgkmcnt(1)
	v_cvt_f32_f16_e32 v232, v60
	v_cvt_f32_f16_sdwa v234, v60 dst_sel:DWORD dst_unused:UNUSED_PAD src0_sel:WORD_1
	v_cvt_f32_i32_e32 v60, v49
	v_mul_lo_u32 v49, v54, v254
	v_dot4c_i32_i8_e32 v67, v227, v3
	v_mul_lo_u32 v58, v66, v199
	v_cvt_f32_i32_e32 v66, v49
	v_mov_b32_e32 v49, 0
	v_mul_lo_u32 v54, v67, v254
	v_dot4c_i32_i8_e32 v49, v168, v12
	s_waitcnt lgkmcnt(0)
	v_cvt_f32_f16_sdwa v235, v64 dst_sel:DWORD dst_unused:UNUSED_PAD src0_sel:WORD_1
	v_cvt_f32_i32_e32 v67, v54
	v_dot4c_i32_i8_e32 v49, v169, v13
	v_mov_b32_e32 v54, 0
	v_cvt_f32_f16_e32 v233, v64
	v_cvt_f32_f16_e32 v228, v61
	v_cvt_f32_f16_sdwa v231, v65 dst_sel:DWORD dst_unused:UNUSED_PAD src0_sel:WORD_1
	v_cvt_f32_f16_sdwa v230, v61 dst_sel:DWORD dst_unused:UNUSED_PAD src0_sel:WORD_1
	v_cvt_f32_i32_e32 v61, v58
	v_dot4c_i32_i8_e32 v49, v180, v14
	v_dot4c_i32_i8_e32 v54, v176, v4
	v_cvt_f32_f16_e32 v229, v65
	v_dot4c_i32_i8_e32 v49, v181, v15
	v_dot4c_i32_i8_e32 v54, v177, v5
	;; [unrolled: 1-line block ×4, first 2 shown]
	v_pk_fma_f32 v[64:65], v[184:185], v[234:235], 0 op_sel_hi:[0,1,0]
	v_dot4c_i32_i8_e32 v49, v187, v9
	v_dot4c_i32_i8_e32 v54, v201, v7
	v_pk_fma_f32 v[60:61], v[232:233], v[60:61], 0 op_sel_hi:[1,1,0]
	v_pk_fma_f32 v[64:65], v[220:221], v[230:231], v[64:65] op_sel_hi:[0,1,1]
	v_dot4c_i32_i8_e32 v49, v190, v10
	v_dot4c_i32_i8_e32 v54, v204, v0
	v_pk_fma_f32 v[60:61], v[228:229], v[66:67], v[60:61]
	v_pk_mul_f32 v[64:65], v[64:65], v[134:135]
	v_dot4c_i32_i8_e32 v49, v191, v11
	v_dot4c_i32_i8_e32 v54, v205, v1
	v_pk_fma_f32 v[60:61], v[60:61], v[132:133], v[64:65] neg_lo:[0,0,1] neg_hi:[0,0,1]
	v_dot4c_i32_i8_e32 v54, v208, v2
	v_mul_lo_u32 v49, v49, v185
	v_pk_add_f32 v[68:69], v[68:69], v[60:61]
	v_dot4c_i32_i8_e32 v54, v209, v3
	v_mul_lo_u32 v51, v51, v185
	v_cvt_f32_i32_e32 v61, v49
	v_mul_lo_u32 v49, v52, v252
	v_cvt_f32_i32_e32 v60, v51
	;; [unrolled: 2-line block ×3, first 2 shown]
	v_mov_b32_e32 v49, 0
	v_cvt_f32_i32_e32 v67, v51
	v_dot4c_i32_i8_e32 v49, v170, v12
	v_mov_b32_e32 v51, 0
	v_dot4c_i32_i8_e32 v49, v171, v13
	v_dot4c_i32_i8_e32 v51, v178, v4
	v_dot4c_i32_i8_e32 v49, v182, v14
	v_dot4c_i32_i8_e32 v51, v179, v5
	v_dot4c_i32_i8_e32 v49, v183, v15
	v_dot4c_i32_i8_e32 v51, v202, v6
	v_dot4c_i32_i8_e32 v49, v188, v8
	v_dot4c_i32_i8_e32 v51, v203, v7
	v_pk_fma_f32 v[64:65], v[172:173], v[234:235], 0 op_sel_hi:[0,1,0]
	v_dot4c_i32_i8_e32 v49, v189, v9
	v_dot4c_i32_i8_e32 v51, v206, v0
	v_pk_fma_f32 v[60:61], v[232:233], v[60:61], 0 op_sel_hi:[1,1,0]
	v_pk_fma_f32 v[64:65], v[196:197], v[230:231], v[64:65] op_sel_hi:[0,1,1]
	v_dot4c_i32_i8_e32 v49, v192, v10
	v_dot4c_i32_i8_e32 v51, v207, v1
	v_pk_fma_f32 v[60:61], v[228:229], v[66:67], v[60:61]
	v_pk_mul_f32 v[64:65], v[64:65], v[138:139]
	v_dot4c_i32_i8_e32 v49, v193, v11
	v_dot4c_i32_i8_e32 v51, v210, v2
	v_pk_fma_f32 v[60:61], v[60:61], v[136:137], v[64:65] neg_lo:[0,0,1] neg_hi:[0,0,1]
	v_dot4c_i32_i8_e32 v51, v211, v3
	v_mul_lo_u32 v49, v49, v197
	v_pk_add_f32 v[74:75], v[74:75], v[60:61]
	v_cvt_f32_i32_e32 v61, v49
	v_mul_lo_u32 v49, v50, v253
	v_mul_lo_u32 v50, v51, v253
	v_cvt_f32_i32_e32 v51, v50
	v_cvt_f32_i32_e32 v50, v49
	v_mov_b32_e32 v49, 0
	v_dot4c_i32_i8_e32 v49, v160, v12
	v_dot4c_i32_i8_e32 v49, v161, v13
	;; [unrolled: 1-line block ×5, first 2 shown]
	v_mov_b32_e32 v8, 0
	v_dot4c_i32_i8_e32 v8, v158, v4
	v_dot4c_i32_i8_e32 v8, v159, v5
	;; [unrolled: 1-line block ×11, first 2 shown]
	v_mul_lo_u32 v0, v41, v175
	v_mul_lo_u32 v1, v49, v175
	;; [unrolled: 1-line block ×3, first 2 shown]
	v_cvt_f32_i32_e32 v1, v1
	v_cvt_f32_i32_e32 v0, v0
	v_mul_lo_u32 v4, v48, v173
	v_mul_lo_u32 v5, v8, v173
	v_cvt_f32_i32_e32 v60, v52
	v_cvt_f32_i32_e32 v5, v5
	v_cvt_f32_i32_e32 v4, v4
	v_pk_fma_f32 v[2:3], v[150:151], v[234:235], 0 op_sel_hi:[0,1,0]
	v_pk_fma_f32 v[0:1], v[232:233], v[0:1], 0 op_sel_hi:[1,1,0]
	;; [unrolled: 1-line block ×5, first 2 shown]
	v_pk_fma_f32 v[0:1], v[228:229], v[4:5], v[0:1]
	v_pk_mul_f32 v[2:3], v[2:3], v[146:147]
	v_pk_fma_f32 v[50:51], v[228:229], v[50:51], v[60:61]
	v_pk_fma_f32 v[60:61], v[198:199], v[230:231], v[64:65] op_sel_hi:[0,1,1]
	v_pk_fma_f32 v[0:1], v[0:1], v[144:145], v[2:3] neg_lo:[0,0,1] neg_hi:[0,0,1]
	v_pk_mul_f32 v[60:61], v[60:61], v[142:143]
	v_pk_add_f32 v[46:47], v[46:47], v[0:1]
	v_or_b32_e32 v0, s1, v109
	v_pk_fma_f32 v[50:51], v[50:51], v[140:141], v[60:61] neg_lo:[0,0,1] neg_hi:[0,0,1]
	v_lshlrev_b32_e32 v1, 2, v0
	v_pk_add_f32 v[56:57], v[56:57], v[50:51]
	v_lshrrev_b32_e32 v51, 1, v0
	ds_read_b128 v[12:15], v1 offset:33280
	ds_read_b128 v[8:11], v1 offset:33296
	;; [unrolled: 1-line block ×4, first 2 shown]
	v_mov_b32_e32 v52, 0
	v_mov_b32_e32 v54, 0
	;; [unrolled: 1-line block ×8, first 2 shown]
	s_waitcnt lgkmcnt(3)
	v_dot4c_i32_i8_e32 v52, v212, v12
	s_waitcnt lgkmcnt(1)
	v_dot4c_i32_i8_e32 v54, v194, v4
	v_dot4c_i32_i8_e32 v58, v168, v12
	;; [unrolled: 1-line block ×32, first 2 shown]
	s_waitcnt lgkmcnt(0)
	v_dot4c_i32_i8_e32 v54, v224, v0
	v_dot4c_i32_i8_e32 v58, v186, v8
	;; [unrolled: 1-line block ×15, first 2 shown]
	v_or_b32_e32 v0, s1, v111
	v_dot4c_i32_i8_e32 v52, v218, v10
	v_dot4c_i32_i8_e32 v54, v226, v2
	;; [unrolled: 1-line block ×8, first 2 shown]
	v_lshlrev_b32_e32 v1, 2, v0
	v_dot4c_i32_i8_e32 v52, v219, v11
	v_dot4c_i32_i8_e32 v54, v227, v3
	v_dot4c_i32_i8_e32 v58, v191, v11
	v_dot4c_i32_i8_e32 v76, v209, v3
	v_dot4c_i32_i8_e32 v49, v193, v11
	v_dot4c_i32_i8_e32 v50, v211, v3
	v_dot4c_i32_i8_e32 v41, v167, v11
	v_dot4c_i32_i8_e32 v48, v157, v3
	v_lshrrev_b32_e32 v64, 1, v0
	ds_read_b128 v[12:15], v1 offset:33280
	ds_read_b128 v[8:11], v1 offset:33296
	;; [unrolled: 1-line block ×4, first 2 shown]
	v_mov_b32_e32 v66, 0
	s_waitcnt lgkmcnt(3)
	v_dot4c_i32_i8_e32 v66, v212, v12
	v_mov_b32_e32 v67, 0
	v_dot4c_i32_i8_e32 v66, v213, v13
	s_waitcnt lgkmcnt(1)
	v_dot4c_i32_i8_e32 v67, v194, v4
	v_dot4c_i32_i8_e32 v66, v214, v14
	;; [unrolled: 1-line block ×7, first 2 shown]
	ds_read_b64 v[60:61], v51 offset:43584
	ds_read_b64 v[64:65], v64 offset:43584
	v_dot4c_i32_i8_e32 v66, v217, v9
	s_waitcnt lgkmcnt(2)
	v_dot4c_i32_i8_e32 v67, v224, v0
	v_dot4c_i32_i8_e32 v66, v218, v10
	;; [unrolled: 1-line block ×5, first 2 shown]
	v_mul_lo_u32 v51, v52, v199
	v_dot4c_i32_i8_e32 v67, v227, v3
	s_waitcnt lgkmcnt(1)
	v_cvt_f32_f16_e32 v232, v60
	v_cvt_f32_f16_sdwa v234, v60 dst_sel:DWORD dst_unused:UNUSED_PAD src0_sel:WORD_1
	v_mul_lo_u32 v52, v66, v199
	v_cvt_f32_i32_e32 v60, v51
	v_mul_lo_u32 v51, v54, v254
	v_cvt_f32_f16_e32 v228, v61
	v_cvt_f32_f16_sdwa v230, v61 dst_sel:DWORD dst_unused:UNUSED_PAD src0_sel:WORD_1
	v_cvt_f32_i32_e32 v61, v52
	v_mul_lo_u32 v52, v67, v254
	v_cvt_f32_i32_e32 v66, v51
	v_mov_b32_e32 v51, 0
	v_cvt_f32_i32_e32 v67, v52
	v_dot4c_i32_i8_e32 v51, v168, v12
	v_mov_b32_e32 v52, 0
	s_waitcnt lgkmcnt(0)
	v_cvt_f32_f16_sdwa v235, v64 dst_sel:DWORD dst_unused:UNUSED_PAD src0_sel:WORD_1
	v_dot4c_i32_i8_e32 v51, v169, v13
	v_dot4c_i32_i8_e32 v52, v176, v4
	v_cvt_f32_f16_e32 v233, v64
	v_cvt_f32_f16_sdwa v231, v65 dst_sel:DWORD dst_unused:UNUSED_PAD src0_sel:WORD_1
	v_dot4c_i32_i8_e32 v51, v180, v14
	v_dot4c_i32_i8_e32 v52, v177, v5
	v_cvt_f32_f16_e32 v229, v65
	v_dot4c_i32_i8_e32 v51, v181, v15
	v_dot4c_i32_i8_e32 v52, v200, v6
	;; [unrolled: 1-line block ×4, first 2 shown]
	v_pk_fma_f32 v[64:65], v[184:185], v[234:235], 0 op_sel_hi:[0,1,0]
	v_dot4c_i32_i8_e32 v51, v187, v9
	v_dot4c_i32_i8_e32 v52, v204, v0
	v_pk_fma_f32 v[60:61], v[60:61], v[232:233], 0 op_sel_hi:[1,1,0]
	v_pk_fma_f32 v[64:65], v[220:221], v[230:231], v[64:65] op_sel_hi:[0,1,1]
	v_dot4c_i32_i8_e32 v51, v190, v10
	v_dot4c_i32_i8_e32 v52, v205, v1
	v_pk_fma_f32 v[60:61], v[66:67], v[228:229], v[60:61]
	v_pk_mul_f32 v[64:65], v[64:65], v[134:135]
	v_dot4c_i32_i8_e32 v51, v191, v11
	v_dot4c_i32_i8_e32 v52, v208, v2
	v_pk_fma_f32 v[60:61], v[60:61], v[132:133], v[64:65] neg_lo:[0,0,1] neg_hi:[0,0,1]
	v_dot4c_i32_i8_e32 v52, v209, v3
	v_mul_lo_u32 v51, v51, v185
	v_pk_add_f32 v[38:39], v[38:39], v[60:61]
	v_cvt_f32_i32_e32 v61, v51
	v_mul_lo_u32 v51, v76, v252
	v_mul_lo_u32 v52, v52, v252
	v_cvt_f32_i32_e32 v67, v52
	v_cvt_f32_i32_e32 v66, v51
	v_mov_b32_e32 v51, 0
	v_mov_b32_e32 v52, 0
	v_mul_lo_u32 v54, v58, v185
	v_dot4c_i32_i8_e32 v51, v170, v12
	v_dot4c_i32_i8_e32 v52, v178, v4
	v_cvt_f32_i32_e32 v60, v54
	v_dot4c_i32_i8_e32 v51, v171, v13
	v_dot4c_i32_i8_e32 v52, v179, v5
	;; [unrolled: 1-line block ×6, first 2 shown]
	v_pk_fma_f32 v[64:65], v[172:173], v[234:235], 0 op_sel_hi:[0,1,0]
	v_dot4c_i32_i8_e32 v51, v188, v8
	v_dot4c_i32_i8_e32 v52, v206, v0
	v_pk_fma_f32 v[60:61], v[60:61], v[232:233], 0 op_sel_hi:[1,1,0]
	v_pk_fma_f32 v[64:65], v[196:197], v[230:231], v[64:65] op_sel_hi:[0,1,1]
	v_dot4c_i32_i8_e32 v51, v189, v9
	v_dot4c_i32_i8_e32 v52, v207, v1
	v_pk_fma_f32 v[60:61], v[66:67], v[228:229], v[60:61]
	v_pk_mul_f32 v[64:65], v[64:65], v[138:139]
	v_dot4c_i32_i8_e32 v51, v192, v10
	v_dot4c_i32_i8_e32 v52, v210, v2
	v_pk_fma_f32 v[60:61], v[60:61], v[136:137], v[64:65] neg_lo:[0,0,1] neg_hi:[0,0,1]
	v_dot4c_i32_i8_e32 v51, v193, v11
	v_dot4c_i32_i8_e32 v52, v211, v3
	v_mul_lo_u32 v49, v49, v197
	v_pk_add_f32 v[36:37], v[36:37], v[60:61]
	v_mul_lo_u32 v51, v51, v197
	v_cvt_f32_i32_e32 v60, v49
	v_mul_lo_u32 v49, v50, v253
	v_mul_lo_u32 v50, v52, v253
	v_cvt_f32_i32_e32 v61, v51
	v_cvt_f32_i32_e32 v51, v50
	;; [unrolled: 1-line block ×3, first 2 shown]
	v_mov_b32_e32 v49, 0
	v_dot4c_i32_i8_e32 v49, v160, v12
	v_dot4c_i32_i8_e32 v49, v161, v13
	;; [unrolled: 1-line block ×5, first 2 shown]
	v_mov_b32_e32 v8, 0
	v_dot4c_i32_i8_e32 v8, v158, v4
	v_dot4c_i32_i8_e32 v8, v159, v5
	;; [unrolled: 1-line block ×11, first 2 shown]
	v_mul_lo_u32 v0, v41, v175
	v_mul_lo_u32 v1, v49, v175
	v_cvt_f32_i32_e32 v1, v1
	v_cvt_f32_i32_e32 v0, v0
	v_mul_lo_u32 v4, v48, v173
	v_mul_lo_u32 v5, v8, v173
	v_cvt_f32_i32_e32 v5, v5
	v_cvt_f32_i32_e32 v4, v4
	v_pk_fma_f32 v[2:3], v[150:151], v[234:235], 0 op_sel_hi:[0,1,0]
	v_pk_fma_f32 v[0:1], v[0:1], v[232:233], 0 op_sel_hi:[1,1,0]
	;; [unrolled: 1-line block ×5, first 2 shown]
	v_pk_fma_f32 v[0:1], v[4:5], v[228:229], v[0:1]
	v_pk_mul_f32 v[2:3], v[2:3], v[146:147]
	v_pk_fma_f32 v[50:51], v[50:51], v[228:229], v[60:61]
	v_pk_fma_f32 v[60:61], v[198:199], v[230:231], v[64:65] op_sel_hi:[0,1,1]
	v_pk_fma_f32 v[0:1], v[0:1], v[144:145], v[2:3] neg_lo:[0,0,1] neg_hi:[0,0,1]
	v_pk_mul_f32 v[60:61], v[60:61], v[142:143]
	v_pk_add_f32 v[32:33], v[32:33], v[0:1]
	v_or_b32_e32 v0, s1, v113
	v_pk_fma_f32 v[50:51], v[50:51], v[140:141], v[60:61] neg_lo:[0,0,1] neg_hi:[0,0,1]
	v_lshlrev_b32_e32 v1, 2, v0
	v_pk_add_f32 v[34:35], v[34:35], v[50:51]
	v_lshrrev_b32_e32 v51, 1, v0
	ds_read_b128 v[12:15], v1 offset:33280
	ds_read_b128 v[8:11], v1 offset:33296
	;; [unrolled: 1-line block ×4, first 2 shown]
	v_mov_b32_e32 v52, 0
	v_mov_b32_e32 v54, 0
	;; [unrolled: 1-line block ×8, first 2 shown]
	s_waitcnt lgkmcnt(3)
	v_dot4c_i32_i8_e32 v52, v212, v12
	s_waitcnt lgkmcnt(1)
	v_dot4c_i32_i8_e32 v54, v194, v4
	v_dot4c_i32_i8_e32 v58, v168, v12
	;; [unrolled: 1-line block ×32, first 2 shown]
	s_waitcnt lgkmcnt(0)
	v_dot4c_i32_i8_e32 v54, v224, v0
	v_dot4c_i32_i8_e32 v58, v186, v8
	v_dot4c_i32_i8_e32 v76, v204, v0
	v_dot4c_i32_i8_e32 v49, v188, v8
	v_dot4c_i32_i8_e32 v50, v206, v0
	v_dot4c_i32_i8_e32 v41, v164, v8
	v_dot4c_i32_i8_e32 v48, v154, v0
	v_dot4c_i32_i8_e32 v52, v217, v9
	v_dot4c_i32_i8_e32 v54, v225, v1
	v_dot4c_i32_i8_e32 v58, v187, v9
	v_dot4c_i32_i8_e32 v76, v205, v1
	v_dot4c_i32_i8_e32 v49, v189, v9
	v_dot4c_i32_i8_e32 v50, v207, v1
	v_dot4c_i32_i8_e32 v41, v165, v9
	v_dot4c_i32_i8_e32 v48, v155, v1
	v_or_b32_e32 v0, s1, v115
	v_dot4c_i32_i8_e32 v52, v218, v10
	v_dot4c_i32_i8_e32 v54, v226, v2
	;; [unrolled: 1-line block ×8, first 2 shown]
	v_lshlrev_b32_e32 v1, 2, v0
	v_dot4c_i32_i8_e32 v52, v219, v11
	v_dot4c_i32_i8_e32 v54, v227, v3
	;; [unrolled: 1-line block ×8, first 2 shown]
	v_lshrrev_b32_e32 v64, 1, v0
	ds_read_b128 v[12:15], v1 offset:33280
	ds_read_b128 v[8:11], v1 offset:33296
	;; [unrolled: 1-line block ×4, first 2 shown]
	v_mov_b32_e32 v66, 0
	s_waitcnt lgkmcnt(3)
	v_dot4c_i32_i8_e32 v66, v212, v12
	v_mov_b32_e32 v67, 0
	v_dot4c_i32_i8_e32 v66, v213, v13
	s_waitcnt lgkmcnt(1)
	v_dot4c_i32_i8_e32 v67, v194, v4
	v_dot4c_i32_i8_e32 v66, v214, v14
	;; [unrolled: 1-line block ×7, first 2 shown]
	ds_read_b64 v[60:61], v51 offset:43584
	ds_read_b64 v[64:65], v64 offset:43584
	v_dot4c_i32_i8_e32 v66, v217, v9
	s_waitcnt lgkmcnt(2)
	v_dot4c_i32_i8_e32 v67, v224, v0
	v_dot4c_i32_i8_e32 v66, v218, v10
	;; [unrolled: 1-line block ×5, first 2 shown]
	v_mul_lo_u32 v51, v52, v199
	v_dot4c_i32_i8_e32 v67, v227, v3
	s_waitcnt lgkmcnt(1)
	v_cvt_f32_f16_e32 v232, v60
	v_cvt_f32_f16_sdwa v234, v60 dst_sel:DWORD dst_unused:UNUSED_PAD src0_sel:WORD_1
	v_mul_lo_u32 v52, v66, v199
	v_cvt_f32_i32_e32 v60, v51
	v_mul_lo_u32 v51, v54, v254
	v_cvt_f32_f16_e32 v228, v61
	v_cvt_f32_f16_sdwa v230, v61 dst_sel:DWORD dst_unused:UNUSED_PAD src0_sel:WORD_1
	v_cvt_f32_i32_e32 v61, v52
	v_mul_lo_u32 v52, v67, v254
	v_cvt_f32_i32_e32 v66, v51
	v_mov_b32_e32 v51, 0
	v_cvt_f32_i32_e32 v67, v52
	v_dot4c_i32_i8_e32 v51, v168, v12
	v_mov_b32_e32 v52, 0
	s_waitcnt lgkmcnt(0)
	v_cvt_f32_f16_sdwa v235, v64 dst_sel:DWORD dst_unused:UNUSED_PAD src0_sel:WORD_1
	v_dot4c_i32_i8_e32 v51, v169, v13
	v_dot4c_i32_i8_e32 v52, v176, v4
	v_cvt_f32_f16_e32 v233, v64
	v_cvt_f32_f16_sdwa v231, v65 dst_sel:DWORD dst_unused:UNUSED_PAD src0_sel:WORD_1
	v_dot4c_i32_i8_e32 v51, v180, v14
	v_dot4c_i32_i8_e32 v52, v177, v5
	v_cvt_f32_f16_e32 v229, v65
	v_dot4c_i32_i8_e32 v51, v181, v15
	v_dot4c_i32_i8_e32 v52, v200, v6
	;; [unrolled: 1-line block ×4, first 2 shown]
	v_pk_fma_f32 v[64:65], v[184:185], v[234:235], 0 op_sel_hi:[0,1,0]
	v_dot4c_i32_i8_e32 v51, v187, v9
	v_dot4c_i32_i8_e32 v52, v204, v0
	v_pk_fma_f32 v[60:61], v[60:61], v[232:233], 0 op_sel_hi:[1,1,0]
	v_pk_fma_f32 v[64:65], v[220:221], v[230:231], v[64:65] op_sel_hi:[0,1,1]
	v_dot4c_i32_i8_e32 v51, v190, v10
	v_dot4c_i32_i8_e32 v52, v205, v1
	v_pk_fma_f32 v[60:61], v[66:67], v[228:229], v[60:61]
	v_pk_mul_f32 v[64:65], v[64:65], v[134:135]
	v_dot4c_i32_i8_e32 v51, v191, v11
	v_dot4c_i32_i8_e32 v52, v208, v2
	v_pk_fma_f32 v[60:61], v[60:61], v[132:133], v[64:65] neg_lo:[0,0,1] neg_hi:[0,0,1]
	v_dot4c_i32_i8_e32 v52, v209, v3
	v_mul_lo_u32 v51, v51, v185
	v_pk_add_f32 v[30:31], v[30:31], v[60:61]
	v_cvt_f32_i32_e32 v61, v51
	v_mul_lo_u32 v51, v76, v252
	v_mul_lo_u32 v52, v52, v252
	v_cvt_f32_i32_e32 v67, v52
	v_cvt_f32_i32_e32 v66, v51
	v_mov_b32_e32 v51, 0
	v_mov_b32_e32 v52, 0
	v_mul_lo_u32 v54, v58, v185
	v_dot4c_i32_i8_e32 v51, v170, v12
	v_dot4c_i32_i8_e32 v52, v178, v4
	v_cvt_f32_i32_e32 v60, v54
	v_dot4c_i32_i8_e32 v51, v171, v13
	v_dot4c_i32_i8_e32 v52, v179, v5
	;; [unrolled: 1-line block ×6, first 2 shown]
	v_pk_fma_f32 v[64:65], v[172:173], v[234:235], 0 op_sel_hi:[0,1,0]
	v_dot4c_i32_i8_e32 v51, v188, v8
	v_dot4c_i32_i8_e32 v52, v206, v0
	v_pk_fma_f32 v[60:61], v[60:61], v[232:233], 0 op_sel_hi:[1,1,0]
	v_pk_fma_f32 v[64:65], v[196:197], v[230:231], v[64:65] op_sel_hi:[0,1,1]
	v_dot4c_i32_i8_e32 v51, v189, v9
	v_dot4c_i32_i8_e32 v52, v207, v1
	v_pk_fma_f32 v[60:61], v[66:67], v[228:229], v[60:61]
	v_pk_mul_f32 v[64:65], v[64:65], v[138:139]
	v_dot4c_i32_i8_e32 v51, v192, v10
	v_dot4c_i32_i8_e32 v52, v210, v2
	v_pk_fma_f32 v[60:61], v[60:61], v[136:137], v[64:65] neg_lo:[0,0,1] neg_hi:[0,0,1]
	v_dot4c_i32_i8_e32 v51, v193, v11
	v_dot4c_i32_i8_e32 v52, v211, v3
	v_mul_lo_u32 v49, v49, v197
	v_pk_add_f32 v[28:29], v[28:29], v[60:61]
	v_mul_lo_u32 v51, v51, v197
	v_cvt_f32_i32_e32 v60, v49
	v_mul_lo_u32 v49, v50, v253
	v_mul_lo_u32 v50, v52, v253
	v_cvt_f32_i32_e32 v61, v51
	v_cvt_f32_i32_e32 v51, v50
	;; [unrolled: 1-line block ×3, first 2 shown]
	v_mov_b32_e32 v49, 0
	v_dot4c_i32_i8_e32 v49, v160, v12
	v_dot4c_i32_i8_e32 v49, v161, v13
	;; [unrolled: 1-line block ×5, first 2 shown]
	v_mov_b32_e32 v8, 0
	v_dot4c_i32_i8_e32 v8, v158, v4
	v_dot4c_i32_i8_e32 v8, v159, v5
	;; [unrolled: 1-line block ×11, first 2 shown]
	v_mul_lo_u32 v0, v41, v175
	v_mul_lo_u32 v1, v49, v175
	v_cvt_f32_i32_e32 v1, v1
	v_cvt_f32_i32_e32 v0, v0
	v_mul_lo_u32 v4, v48, v173
	v_mul_lo_u32 v5, v8, v173
	v_cvt_f32_i32_e32 v5, v5
	v_cvt_f32_i32_e32 v4, v4
	v_pk_fma_f32 v[2:3], v[150:151], v[234:235], 0 op_sel_hi:[0,1,0]
	v_pk_fma_f32 v[0:1], v[0:1], v[232:233], 0 op_sel_hi:[1,1,0]
	v_pk_fma_f32 v[2:3], v[148:149], v[230:231], v[2:3] op_sel_hi:[0,1,1]
	v_pk_fma_f32 v[0:1], v[4:5], v[228:229], v[0:1]
	v_pk_mul_f32 v[2:3], v[2:3], v[146:147]
	v_pk_fma_f32 v[60:61], v[60:61], v[232:233], 0 op_sel_hi:[1,1,0]
	v_pk_fma_f32 v[0:1], v[0:1], v[144:145], v[2:3] neg_lo:[0,0,1] neg_hi:[0,0,1]
	v_pk_fma_f32 v[50:51], v[50:51], v[228:229], v[60:61]
	v_pk_add_f32 v[24:25], v[24:25], v[0:1]
	v_or_b32_e32 v0, s1, v117
	v_lshlrev_b32_e32 v1, 2, v0
	v_lshrrev_b32_e32 v49, 1, v0
	ds_read_b128 v[12:15], v1 offset:33280
	ds_read_b128 v[8:11], v1 offset:33296
	;; [unrolled: 1-line block ×4, first 2 shown]
	v_mov_b32_e32 v52, 0
	v_mov_b32_e32 v54, 0
	;; [unrolled: 1-line block ×8, first 2 shown]
	s_waitcnt lgkmcnt(3)
	v_dot4c_i32_i8_e32 v52, v212, v12
	s_waitcnt lgkmcnt(1)
	v_dot4c_i32_i8_e32 v54, v194, v4
	v_dot4c_i32_i8_e32 v58, v168, v12
	;; [unrolled: 1-line block ×31, first 2 shown]
	v_pk_fma_f32 v[64:65], v[174:175], v[234:235], 0 op_sel_hi:[0,1,0]
	v_dot4c_i32_i8_e32 v52, v216, v8
	s_waitcnt lgkmcnt(0)
	v_dot4c_i32_i8_e32 v54, v224, v0
	v_dot4c_i32_i8_e32 v58, v186, v8
	;; [unrolled: 1-line block ×7, first 2 shown]
	v_pk_fma_f32 v[60:61], v[198:199], v[230:231], v[64:65] op_sel_hi:[0,1,1]
	v_dot4c_i32_i8_e32 v52, v217, v9
	v_dot4c_i32_i8_e32 v54, v225, v1
	;; [unrolled: 1-line block ×8, first 2 shown]
	v_or_b32_e32 v0, s1, v119
	v_pk_mul_f32 v[60:61], v[60:61], v[142:143]
	v_dot4c_i32_i8_e32 v52, v218, v10
	v_dot4c_i32_i8_e32 v54, v226, v2
	;; [unrolled: 1-line block ×8, first 2 shown]
	v_lshlrev_b32_e32 v1, 2, v0
	v_pk_fma_f32 v[50:51], v[50:51], v[140:141], v[60:61] neg_lo:[0,0,1] neg_hi:[0,0,1]
	v_dot4c_i32_i8_e32 v52, v219, v11
	v_dot4c_i32_i8_e32 v54, v227, v3
	;; [unrolled: 1-line block ×8, first 2 shown]
	v_lshrrev_b32_e32 v60, 1, v0
	ds_read_b128 v[12:15], v1 offset:33280
	ds_read_b128 v[8:11], v1 offset:33296
	ds_read_b128 v[4:7], v1 offset:33312
	ds_read_b128 v[0:3], v1 offset:33328
	v_mov_b32_e32 v64, 0
	s_waitcnt lgkmcnt(3)
	v_dot4c_i32_i8_e32 v64, v212, v12
	v_dot4c_i32_i8_e32 v64, v213, v13
	v_mov_b32_e32 v65, 0
	v_dot4c_i32_i8_e32 v64, v214, v14
	s_waitcnt lgkmcnt(1)
	v_dot4c_i32_i8_e32 v65, v194, v4
	v_dot4c_i32_i8_e32 v64, v215, v15
	;; [unrolled: 1-line block ×3, first 2 shown]
	v_pk_add_f32 v[26:27], v[26:27], v[50:51]
	v_dot4c_i32_i8_e32 v64, v216, v8
	v_dot4c_i32_i8_e32 v65, v222, v6
	ds_read_b64 v[50:51], v49 offset:43584
	ds_read_b64 v[60:61], v60 offset:43584
	v_dot4c_i32_i8_e32 v64, v217, v9
	v_dot4c_i32_i8_e32 v65, v223, v7
	v_dot4c_i32_i8_e32 v64, v218, v10
	s_waitcnt lgkmcnt(2)
	v_dot4c_i32_i8_e32 v65, v224, v0
	v_dot4c_i32_i8_e32 v64, v219, v11
	v_dot4c_i32_i8_e32 v65, v225, v1
	v_dot4c_i32_i8_e32 v65, v226, v2
	s_waitcnt lgkmcnt(1)
	v_cvt_f32_f16_e32 v216, v50
	v_cvt_f32_f16_sdwa v214, v50 dst_sel:DWORD dst_unused:UNUSED_PAD src0_sel:WORD_1
	v_mul_lo_u32 v49, v52, v199
	v_mul_lo_u32 v50, v64, v199
	v_dot4c_i32_i8_e32 v65, v227, v3
	v_cvt_f32_f16_e32 v212, v51
	v_cvt_f32_f16_sdwa v194, v51 dst_sel:DWORD dst_unused:UNUSED_PAD src0_sel:WORD_1
	v_cvt_f32_i32_e32 v51, v50
	v_cvt_f32_i32_e32 v50, v49
	v_mul_lo_u32 v49, v54, v254
	v_mul_lo_u32 v52, v65, v254
	v_cvt_f32_i32_e32 v64, v49
	v_mov_b32_e32 v49, 0
	v_cvt_f32_i32_e32 v65, v52
	v_dot4c_i32_i8_e32 v49, v168, v12
	v_mov_b32_e32 v52, 0
	s_waitcnt lgkmcnt(0)
	v_cvt_f32_f16_sdwa v215, v60 dst_sel:DWORD dst_unused:UNUSED_PAD src0_sel:WORD_1
	v_dot4c_i32_i8_e32 v49, v169, v13
	v_dot4c_i32_i8_e32 v52, v176, v4
	v_cvt_f32_f16_e32 v217, v60
	v_cvt_f32_f16_sdwa v195, v61 dst_sel:DWORD dst_unused:UNUSED_PAD src0_sel:WORD_1
	v_dot4c_i32_i8_e32 v49, v180, v14
	v_dot4c_i32_i8_e32 v52, v177, v5
	v_cvt_f32_f16_e32 v213, v61
	v_dot4c_i32_i8_e32 v49, v181, v15
	v_dot4c_i32_i8_e32 v52, v200, v6
	;; [unrolled: 1-line block ×4, first 2 shown]
	v_pk_fma_f32 v[60:61], v[184:185], v[214:215], 0 op_sel_hi:[0,1,0]
	v_dot4c_i32_i8_e32 v49, v187, v9
	v_dot4c_i32_i8_e32 v52, v204, v0
	v_pk_fma_f32 v[50:51], v[50:51], v[216:217], 0 op_sel_hi:[1,1,0]
	v_pk_fma_f32 v[60:61], v[220:221], v[194:195], v[60:61] op_sel_hi:[0,1,1]
	v_dot4c_i32_i8_e32 v49, v190, v10
	v_dot4c_i32_i8_e32 v52, v205, v1
	v_pk_fma_f32 v[50:51], v[64:65], v[212:213], v[50:51]
	v_pk_mul_f32 v[60:61], v[60:61], v[134:135]
	v_dot4c_i32_i8_e32 v49, v191, v11
	v_dot4c_i32_i8_e32 v52, v208, v2
	v_pk_fma_f32 v[50:51], v[50:51], v[132:133], v[60:61] neg_lo:[0,0,1] neg_hi:[0,0,1]
	v_dot4c_i32_i8_e32 v52, v209, v3
	v_mul_lo_u32 v49, v49, v185
	v_pk_add_f32 v[22:23], v[22:23], v[50:51]
	v_cvt_f32_i32_e32 v51, v49
	v_mul_lo_u32 v49, v66, v252
	v_mul_lo_u32 v52, v52, v252
	v_cvt_f32_i32_e32 v65, v52
	v_cvt_f32_i32_e32 v64, v49
	v_mov_b32_e32 v49, 0
	v_mov_b32_e32 v52, 0
	v_mul_lo_u32 v50, v58, v185
	v_dot4c_i32_i8_e32 v49, v170, v12
	v_dot4c_i32_i8_e32 v52, v178, v4
	v_cvt_f32_i32_e32 v50, v50
	v_dot4c_i32_i8_e32 v49, v171, v13
	v_dot4c_i32_i8_e32 v52, v179, v5
	;; [unrolled: 1-line block ×6, first 2 shown]
	v_pk_fma_f32 v[60:61], v[172:173], v[214:215], 0 op_sel_hi:[0,1,0]
	v_dot4c_i32_i8_e32 v49, v188, v8
	v_dot4c_i32_i8_e32 v52, v206, v0
	v_pk_fma_f32 v[50:51], v[50:51], v[216:217], 0 op_sel_hi:[1,1,0]
	v_pk_fma_f32 v[60:61], v[196:197], v[194:195], v[60:61] op_sel_hi:[0,1,1]
	v_dot4c_i32_i8_e32 v49, v189, v9
	v_dot4c_i32_i8_e32 v52, v207, v1
	v_pk_fma_f32 v[50:51], v[64:65], v[212:213], v[50:51]
	v_pk_mul_f32 v[60:61], v[60:61], v[138:139]
	v_dot4c_i32_i8_e32 v49, v192, v10
	v_dot4c_i32_i8_e32 v52, v210, v2
	v_pk_fma_f32 v[50:51], v[50:51], v[136:137], v[60:61] neg_lo:[0,0,1] neg_hi:[0,0,1]
	v_dot4c_i32_i8_e32 v49, v193, v11
	v_dot4c_i32_i8_e32 v52, v211, v3
	v_mul_lo_u32 v41, v41, v197
	v_pk_add_f32 v[20:21], v[20:21], v[50:51]
	v_mul_lo_u32 v49, v49, v197
	v_cvt_f32_i32_e32 v50, v41
	v_mul_lo_u32 v41, v48, v253
	v_mul_lo_u32 v48, v52, v253
	v_cvt_f32_i32_e32 v51, v49
	v_cvt_f32_i32_e32 v49, v48
	;; [unrolled: 1-line block ×3, first 2 shown]
	v_mov_b32_e32 v41, 0
	v_dot4c_i32_i8_e32 v41, v160, v12
	v_dot4c_i32_i8_e32 v41, v161, v13
	;; [unrolled: 1-line block ×5, first 2 shown]
	v_mov_b32_e32 v8, 0
	v_dot4c_i32_i8_e32 v8, v158, v4
	v_dot4c_i32_i8_e32 v8, v159, v5
	;; [unrolled: 1-line block ×11, first 2 shown]
	v_mul_lo_u32 v0, v229, v175
	v_mul_lo_u32 v1, v41, v175
	v_cvt_f32_i32_e32 v1, v1
	v_cvt_f32_i32_e32 v0, v0
	v_mul_lo_u32 v4, v228, v173
	v_mul_lo_u32 v5, v8, v173
	v_cvt_f32_i32_e32 v5, v5
	v_cvt_f32_i32_e32 v4, v4
	v_pk_fma_f32 v[50:51], v[50:51], v[216:217], 0 op_sel_hi:[1,1,0]
	v_pk_fma_f32 v[60:61], v[174:175], v[214:215], 0 op_sel_hi:[0,1,0]
	;; [unrolled: 1-line block ×3, first 2 shown]
	v_pk_fma_f32 v[48:49], v[48:49], v[212:213], v[50:51]
	v_pk_fma_f32 v[50:51], v[198:199], v[194:195], v[60:61] op_sel_hi:[0,1,1]
	v_pk_fma_f32 v[0:1], v[0:1], v[216:217], 0 op_sel_hi:[1,1,0]
	;; [unrolled: 1-line block ×3, first 2 shown]
	v_pk_mul_f32 v[50:51], v[50:51], v[142:143]
	v_pk_fma_f32 v[0:1], v[4:5], v[212:213], v[0:1]
	v_pk_mul_f32 v[2:3], v[2:3], v[146:147]
	v_pk_fma_f32 v[48:49], v[48:49], v[140:141], v[50:51] neg_lo:[0,0,1] neg_hi:[0,0,1]
	v_pk_fma_f32 v[0:1], v[0:1], v[144:145], v[2:3] neg_lo:[0,0,1] neg_hi:[0,0,1]
	s_add_i32 s1, s0, 8
	v_pk_add_f32 v[18:19], v[18:19], v[48:49]
	v_pk_add_f32 v[16:17], v[16:17], v[0:1]
	s_cmp_lt_u32 s0, 24
	s_mov_b32 s0, s1
	s_cbranch_scc1 .LBB134_8
; %bb.9:                                ;   in Loop: Header=BB134_5 Depth=1
	s_add_i32 s9, s9, 1
	s_cmp_eq_u32 s9, s4
	s_barrier
	s_cbranch_scc0 .LBB134_5
; %bb.10:
	scratch_load_dword v1, off, off offset:100 ; 4-byte Folded Reload
	scratch_load_dword v2, off, off offset:96 ; 4-byte Folded Reload
	;; [unrolled: 1-line block ×3, first 2 shown]
.LBB134_11:
	s_waitcnt vmcnt(0)
	v_cmp_gt_u32_e32 vcc, s10, v3
	s_and_saveexec_b64 s[0:1], vcc
	s_cbranch_execz .LBB134_62
; %bb.12:
	v_add_u32_e32 v0, s6, v2
	v_mul_lo_u32 v5, v3, s14
	v_cmp_gt_u32_e32 vcc, s14, v0
	s_and_saveexec_b64 s[0:1], vcc
	s_cbranch_execz .LBB134_14
; %bb.13:
	v_add_u32_e32 v2, v0, v5
	v_mov_b32_e32 v3, 0
	s_waitcnt lgkmcnt(0)
	v_lshl_add_u64 v[2:3], v[2:3], 2, s[12:13]
	global_store_dword v[2:3], v68, off
.LBB134_14:
	s_or_b64 exec, exec, s[0:1]
	v_add_u32_e32 v2, 32, v0
	v_cmp_gt_u32_e64 s[0:1], s14, v2
	s_and_saveexec_b64 s[2:3], s[0:1]
	s_cbranch_execz .LBB134_16
; %bb.15:
	v_add_u32_e32 v6, v2, v5
	v_mov_b32_e32 v7, 0
	s_waitcnt lgkmcnt(0)
	v_lshl_add_u64 v[6:7], v[6:7], 2, s[12:13]
	global_store_dword v[6:7], v74, off
.LBB134_16:
	s_or_b64 exec, exec, s[2:3]
	v_add_u32_e32 v3, 64, v0
	v_cmp_gt_u32_e64 s[2:3], s14, v3
	s_and_saveexec_b64 s[4:5], s[2:3]
	;; [unrolled: 12-line block ×3, first 2 shown]
	s_cbranch_execz .LBB134_20
; %bb.19:
	v_add_u32_e32 v6, v4, v5
	v_mov_b32_e32 v7, 0
	s_waitcnt lgkmcnt(0)
	v_lshl_add_u64 v[6:7], v[6:7], 2, s[12:13]
	global_store_dword v[6:7], v46, off
.LBB134_20:
	s_or_b64 exec, exec, s[6:7]
	v_add3_u32 v5, v1, s15, 8
	v_cmp_gt_u32_e64 s[6:7], s10, v5
	s_and_b64 exec, exec, s[6:7]
	s_cbranch_execz .LBB134_62
; %bb.21:
	v_mul_lo_u32 v5, v5, s14
	s_and_saveexec_b64 s[6:7], vcc
	s_cbranch_execnz .LBB134_63
; %bb.22:
	s_or_b64 exec, exec, s[6:7]
	s_and_saveexec_b64 s[6:7], s[0:1]
	s_cbranch_execnz .LBB134_64
.LBB134_23:
	s_or_b64 exec, exec, s[6:7]
	s_and_saveexec_b64 s[6:7], s[2:3]
	s_cbranch_execnz .LBB134_65
.LBB134_24:
	s_or_b64 exec, exec, s[6:7]
	s_and_saveexec_b64 s[6:7], s[4:5]
	s_cbranch_execz .LBB134_26
.LBB134_25:
	v_add_u32_e32 v6, v5, v4
	v_mov_b32_e32 v7, 0
	s_waitcnt lgkmcnt(0)
	v_lshl_add_u64 v[6:7], v[6:7], 2, s[12:13]
	global_store_dword v[6:7], v47, off
.LBB134_26:
	s_or_b64 exec, exec, s[6:7]
	v_add3_u32 v5, v1, s15, 16
	v_cmp_gt_u32_e64 s[6:7], s10, v5
	s_and_b64 exec, exec, s[6:7]
	s_cbranch_execz .LBB134_62
; %bb.27:
	v_mul_lo_u32 v5, v5, s14
	s_and_saveexec_b64 s[6:7], vcc
	s_cbranch_execnz .LBB134_66
; %bb.28:
	s_or_b64 exec, exec, s[6:7]
	s_and_saveexec_b64 s[6:7], s[0:1]
	s_cbranch_execnz .LBB134_67
.LBB134_29:
	s_or_b64 exec, exec, s[6:7]
	s_and_saveexec_b64 s[6:7], s[2:3]
	s_cbranch_execnz .LBB134_68
.LBB134_30:
	s_or_b64 exec, exec, s[6:7]
	s_and_saveexec_b64 s[6:7], s[4:5]
	s_cbranch_execz .LBB134_32
.LBB134_31:
	v_add_u32_e32 v6, v5, v4
	v_mov_b32_e32 v7, 0
	s_waitcnt lgkmcnt(0)
	v_lshl_add_u64 v[6:7], v[6:7], 2, s[12:13]
	global_store_dword v[6:7], v32, off
.LBB134_32:
	s_or_b64 exec, exec, s[6:7]
	v_add3_u32 v5, v1, s15, 24
	v_cmp_gt_u32_e64 s[6:7], s10, v5
	s_and_b64 exec, exec, s[6:7]
	s_cbranch_execz .LBB134_62
; %bb.33:
	v_mul_lo_u32 v5, v5, s14
	s_and_saveexec_b64 s[6:7], vcc
	s_cbranch_execnz .LBB134_69
; %bb.34:
	s_or_b64 exec, exec, s[6:7]
	s_and_saveexec_b64 s[6:7], s[0:1]
	s_cbranch_execnz .LBB134_70
.LBB134_35:
	s_or_b64 exec, exec, s[6:7]
	s_and_saveexec_b64 s[6:7], s[2:3]
	s_cbranch_execnz .LBB134_71
.LBB134_36:
	s_or_b64 exec, exec, s[6:7]
	s_and_saveexec_b64 s[6:7], s[4:5]
	s_cbranch_execz .LBB134_38
.LBB134_37:
	v_add_u32_e32 v6, v5, v4
	v_mov_b32_e32 v7, 0
	s_waitcnt lgkmcnt(0)
	v_lshl_add_u64 v[6:7], v[6:7], 2, s[12:13]
	global_store_dword v[6:7], v33, off
.LBB134_38:
	s_or_b64 exec, exec, s[6:7]
	v_add3_u32 v5, v1, s15, 32
	v_cmp_gt_u32_e64 s[6:7], s10, v5
	s_and_b64 exec, exec, s[6:7]
	s_cbranch_execz .LBB134_62
; %bb.39:
	v_mul_lo_u32 v5, v5, s14
	s_and_saveexec_b64 s[6:7], vcc
	s_cbranch_execnz .LBB134_72
; %bb.40:
	s_or_b64 exec, exec, s[6:7]
	s_and_saveexec_b64 s[6:7], s[0:1]
	s_cbranch_execnz .LBB134_73
.LBB134_41:
	s_or_b64 exec, exec, s[6:7]
	s_and_saveexec_b64 s[6:7], s[2:3]
	s_cbranch_execnz .LBB134_74
.LBB134_42:
	s_or_b64 exec, exec, s[6:7]
	s_and_saveexec_b64 s[6:7], s[4:5]
	s_cbranch_execz .LBB134_44
.LBB134_43:
	v_add_u32_e32 v6, v5, v4
	v_mov_b32_e32 v7, 0
	s_waitcnt lgkmcnt(0)
	v_lshl_add_u64 v[6:7], v[6:7], 2, s[12:13]
	global_store_dword v[6:7], v24, off
.LBB134_44:
	s_or_b64 exec, exec, s[6:7]
	v_add3_u32 v5, v1, s15, 40
	v_cmp_gt_u32_e64 s[6:7], s10, v5
	s_and_b64 exec, exec, s[6:7]
	s_cbranch_execz .LBB134_62
; %bb.45:
	v_mul_lo_u32 v5, v5, s14
	s_and_saveexec_b64 s[6:7], vcc
	s_cbranch_execnz .LBB134_75
; %bb.46:
	s_or_b64 exec, exec, s[6:7]
	s_and_saveexec_b64 s[6:7], s[0:1]
	s_cbranch_execnz .LBB134_76
.LBB134_47:
	s_or_b64 exec, exec, s[6:7]
	s_and_saveexec_b64 s[6:7], s[2:3]
	s_cbranch_execnz .LBB134_77
.LBB134_48:
	s_or_b64 exec, exec, s[6:7]
	s_and_saveexec_b64 s[6:7], s[4:5]
	s_cbranch_execz .LBB134_50
.LBB134_49:
	v_add_u32_e32 v6, v5, v4
	v_mov_b32_e32 v7, 0
	s_waitcnt lgkmcnt(0)
	v_lshl_add_u64 v[6:7], v[6:7], 2, s[12:13]
	global_store_dword v[6:7], v25, off
.LBB134_50:
	s_or_b64 exec, exec, s[6:7]
	v_add3_u32 v5, v1, s15, 48
	v_cmp_gt_u32_e64 s[6:7], s10, v5
	s_and_b64 exec, exec, s[6:7]
	s_cbranch_execz .LBB134_62
; %bb.51:
	v_mul_lo_u32 v5, v5, s14
	s_and_saveexec_b64 s[6:7], vcc
	s_cbranch_execnz .LBB134_78
; %bb.52:
	s_or_b64 exec, exec, s[6:7]
	s_and_saveexec_b64 s[6:7], s[0:1]
	s_cbranch_execnz .LBB134_79
.LBB134_53:
	s_or_b64 exec, exec, s[6:7]
	s_and_saveexec_b64 s[6:7], s[2:3]
	s_cbranch_execnz .LBB134_80
.LBB134_54:
	s_or_b64 exec, exec, s[6:7]
	s_and_saveexec_b64 s[6:7], s[4:5]
	s_cbranch_execz .LBB134_56
.LBB134_55:
	v_add_u32_e32 v6, v5, v4
	v_mov_b32_e32 v7, 0
	s_waitcnt lgkmcnt(0)
	v_lshl_add_u64 v[6:7], v[6:7], 2, s[12:13]
	global_store_dword v[6:7], v16, off
.LBB134_56:
	s_or_b64 exec, exec, s[6:7]
	v_add3_u32 v1, v1, s15, 56
	v_cmp_gt_u32_e64 s[6:7], s10, v1
	s_and_b64 exec, exec, s[6:7]
	s_cbranch_execz .LBB134_62
; %bb.57:
	v_mul_lo_u32 v1, v1, s14
	s_and_saveexec_b64 s[6:7], vcc
	s_cbranch_execnz .LBB134_81
; %bb.58:
	s_or_b64 exec, exec, s[6:7]
	s_and_saveexec_b64 s[6:7], s[0:1]
	s_cbranch_execnz .LBB134_82
.LBB134_59:
	s_or_b64 exec, exec, s[6:7]
	s_and_saveexec_b64 s[0:1], s[2:3]
	s_cbranch_execnz .LBB134_83
.LBB134_60:
	s_or_b64 exec, exec, s[0:1]
	s_and_b64 exec, exec, s[4:5]
	s_cbranch_execz .LBB134_62
.LBB134_61:
	v_add_u32_e32 v0, v1, v4
	v_mov_b32_e32 v1, 0
	s_waitcnt lgkmcnt(0)
	v_lshl_add_u64 v[0:1], v[0:1], 2, s[12:13]
	global_store_dword v[0:1], v17, off
.LBB134_62:
	s_endpgm
.LBB134_63:
	v_add_u32_e32 v6, v5, v0
	v_mov_b32_e32 v7, 0
	s_waitcnt lgkmcnt(0)
	v_lshl_add_u64 v[6:7], v[6:7], 2, s[12:13]
	global_store_dword v[6:7], v69, off
	s_or_b64 exec, exec, s[6:7]
	s_and_saveexec_b64 s[6:7], s[0:1]
	s_cbranch_execz .LBB134_23
.LBB134_64:
	v_add_u32_e32 v6, v5, v2
	v_mov_b32_e32 v7, 0
	s_waitcnt lgkmcnt(0)
	v_lshl_add_u64 v[6:7], v[6:7], 2, s[12:13]
	global_store_dword v[6:7], v75, off
	s_or_b64 exec, exec, s[6:7]
	s_and_saveexec_b64 s[6:7], s[2:3]
	s_cbranch_execz .LBB134_24
.LBB134_65:
	v_add_u32_e32 v6, v5, v3
	v_mov_b32_e32 v7, 0
	s_waitcnt lgkmcnt(0)
	v_lshl_add_u64 v[6:7], v[6:7], 2, s[12:13]
	global_store_dword v[6:7], v57, off
	s_or_b64 exec, exec, s[6:7]
	s_and_saveexec_b64 s[6:7], s[4:5]
	s_cbranch_execnz .LBB134_25
	s_branch .LBB134_26
.LBB134_66:
	v_add_u32_e32 v6, v5, v0
	v_mov_b32_e32 v7, 0
	s_waitcnt lgkmcnt(0)
	v_lshl_add_u64 v[6:7], v[6:7], 2, s[12:13]
	global_store_dword v[6:7], v38, off
	s_or_b64 exec, exec, s[6:7]
	s_and_saveexec_b64 s[6:7], s[0:1]
	s_cbranch_execz .LBB134_29
.LBB134_67:
	v_add_u32_e32 v6, v5, v2
	v_mov_b32_e32 v7, 0
	s_waitcnt lgkmcnt(0)
	v_lshl_add_u64 v[6:7], v[6:7], 2, s[12:13]
	global_store_dword v[6:7], v36, off
	s_or_b64 exec, exec, s[6:7]
	s_and_saveexec_b64 s[6:7], s[2:3]
	s_cbranch_execz .LBB134_30
.LBB134_68:
	v_add_u32_e32 v6, v5, v3
	v_mov_b32_e32 v7, 0
	s_waitcnt lgkmcnt(0)
	v_lshl_add_u64 v[6:7], v[6:7], 2, s[12:13]
	global_store_dword v[6:7], v34, off
	s_or_b64 exec, exec, s[6:7]
	s_and_saveexec_b64 s[6:7], s[4:5]
	s_cbranch_execnz .LBB134_31
	s_branch .LBB134_32
.LBB134_69:
	v_add_u32_e32 v6, v5, v0
	v_mov_b32_e32 v7, 0
	s_waitcnt lgkmcnt(0)
	v_lshl_add_u64 v[6:7], v[6:7], 2, s[12:13]
	global_store_dword v[6:7], v39, off
	s_or_b64 exec, exec, s[6:7]
	s_and_saveexec_b64 s[6:7], s[0:1]
	s_cbranch_execz .LBB134_35
.LBB134_70:
	v_add_u32_e32 v6, v5, v2
	v_mov_b32_e32 v7, 0
	s_waitcnt lgkmcnt(0)
	v_lshl_add_u64 v[6:7], v[6:7], 2, s[12:13]
	global_store_dword v[6:7], v37, off
	s_or_b64 exec, exec, s[6:7]
	s_and_saveexec_b64 s[6:7], s[2:3]
	s_cbranch_execz .LBB134_36
.LBB134_71:
	v_add_u32_e32 v6, v5, v3
	v_mov_b32_e32 v7, 0
	s_waitcnt lgkmcnt(0)
	v_lshl_add_u64 v[6:7], v[6:7], 2, s[12:13]
	global_store_dword v[6:7], v35, off
	s_or_b64 exec, exec, s[6:7]
	s_and_saveexec_b64 s[6:7], s[4:5]
	s_cbranch_execnz .LBB134_37
	s_branch .LBB134_38
.LBB134_72:
	v_add_u32_e32 v6, v5, v0
	v_mov_b32_e32 v7, 0
	s_waitcnt lgkmcnt(0)
	v_lshl_add_u64 v[6:7], v[6:7], 2, s[12:13]
	global_store_dword v[6:7], v30, off
	s_or_b64 exec, exec, s[6:7]
	s_and_saveexec_b64 s[6:7], s[0:1]
	s_cbranch_execz .LBB134_41
.LBB134_73:
	v_add_u32_e32 v6, v5, v2
	v_mov_b32_e32 v7, 0
	s_waitcnt lgkmcnt(0)
	v_lshl_add_u64 v[6:7], v[6:7], 2, s[12:13]
	global_store_dword v[6:7], v28, off
	s_or_b64 exec, exec, s[6:7]
	s_and_saveexec_b64 s[6:7], s[2:3]
	s_cbranch_execz .LBB134_42
.LBB134_74:
	v_add_u32_e32 v6, v5, v3
	v_mov_b32_e32 v7, 0
	s_waitcnt lgkmcnt(0)
	v_lshl_add_u64 v[6:7], v[6:7], 2, s[12:13]
	global_store_dword v[6:7], v26, off
	s_or_b64 exec, exec, s[6:7]
	s_and_saveexec_b64 s[6:7], s[4:5]
	s_cbranch_execnz .LBB134_43
	s_branch .LBB134_44
.LBB134_75:
	v_add_u32_e32 v6, v5, v0
	v_mov_b32_e32 v7, 0
	s_waitcnt lgkmcnt(0)
	v_lshl_add_u64 v[6:7], v[6:7], 2, s[12:13]
	global_store_dword v[6:7], v31, off
	s_or_b64 exec, exec, s[6:7]
	s_and_saveexec_b64 s[6:7], s[0:1]
	s_cbranch_execz .LBB134_47
.LBB134_76:
	v_add_u32_e32 v6, v5, v2
	v_mov_b32_e32 v7, 0
	s_waitcnt lgkmcnt(0)
	v_lshl_add_u64 v[6:7], v[6:7], 2, s[12:13]
	global_store_dword v[6:7], v29, off
	s_or_b64 exec, exec, s[6:7]
	s_and_saveexec_b64 s[6:7], s[2:3]
	s_cbranch_execz .LBB134_48
.LBB134_77:
	v_add_u32_e32 v6, v5, v3
	v_mov_b32_e32 v7, 0
	s_waitcnt lgkmcnt(0)
	v_lshl_add_u64 v[6:7], v[6:7], 2, s[12:13]
	global_store_dword v[6:7], v27, off
	s_or_b64 exec, exec, s[6:7]
	s_and_saveexec_b64 s[6:7], s[4:5]
	s_cbranch_execnz .LBB134_49
	s_branch .LBB134_50
.LBB134_78:
	v_add_u32_e32 v6, v5, v0
	v_mov_b32_e32 v7, 0
	s_waitcnt lgkmcnt(0)
	v_lshl_add_u64 v[6:7], v[6:7], 2, s[12:13]
	global_store_dword v[6:7], v22, off
	s_or_b64 exec, exec, s[6:7]
	s_and_saveexec_b64 s[6:7], s[0:1]
	s_cbranch_execz .LBB134_53
.LBB134_79:
	v_add_u32_e32 v6, v5, v2
	v_mov_b32_e32 v7, 0
	s_waitcnt lgkmcnt(0)
	v_lshl_add_u64 v[6:7], v[6:7], 2, s[12:13]
	global_store_dword v[6:7], v20, off
	s_or_b64 exec, exec, s[6:7]
	s_and_saveexec_b64 s[6:7], s[2:3]
	s_cbranch_execz .LBB134_54
.LBB134_80:
	v_add_u32_e32 v6, v5, v3
	v_mov_b32_e32 v7, 0
	s_waitcnt lgkmcnt(0)
	v_lshl_add_u64 v[6:7], v[6:7], 2, s[12:13]
	global_store_dword v[6:7], v18, off
	s_or_b64 exec, exec, s[6:7]
	s_and_saveexec_b64 s[6:7], s[4:5]
	s_cbranch_execnz .LBB134_55
	s_branch .LBB134_56
.LBB134_81:
	v_add_u32_e32 v6, v1, v0
	v_mov_b32_e32 v7, 0
	s_waitcnt lgkmcnt(0)
	v_lshl_add_u64 v[6:7], v[6:7], 2, s[12:13]
	global_store_dword v[6:7], v23, off
	s_or_b64 exec, exec, s[6:7]
	s_and_saveexec_b64 s[6:7], s[0:1]
	s_cbranch_execz .LBB134_59
.LBB134_82:
	v_add_u32_e32 v6, v1, v2
	v_mov_b32_e32 v7, 0
	s_waitcnt lgkmcnt(0)
	v_lshl_add_u64 v[6:7], v[6:7], 2, s[12:13]
	global_store_dword v[6:7], v21, off
	s_or_b64 exec, exec, s[6:7]
	s_and_saveexec_b64 s[0:1], s[2:3]
	s_cbranch_execz .LBB134_60
.LBB134_83:
	v_add_u32_e32 v2, v1, v3
	v_mov_b32_e32 v3, 0
	s_waitcnt lgkmcnt(0)
	v_lshl_add_u64 v[2:3], v[2:3], 2, s[12:13]
	global_store_dword v[2:3], v19, off
	s_or_b64 exec, exec, s[0:1]
	s_and_b64 exec, exec, s[4:5]
	s_cbranch_execnz .LBB134_61
	s_branch .LBB134_62
	.section	.rodata,"a",@progbits
	.p2align	6, 0x0
	.amdhsa_kernel _ZL12mul_mat_q5_KIfLb1EEvPKvS1_PT_iiiii
		.amdhsa_group_segment_fixed_size 45136
		.amdhsa_private_segment_fixed_size 112
		.amdhsa_kernarg_size 44
		.amdhsa_user_sgpr_count 2
		.amdhsa_user_sgpr_dispatch_ptr 0
		.amdhsa_user_sgpr_queue_ptr 0
		.amdhsa_user_sgpr_kernarg_segment_ptr 1
		.amdhsa_user_sgpr_dispatch_id 0
		.amdhsa_user_sgpr_kernarg_preload_length 0
		.amdhsa_user_sgpr_kernarg_preload_offset 0
		.amdhsa_user_sgpr_private_segment_size 0
		.amdhsa_uses_dynamic_stack 0
		.amdhsa_enable_private_segment 1
		.amdhsa_system_sgpr_workgroup_id_x 1
		.amdhsa_system_sgpr_workgroup_id_y 1
		.amdhsa_system_sgpr_workgroup_id_z 0
		.amdhsa_system_sgpr_workgroup_info 0
		.amdhsa_system_vgpr_workitem_id 1
		.amdhsa_next_free_vgpr 256
		.amdhsa_next_free_sgpr 96
		.amdhsa_accum_offset 256
		.amdhsa_reserve_vcc 1
		.amdhsa_float_round_mode_32 0
		.amdhsa_float_round_mode_16_64 0
		.amdhsa_float_denorm_mode_32 3
		.amdhsa_float_denorm_mode_16_64 3
		.amdhsa_dx10_clamp 1
		.amdhsa_ieee_mode 1
		.amdhsa_fp16_overflow 0
		.amdhsa_tg_split 0
		.amdhsa_exception_fp_ieee_invalid_op 0
		.amdhsa_exception_fp_denorm_src 0
		.amdhsa_exception_fp_ieee_div_zero 0
		.amdhsa_exception_fp_ieee_overflow 0
		.amdhsa_exception_fp_ieee_underflow 0
		.amdhsa_exception_fp_ieee_inexact 0
		.amdhsa_exception_int_div_zero 0
	.end_amdhsa_kernel
	.section	.text._ZL12mul_mat_q5_KIfLb1EEvPKvS1_PT_iiiii,"axG",@progbits,_ZL12mul_mat_q5_KIfLb1EEvPKvS1_PT_iiiii,comdat
.Lfunc_end134:
	.size	_ZL12mul_mat_q5_KIfLb1EEvPKvS1_PT_iiiii, .Lfunc_end134-_ZL12mul_mat_q5_KIfLb1EEvPKvS1_PT_iiiii
                                        ; -- End function
	.set _ZL12mul_mat_q5_KIfLb1EEvPKvS1_PT_iiiii.num_vgpr, 256
	.set _ZL12mul_mat_q5_KIfLb1EEvPKvS1_PT_iiiii.num_agpr, 0
	.set _ZL12mul_mat_q5_KIfLb1EEvPKvS1_PT_iiiii.numbered_sgpr, 21
	.set _ZL12mul_mat_q5_KIfLb1EEvPKvS1_PT_iiiii.num_named_barrier, 0
	.set _ZL12mul_mat_q5_KIfLb1EEvPKvS1_PT_iiiii.private_seg_size, 112
	.set _ZL12mul_mat_q5_KIfLb1EEvPKvS1_PT_iiiii.uses_vcc, 1
	.set _ZL12mul_mat_q5_KIfLb1EEvPKvS1_PT_iiiii.uses_flat_scratch, 0
	.set _ZL12mul_mat_q5_KIfLb1EEvPKvS1_PT_iiiii.has_dyn_sized_stack, 0
	.set _ZL12mul_mat_q5_KIfLb1EEvPKvS1_PT_iiiii.has_recursion, 0
	.set _ZL12mul_mat_q5_KIfLb1EEvPKvS1_PT_iiiii.has_indirect_call, 0
	.section	.AMDGPU.csdata,"",@progbits
; Kernel info:
; codeLenInByte = 17156
; TotalNumSgprs: 27
; NumVgprs: 256
; NumAgprs: 0
; TotalNumVgprs: 256
; ScratchSize: 112
; MemoryBound: 0
; FloatMode: 240
; IeeeMode: 1
; LDSByteSize: 45136 bytes/workgroup (compile time only)
; SGPRBlocks: 12
; VGPRBlocks: 31
; NumSGPRsForWavesPerEU: 102
; NumVGPRsForWavesPerEU: 256
; AccumOffset: 256
; Occupancy: 2
; WaveLimiterHint : 0
; COMPUTE_PGM_RSRC2:SCRATCH_EN: 1
; COMPUTE_PGM_RSRC2:USER_SGPR: 2
; COMPUTE_PGM_RSRC2:TRAP_HANDLER: 0
; COMPUTE_PGM_RSRC2:TGID_X_EN: 1
; COMPUTE_PGM_RSRC2:TGID_Y_EN: 1
; COMPUTE_PGM_RSRC2:TGID_Z_EN: 0
; COMPUTE_PGM_RSRC2:TIDIG_COMP_CNT: 1
; COMPUTE_PGM_RSRC3_GFX90A:ACCUM_OFFSET: 63
; COMPUTE_PGM_RSRC3_GFX90A:TG_SPLIT: 0
	.section	.text._ZL12mul_mat_q6_KIfLb0EEvPKvS1_PT_iiiii,"axG",@progbits,_ZL12mul_mat_q6_KIfLb0EEvPKvS1_PT_iiiii,comdat
	.globl	_ZL12mul_mat_q6_KIfLb0EEvPKvS1_PT_iiiii ; -- Begin function _ZL12mul_mat_q6_KIfLb0EEvPKvS1_PT_iiiii
	.p2align	8
	.type	_ZL12mul_mat_q6_KIfLb0EEvPKvS1_PT_iiiii,@function
_ZL12mul_mat_q6_KIfLb0EEvPKvS1_PT_iiiii: ; @_ZL12mul_mat_q6_KIfLb0EEvPKvS1_PT_iiiii
; %bb.0:
	s_load_dword s7, s[0:1], 0x18
	s_load_dwordx4 s[8:11], s[0:1], 0x20
	s_waitcnt lgkmcnt(0)
	s_lshl_b32 s11, s3, 6
	v_bfe_u32 v1, v0, 10, 10
	scratch_store_dword off, v1, off offset:8 ; 4-byte Folded Spill
	s_cmpk_gt_i32 s7, 0xff
	s_cbranch_scc1 .LBB135_2
; %bb.1:
	v_bfe_u32 v1, v0, 10, 10
	v_and_b32_e32 v34, 0x3ff, v0
	v_add_u32_e32 v35, s11, v1
	s_mov_b64 s[4:5], 0
	s_branch .LBB135_3
.LBB135_2:
	s_mov_b64 s[4:5], -1
                                        ; implicit-def: $vgpr1
                                        ; implicit-def: $vgpr34
                                        ; implicit-def: $vgpr35
.LBB135_3:
	s_load_dwordx2 s[12:13], s[0:1], 0x10
	s_lshl_b32 s6, s2, 7
	v_mov_b32_e32 v5, 0
	s_andn2_b64 vcc, exec, s[4:5]
	v_mov_b32_e32 v4, 0
	v_mov_b32_e32 v3, 0
	;; [unrolled: 1-line block ×31, first 2 shown]
	s_cbranch_vccnz .LBB135_11
; %bb.4:
	s_ashr_i32 s4, s7, 31
	s_load_dwordx4 s[0:3], s[0:1], 0x0
	s_lshr_b32 s4, s4, 24
	s_add_i32 s7, s7, s4
	s_ashr_i32 s5, s9, 31
	s_ashr_i32 s4, s7, 8
	s_lshr_b32 s5, s5, 27
	v_lshrrev_b32_e32 v3, 1, v0
	v_and_b32_e32 v4, 7, v0
	s_add_i32 s5, s9, s5
	s_mul_i32 s7, s4, s6
	v_and_b32_e32 v1, 31, v0
	v_and_or_b32 v3, v3, 8, v4
	s_ashr_i32 s15, s5, 5
	s_mul_hi_i32 s9, s7, 0xd2
	s_mulk_i32 s7, 0xd2
	v_lshlrev_b32_e32 v54, 2, v3
	v_add_u16_e32 v3, -16, v1
	v_cmp_gt_u32_e32 vcc, 16, v1
	s_waitcnt lgkmcnt(0)
	s_add_u32 s7, s0, s7
	v_lshlrev_b32_e32 v2, 1, v1
	v_lshlrev_b32_e32 v52, 2, v1
	v_cndmask_b32_e32 v1, v3, v1, vcc
	s_addc_u32 s9, s1, s9
	v_cmp_lt_u16_e64 s[0:1], 7, v1
	v_add_u32_e32 v1, 0xe0, v2
	v_cndmask_b32_e32 v1, v1, v2, vcc
	v_and_b32_e32 v1, 0xfe, v1
	v_bfe_u32 v16, v0, 10, 10
	v_sub_u32_e32 v1, v2, v1
	v_and_b32_e32 v2, 15, v0
	v_mul_u32_u24_e32 v3, 0x41, v16
	v_cndmask_b32_e64 v61, 0, 2, s[0:1]
	v_lshlrev_b32_e32 v1, 2, v1
	v_lshlrev_b32_e32 v2, 2, v2
	;; [unrolled: 1-line block ×3, first 2 shown]
	s_lshl_b32 s0, s4, 3
	v_add3_u32 v63, v1, v2, v3
	v_mov_b32_e32 v1, s0
	v_mad_i32_i24 v4, s4, v16, v1
	v_add_u32_e32 v3, 8, v16
	v_mov_b32_e32 v2, v4
	v_add_u32_e32 v4, s0, v4
	scratch_store_dwordx2 off, v[2:3], off offset:20 ; 8-byte Folded Spill
	v_mov_b32_e32 v2, v4
	v_add_u32_e32 v4, s0, v4
	scratch_store_dwordx2 off, v[2:3], off offset:28 ; 8-byte Folded Spill
	;; [unrolled: 3-line block ×12, first 2 shown]
	v_mov_b32_e32 v2, v4
	v_add_u32_e32 v4, s0, v4
	v_and_b32_e32 v23, 0x3ff, v0
	scratch_store_dwordx2 off, v[2:3], off offset:116 ; 8-byte Folded Spill
	v_mov_b32_e32 v2, v4
	v_lshlrev_b32_e32 v67, 5, v16
	scratch_store_dwordx2 off, v[2:3], off offset:124 ; 8-byte Folded Spill
	v_add_u32_e32 v2, s0, v4
	v_add_u32_e32 v1, v67, v23
	scratch_store_dwordx2 off, v[2:3], off offset:132 ; 8-byte Folded Spill
	v_and_b32_e32 v2, 0x7f, v1
	v_lshrrev_b32_e32 v1, 3, v1
	v_mul_i32_i24_e32 v4, s4, v2
	v_and_b32_e32 v1, 12, v1
	v_lshlrev_b32_e32 v2, 2, v2
	s_mov_b32 s16, 0xae40
	v_add3_u32 v1, v2, v1, s16
	scratch_store_dwordx2 off, v[4:5], off offset:140 ; 8-byte Folded Spill
	scratch_store_dword off, v1, off offset:148 ; 4-byte Folded Spill
	v_lshlrev_b32_e32 v1, 3, v16
	v_bfe_u32 v4, v0, 2, 8
	v_add_u32_e32 v14, v4, v1
	v_and_b32_e32 v2, 3, v0
	v_add_u16_e32 v1, v4, v1
	v_lshlrev_b32_e32 v88, 2, v2
	v_and_b32_e32 v5, 0x7f, v14
	v_lshrrev_b16_e32 v1, 1, v1
	v_mul_i32_i24_e32 v6, s4, v5
	v_lshl_or_b32 v5, v5, 4, v88
	v_and_b32_e32 v1, 60, v1
	s_mov_b32 s0, 0xa200
	v_add3_u32 v1, v5, v1, s0
	scratch_store_dword off, v1, off offset:160 ; 4-byte Folded Spill
	v_mov_b32_e32 v1, 0x7f
	v_bitop3_b32 v1, v14, 64, v1 bitop3:0x6c
	v_mul_i32_i24_e32 v4, s4, v1
	scratch_store_dwordx2 off, v[4:5], off offset:164 ; 8-byte Folded Spill
	v_lshl_or_b32 v4, v1, 4, v88
	v_lshrrev_b32_e32 v1, 1, v1
	v_and_b32_e32 v1, 60, v1
	v_add3_u32 v1, v4, v1, s0
	scratch_store_dword off, v1, off offset:172 ; 4-byte Folded Spill
	v_and_b32_e32 v1, 63, v14
	v_or_b32_e32 v14, s11, v1
	v_lshl_or_b32 v1, v1, 4, v88
	v_add_u32_e32 v21, s11, v16
	s_add_i32 s0, s8, -1
	v_add_u32_e32 v1, 0xaa40, v1
	v_bfe_u32 v22, v0, 5, 5
	v_cvt_f64_i32_e32 v[4:5], s0
	scratch_store_dword off, v1, off        ; 4-byte Folded Spill
	v_bfe_u32 v79, v0, 3, 7
	v_cvt_f64_u32_e32 v[0:1], v21
	v_min_f64 v[0:1], v[0:1], v[4:5]
	v_cvt_i32_f64_e32 v0, v[0:1]
	v_mul_lo_u32 v0, s15, v0
	scratch_store_dword off, v0, off offset:4 ; 4-byte Folded Spill
	v_add_u32_e32 v0, 8, v21
	v_cvt_f64_u32_e32 v[0:1], v0
	v_min_f64 v[0:1], v[0:1], v[4:5]
	v_cvt_i32_f64_e32 v0, v[0:1]
	v_mul_lo_u32 v57, s15, v0
	v_add_u32_e32 v0, 16, v21
	v_cvt_f64_u32_e32 v[0:1], v0
	v_min_f64 v[0:1], v[0:1], v[4:5]
	v_cvt_i32_f64_e32 v0, v[0:1]
	v_mul_lo_u32 v85, s15, v0
	;; [unrolled: 5-line block ×7, first 2 shown]
	v_mov_b32_e32 v0, v22
	v_lshlrev_b32_e32 v75, 2, v23
	scratch_store_dwordx2 off, v[0:1], off offset:12 ; 8-byte Folded Spill
	v_lshlrev_b32_e32 v0, 2, v22
	v_add3_u32 v185, v0, v75, s16
	v_add_u32_e32 v0, 32, v23
	v_lshrrev_b32_e32 v186, 3, v0
	v_lshlrev_b32_e32 v5, 2, v0
	v_and_b32_e32 v0, 60, v186
	v_add3_u32 v187, v75, v0, s16
	v_add_u32_e32 v0, 64, v23
	v_lshrrev_b32_e32 v188, 3, v0
	scratch_store_dword off, v21, off offset:188 ; 4-byte Folded Spill
	v_lshlrev_b32_e32 v21, 2, v0
	v_and_b32_e32 v0, 60, v188
	v_add3_u32 v189, v75, v0, s16
	v_add_u32_e32 v0, 0x60, v23
	v_min_i32_e32 v14, s0, v14
	v_lshrrev_b32_e32 v190, 3, v0
	v_mad_u64_u32 v[18:19], s[0:1], v14, s15, v[2:3]
	v_lshlrev_b32_e32 v22, 2, v0
	v_and_b32_e32 v0, 60, v190
	v_add3_u32 v191, v75, v0, s16
	s_movk_i32 s0, 0x104
	v_mov_b32_e32 v0, 0x2080
	v_mov_b32_e32 v53, 0
	v_add_u32_e32 v8, 16, v16
	v_add_u32_e32 v9, 24, v16
	;; [unrolled: 1-line block ×6, first 2 shown]
	v_mad_u32_u24 v200, v23, s0, v0
	v_mov_b32_e32 v0, 0x4100
	scratch_store_dwordx2 off, v[6:7], off offset:152 ; 8-byte Folded Spill
	v_and_b32_e32 v6, 28, v75
	v_mov_b32_e32 v7, v53
	v_or_b32_e32 v15, 0x8200, v52
	scratch_store_dwordx2 off, v[18:19], off offset:176 ; 8-byte Folded Spill
	v_lshlrev_b32_e32 v2, 7, v16
	v_lshlrev_b32_e32 v14, 7, v3
	;; [unrolled: 1-line block ×8, first 2 shown]
	v_mad_u32_u24 v201, v23, s0, v0
	v_mov_b32_e32 v0, 0x6180
	v_mov_b32_e32 v26, v53
	;; [unrolled: 1-line block ×5, first 2 shown]
	v_lshlrev_b32_e32 v192, 5, v3
	v_lshlrev_b32_e32 v193, 5, v8
	;; [unrolled: 1-line block ×7, first 2 shown]
	v_mul_u32_u24_e32 v199, 0x104, v23
	scratch_store_dword off, v23, off offset:184 ; 4-byte Folded Spill
	v_mad_u32_u24 v202, v23, s0, v0
	v_lshl_add_u64 v[0:1], s[2:3], 0, v[6:7]
	v_add_u32_e32 v203, v15, v2
	v_add_u32_e32 v204, v15, v14
	;; [unrolled: 1-line block ×8, first 2 shown]
	v_lshlrev_b32_e32 v211, 2, v5
	v_lshlrev_b32_e32 v212, 2, v21
	;; [unrolled: 1-line block ×3, first 2 shown]
	v_mov_b64_e32 v[14:15], v[26:27]
	v_mov_b64_e32 v[32:33], v[28:29]
	v_mov_b64_e32 v[10:11], v[26:27]
	v_mov_b64_e32 v[22:23], v[26:27]
	v_mov_b64_e32 v[6:7], v[26:27]
	v_mov_b64_e32 v[18:19], v[26:27]
	v_mov_b64_e32 v[2:3], v[26:27]
	s_movk_i32 s5, 0xd2
	v_mov_b32_e32 v55, v53
	s_mov_b32 s14, 0
	v_mov_b32_e32 v89, v53
	s_mov_b32 s15, 0x30303030
	s_movk_i32 s16, 0xe000
	s_movk_i32 s17, 0x3f00
	v_mov_b64_e32 v[16:17], v[28:29]
	v_mov_b64_e32 v[30:31], v[26:27]
	;; [unrolled: 1-line block ×7, first 2 shown]
.LBB135_5:                              ; =>This Loop Header: Depth=1
                                        ;     Child Loop BB135_6 Depth 2
                                        ;     Child Loop BB135_8 Depth 2
	scratch_load_dwordx2 v[36:37], off, off offset:12 ; 8-byte Folded Reload
	scratch_load_dwordx2 v[42:43], off, off offset:20 ; 8-byte Folded Reload
	scratch_load_dword v38, off, off offset:8 ; 4-byte Folded Reload
	s_mul_i32 s0, s14, 0xd2
	s_mul_hi_u32 s1, s14, 0xd2
	s_add_u32 s0, s7, s0
	s_addc_u32 s1, s9, s1
	v_mov_b64_e32 v[34:35], s[0:1]
	s_lshl_b32 s18, s14, 3
	s_mov_b32 s20, 0
	s_waitcnt vmcnt(2)
	v_mad_u64_u32 v[36:37], s[0:1], v36, s5, v[34:35]
	s_waitcnt vmcnt(0)
	v_mul_i32_i24_e32 v38, s4, v38
	v_mad_u64_u32 v[38:39], s[0:1], v38, s5, v[36:37]
	v_lshl_add_u64 v[40:41], v[38:39], 0, v[52:53]
	v_mad_u64_u32 v[42:43], s[0:1], v42, s5, v[36:37]
	v_lshl_add_u64 v[38:39], v[38:39], 0, v[54:55]
	v_lshl_add_u64 v[44:45], v[42:43], 0, v[52:53]
	global_load_dword v46, v[40:41], off
	global_load_dword v47, v[38:39], off offset:128
	global_load_dword v48, v[44:45], off
	v_lshl_add_u64 v[38:39], v[42:43], 0, v[54:55]
	scratch_load_dwordx2 v[40:41], off, off offset:28 ; 8-byte Folded Reload
	s_waitcnt vmcnt(0)
	v_mad_u64_u32 v[40:41], s[0:1], v40, s5, v[36:37]
	v_lshl_add_u64 v[42:43], v[40:41], 0, v[52:53]
	global_load_dword v44, v[38:39], off offset:128
	global_load_dword v45, v[42:43], off
	v_lshl_add_u64 v[38:39], v[40:41], 0, v[54:55]
	global_load_dword v42, v[38:39], off offset:128
	s_nop 0
	scratch_load_dwordx2 v[38:39], off, off offset:36 ; 8-byte Folded Reload
	s_waitcnt vmcnt(3)
	v_ashrrev_i32_e32 v44, v61, v44
	v_lshlrev_b32_e32 v50, 4, v44
	s_waitcnt vmcnt(1)
	v_ashrrev_i32_e32 v42, v61, v42
	s_waitcnt vmcnt(0)
	v_mad_u64_u32 v[38:39], s[0:1], v38, s5, v[36:37]
	v_lshl_add_u64 v[40:41], v[38:39], 0, v[52:53]
	v_lshl_add_u64 v[38:39], v[38:39], 0, v[54:55]
	global_load_dword v43, v[40:41], off
	global_load_dword v49, v[38:39], off offset:128
	v_lshrrev_b32_e32 v39, 4, v46
	v_ashrrev_i32_e32 v40, v61, v47
	v_and_b32_e32 v38, 0xf0f0f0f, v46
	v_and_b32_e32 v41, 0xf0f0f0f, v48
	v_lshrrev_b32_e32 v46, 4, v48
	v_and_b32_e32 v39, 0xf0f0f0f, v39
	v_lshlrev_b32_e32 v48, 4, v40
	v_and_b32_e32 v46, 0xf0f0f0f, v46
	v_and_or_b32 v38, v48, s15, v38
	v_and_or_b32 v39, v40, s15, v39
	;; [unrolled: 1-line block ×4, first 2 shown]
	v_lshrrev_b32_e32 v44, 16, v38
	v_lshlrev_b16_e32 v46, 8, v38
	v_lshrrev_b32_e32 v48, 16, v39
	v_lshlrev_b16_e32 v50, 8, v39
	;; [unrolled: 2-line block ×4, first 2 shown]
	v_add_u16_e32 v46, 0xe000, v46
	v_lshlrev_b16_e32 v60, 8, v44
	v_add_u16_e32 v50, 0xe000, v50
	v_lshlrev_b16_e32 v62, 8, v48
	;; [unrolled: 2-line block ×4, first 2 shown]
	v_lshrrev_b16_e32 v46, 8, v46
	v_add_u16_e32 v60, 0xe000, v60
	v_lshrrev_b16_e32 v50, 8, v50
	v_add_u16_e32 v62, 0xe000, v62
	;; [unrolled: 2-line block ×4, first 2 shown]
	v_bitop3_b16 v38, v38, v46, s17 bitop3:0xec
	v_lshrrev_b16_e32 v46, 8, v60
	v_bitop3_b16 v39, v39, v50, s17 bitop3:0xec
	v_lshrrev_b16_e32 v50, 8, v62
	v_bitop3_b16 v40, v40, v56, s17 bitop3:0xec
	v_lshrrev_b16_e32 v56, 8, v64
	v_bitop3_b16 v41, v41, v59, s17 bitop3:0xec
	v_lshrrev_b16_e32 v59, 8, v65
	v_bitop3_b16 v44, v44, v46, s17 bitop3:0xec
	v_bitop3_b16 v46, v48, v50, s17 bitop3:0xec
	v_add_u16_e32 v38, 0xe000, v38
	v_add_u16_e32 v39, 0xe000, v39
	v_bitop3_b16 v48, v51, v56, s17 bitop3:0xec
	v_bitop3_b16 v50, v58, v59, s17 bitop3:0xec
	v_add_u16_sdwa v44, v44, s16 dst_sel:WORD_1 dst_unused:UNUSED_PAD src0_sel:DWORD src1_sel:DWORD
	v_add_u16_sdwa v46, v46, s16 dst_sel:WORD_1 dst_unused:UNUSED_PAD src0_sel:DWORD src1_sel:DWORD
	v_add_u16_e32 v40, 0xe000, v40
	v_add_u16_e32 v41, 0xe000, v41
	v_add_u16_sdwa v48, v48, s16 dst_sel:WORD_1 dst_unused:UNUSED_PAD src0_sel:DWORD src1_sel:DWORD
	v_add_u16_sdwa v50, v50, s16 dst_sel:WORD_1 dst_unused:UNUSED_PAD src0_sel:DWORD src1_sel:DWORD
	v_or_b32_e32 v38, v38, v44
	v_or_b32_e32 v39, v39, v46
	;; [unrolled: 1-line block ×4, first 2 shown]
	ds_write2_b32 v63, v38, v39 offset1:16
	v_add_u32_e32 v38, 0x800, v63
	ds_write2_b32 v38, v40, v41 offset0:8 offset1:24
	scratch_load_dwordx2 v[38:39], off, off offset:44 ; 8-byte Folded Reload
	v_and_b32_e32 v47, 0xf0f0f0f, v45
	v_lshlrev_b32_e32 v44, 4, v42
	v_and_or_b32 v44, v44, s15, v47
	v_lshrrev_b32_e32 v45, 4, v45
	v_and_b32_e32 v45, 0xf0f0f0f, v45
	v_add_u32_e32 v56, 0x30c0, v63
	s_waitcnt vmcnt(0)
	v_mad_u64_u32 v[38:39], s[0:1], v38, s5, v[36:37]
	v_lshl_add_u64 v[40:41], v[38:39], 0, v[52:53]
	v_lshl_add_u64 v[38:39], v[38:39], 0, v[54:55]
	global_load_dword v46, v[40:41], off
	global_load_dword v47, v[38:39], off offset:128
	v_lshrrev_b32_e32 v38, 16, v44
	v_lshlrev_b16_e32 v39, 8, v44
	v_lshlrev_b16_e32 v40, 8, v38
	v_add_u16_e32 v39, 0xe000, v39
	v_add_u16_e32 v40, 0xe000, v40
	v_lshrrev_b16_e32 v39, 8, v39
	v_lshrrev_b16_e32 v40, 8, v40
	v_bitop3_b16 v39, v44, v39, s17 bitop3:0xec
	v_bitop3_b16 v38, v38, v40, s17 bitop3:0xec
	v_add_u16_e32 v39, 0xe000, v39
	v_add_u16_sdwa v38, v38, s16 dst_sel:WORD_1 dst_unused:UNUSED_PAD src0_sel:DWORD src1_sel:DWORD
	s_nop 0
	v_or_b32_e32 v44, v39, v38
	v_and_or_b32 v38, v42, s15, v45
	v_lshlrev_b16_e32 v40, 8, v38
	v_add_u16_e32 v40, 0xe000, v40
	v_lshrrev_b32_e32 v39, 16, v38
	v_lshrrev_b16_e32 v40, 8, v40
	v_bitop3_b16 v38, v38, v40, s17 bitop3:0xec
	v_lshlrev_b16_e32 v40, 8, v39
	v_add_u16_e32 v40, 0xe000, v40
	v_lshrrev_b16_e32 v40, 8, v40
	v_bitop3_b16 v39, v39, v40, s17 bitop3:0xec
	v_add_u16_e32 v38, 0xe000, v38
	v_add_u16_sdwa v39, v39, s16 dst_sel:WORD_1 dst_unused:UNUSED_PAD src0_sel:DWORD src1_sel:DWORD
	v_add_u32_e32 v45, 0x1000, v63
	v_or_b32_e32 v42, v38, v39
	scratch_load_dwordx2 v[38:39], off, off offset:52 ; 8-byte Folded Reload
	ds_write2_b32 v45, v44, v42 offset0:16 offset1:32
	s_waitcnt vmcnt(0)
	v_mad_u64_u32 v[38:39], s[0:1], v38, s5, v[36:37]
	v_lshl_add_u64 v[40:41], v[38:39], 0, v[52:53]
	v_lshl_add_u64 v[38:39], v[38:39], 0, v[54:55]
	global_load_dword v42, v[40:41], off
	global_load_dword v44, v[38:39], off offset:128
	v_ashrrev_i32_e32 v40, v61, v49
	v_and_b32_e32 v38, 0xf0f0f0f, v43
	v_lshlrev_b32_e32 v41, 4, v40
	v_and_or_b32 v38, v41, s15, v38
	v_lshrrev_b32_e32 v39, 4, v43
	v_lshlrev_b16_e32 v43, 8, v38
	v_add_u16_e32 v43, 0xe000, v43
	v_lshrrev_b32_e32 v41, 16, v38
	v_lshrrev_b16_e32 v43, 8, v43
	v_bitop3_b16 v38, v38, v43, s17 bitop3:0xec
	v_lshlrev_b16_e32 v43, 8, v41
	v_add_u16_e32 v43, 0xe000, v43
	v_lshrrev_b16_e32 v43, 8, v43
	v_bitop3_b16 v41, v41, v43, s17 bitop3:0xec
	v_and_b32_e32 v39, 0xf0f0f0f, v39
	v_add_u16_e32 v38, 0xe000, v38
	v_add_u16_sdwa v41, v41, s16 dst_sel:WORD_1 dst_unused:UNUSED_PAD src0_sel:DWORD src1_sel:DWORD
	s_nop 0
	v_or_b32_e32 v43, v38, v41
	v_and_or_b32 v38, v40, s15, v39
	v_lshlrev_b16_e32 v39, 8, v38
	v_add_u16_e32 v39, 0xe000, v39
	v_lshrrev_b16_e32 v39, 8, v39
	v_lshrrev_b32_e32 v45, 16, v38
	v_bitop3_b16 v38, v38, v39, s17 bitop3:0xec
	v_add_u16_e32 v48, 0xe000, v38
	scratch_load_dwordx2 v[38:39], off, off offset:60 ; 8-byte Folded Reload
	v_lshlrev_b16_e32 v49, 8, v45
	s_waitcnt vmcnt(0)
	v_mad_u64_u32 v[38:39], s[0:1], v38, s5, v[36:37]
	v_lshl_add_u64 v[40:41], v[38:39], 0, v[52:53]
	v_lshl_add_u64 v[38:39], v[38:39], 0, v[54:55]
	global_load_dword v50, v[40:41], off
	global_load_dword v51, v[38:39], off offset:128
	v_add_u16_e32 v38, 0xe000, v49
	v_lshrrev_b16_e32 v38, 8, v38
	v_bitop3_b16 v38, v45, v38, s17 bitop3:0xec
	v_add_u16_sdwa v38, v38, s16 dst_sel:WORD_1 dst_unused:UNUSED_PAD src0_sel:DWORD src1_sel:DWORD
	v_add_u32_e32 v39, 0x1800, v63
	v_or_b32_e32 v38, v48, v38
	ds_write2_b32 v39, v43, v38 offset0:24 offset1:40
	scratch_load_dwordx2 v[38:39], off, off offset:68 ; 8-byte Folded Reload
	s_waitcnt vmcnt(0)
	v_mad_u64_u32 v[38:39], s[0:1], v38, s5, v[36:37]
	v_lshl_add_u64 v[40:41], v[38:39], 0, v[52:53]
	v_lshl_add_u64 v[38:39], v[38:39], 0, v[54:55]
	global_load_dword v43, v[40:41], off
	global_load_dword v45, v[38:39], off offset:128
	v_ashrrev_i32_e32 v40, v61, v47
	v_and_b32_e32 v38, 0xf0f0f0f, v46
	v_lshlrev_b32_e32 v41, 4, v40
	v_and_or_b32 v38, v41, s15, v38
	v_lshrrev_b32_e32 v39, 4, v46
	v_lshlrev_b16_e32 v46, 8, v38
	v_add_u16_e32 v46, 0xe000, v46
	v_lshrrev_b32_e32 v41, 16, v38
	v_lshrrev_b16_e32 v46, 8, v46
	v_bitop3_b16 v38, v38, v46, s17 bitop3:0xec
	v_lshlrev_b16_e32 v46, 8, v41
	v_add_u16_e32 v46, 0xe000, v46
	v_lshrrev_b16_e32 v46, 8, v46
	v_and_b32_e32 v39, 0xf0f0f0f, v39
	v_bitop3_b16 v41, v41, v46, s17 bitop3:0xec
	v_add_u16_e32 v38, 0xe000, v38
	v_add_u16_sdwa v41, v41, s16 dst_sel:WORD_1 dst_unused:UNUSED_PAD src0_sel:DWORD src1_sel:DWORD
	v_and_or_b32 v39, v40, s15, v39
	v_or_b32_e32 v38, v38, v41
	v_lshlrev_b16_e32 v41, 8, v39
	v_add_u16_e32 v41, 0xe000, v41
	v_lshrrev_b32_e32 v40, 16, v39
	v_lshrrev_b16_e32 v41, 8, v41
	v_bitop3_b16 v39, v39, v41, s17 bitop3:0xec
	v_lshlrev_b16_e32 v41, 8, v40
	v_add_u16_e32 v41, 0xe000, v41
	v_lshrrev_b16_e32 v41, 8, v41
	v_bitop3_b16 v40, v40, v41, s17 bitop3:0xec
	v_add_u16_e32 v39, 0xe000, v39
	v_add_u16_sdwa v40, v40, s16 dst_sel:WORD_1 dst_unused:UNUSED_PAD src0_sel:DWORD src1_sel:DWORD
	v_ashrrev_i32_e32 v46, v61, v51
	v_or_b32_e32 v39, v39, v40
	v_add_u32_e32 v40, 0x2000, v63
	ds_write2_b32 v40, v38, v39 offset0:32 offset1:48
	v_ashrrev_i32_e32 v40, v61, v44
	v_and_b32_e32 v38, 0xf0f0f0f, v42
	v_lshlrev_b32_e32 v41, 4, v40
	v_and_or_b32 v38, v41, s15, v38
	v_lshrrev_b32_e32 v39, 4, v42
	v_lshlrev_b16_e32 v42, 8, v38
	v_add_u16_e32 v42, 0xe000, v42
	v_lshrrev_b32_e32 v41, 16, v38
	v_lshrrev_b16_e32 v42, 8, v42
	v_bitop3_b16 v38, v38, v42, s17 bitop3:0xec
	v_lshlrev_b16_e32 v42, 8, v41
	v_add_u16_e32 v42, 0xe000, v42
	v_lshrrev_b16_e32 v42, 8, v42
	v_and_b32_e32 v39, 0xf0f0f0f, v39
	v_bitop3_b16 v41, v41, v42, s17 bitop3:0xec
	v_add_u16_e32 v38, 0xe000, v38
	v_add_u16_sdwa v41, v41, s16 dst_sel:WORD_1 dst_unused:UNUSED_PAD src0_sel:DWORD src1_sel:DWORD
	v_and_or_b32 v39, v40, s15, v39
	v_or_b32_e32 v38, v38, v41
	v_lshlrev_b16_e32 v41, 8, v39
	v_add_u16_e32 v41, 0xe000, v41
	v_lshrrev_b32_e32 v40, 16, v39
	v_lshrrev_b16_e32 v41, 8, v41
	v_bitop3_b16 v39, v39, v41, s17 bitop3:0xec
	v_lshlrev_b16_e32 v41, 8, v40
	v_add_u16_e32 v41, 0xe000, v41
	v_lshrrev_b16_e32 v41, 8, v41
	v_bitop3_b16 v40, v40, v41, s17 bitop3:0xec
	v_add_u16_e32 v39, 0xe000, v39
	v_add_u16_sdwa v40, v40, s16 dst_sel:WORD_1 dst_unused:UNUSED_PAD src0_sel:DWORD src1_sel:DWORD
	v_and_b32_e32 v42, 0xf0f0f0f, v50
	v_or_b32_e32 v39, v39, v40
	v_add_u32_e32 v40, 0x2800, v63
	ds_write2_b32 v40, v38, v39 offset0:40 offset1:56
	v_lshrrev_b32_e32 v38, 4, v50
	v_and_b32_e32 v44, 0xf0f0f0f, v38
	scratch_load_dwordx2 v[38:39], off, off offset:76 ; 8-byte Folded Reload
	v_lshlrev_b32_e32 v47, 4, v46
	s_waitcnt vmcnt(0)
	v_mad_u64_u32 v[38:39], s[0:1], v38, s5, v[36:37]
	v_lshl_add_u64 v[40:41], v[38:39], 0, v[52:53]
	global_load_dword v48, v[40:41], off
	v_and_or_b32 v40, v47, s15, v42
	v_lshl_add_u64 v[38:39], v[38:39], 0, v[54:55]
	global_load_dword v42, v[38:39], off offset:128
	v_lshlrev_b16_e32 v39, 8, v40
	v_add_u16_e32 v39, 0xe000, v39
	v_lshrrev_b32_e32 v38, 16, v40
	v_lshrrev_b16_e32 v39, 8, v39
	v_bitop3_b16 v39, v40, v39, s17 bitop3:0xec
	v_lshlrev_b16_e32 v40, 8, v38
	v_add_u16_e32 v40, 0xe000, v40
	v_lshrrev_b16_e32 v40, 8, v40
	v_bitop3_b16 v38, v38, v40, s17 bitop3:0xec
	v_add_u16_e32 v39, 0xe000, v39
	v_add_u16_sdwa v38, v38, s16 dst_sel:WORD_1 dst_unused:UNUSED_PAD src0_sel:DWORD src1_sel:DWORD
	s_nop 0
	v_or_b32_e32 v47, v39, v38
	v_and_or_b32 v38, v46, s15, v44
	v_lshlrev_b16_e32 v40, 8, v38
	v_add_u16_e32 v40, 0xe000, v40
	v_lshrrev_b32_e32 v39, 16, v38
	v_lshrrev_b16_e32 v40, 8, v40
	v_bitop3_b16 v38, v38, v40, s17 bitop3:0xec
	v_lshlrev_b16_e32 v40, 8, v39
	v_add_u16_e32 v40, 0xe000, v40
	v_lshrrev_b16_e32 v40, 8, v40
	v_bitop3_b16 v39, v39, v40, s17 bitop3:0xec
	v_add_u16_e32 v38, 0xe000, v38
	v_add_u16_sdwa v39, v39, s16 dst_sel:WORD_1 dst_unused:UNUSED_PAD src0_sel:DWORD src1_sel:DWORD
	s_nop 0
	v_or_b32_e32 v44, v38, v39
	scratch_load_dwordx2 v[38:39], off, off offset:84 ; 8-byte Folded Reload
	ds_write2_b32 v56, v47, v44 offset1:16
	s_waitcnt vmcnt(0)
	v_mad_u64_u32 v[38:39], s[0:1], v38, s5, v[36:37]
	v_lshl_add_u64 v[40:41], v[38:39], 0, v[52:53]
	v_lshl_add_u64 v[38:39], v[38:39], 0, v[54:55]
	global_load_dword v44, v[40:41], off
	global_load_dword v46, v[38:39], off offset:128
	v_ashrrev_i32_e32 v40, v61, v45
	v_and_b32_e32 v38, 0xf0f0f0f, v43
	v_lshlrev_b32_e32 v41, 4, v40
	v_and_or_b32 v38, v41, s15, v38
	v_lshrrev_b32_e32 v39, 4, v43
	v_lshlrev_b16_e32 v43, 8, v38
	v_add_u16_e32 v43, 0xe000, v43
	v_lshrrev_b32_e32 v41, 16, v38
	v_lshrrev_b16_e32 v43, 8, v43
	v_bitop3_b16 v38, v38, v43, s17 bitop3:0xec
	v_lshlrev_b16_e32 v43, 8, v41
	v_add_u16_e32 v43, 0xe000, v43
	v_lshrrev_b16_e32 v43, 8, v43
	v_bitop3_b16 v41, v41, v43, s17 bitop3:0xec
	v_and_b32_e32 v39, 0xf0f0f0f, v39
	v_add_u16_e32 v38, 0xe000, v38
	v_add_u16_sdwa v41, v41, s16 dst_sel:WORD_1 dst_unused:UNUSED_PAD src0_sel:DWORD src1_sel:DWORD
	s_nop 0
	v_or_b32_e32 v43, v38, v41
	v_and_or_b32 v38, v40, s15, v39
	v_lshlrev_b16_e32 v39, 8, v38
	v_add_u16_e32 v39, 0xe000, v39
	v_lshrrev_b16_e32 v39, 8, v39
	v_lshrrev_b32_e32 v45, 16, v38
	v_bitop3_b16 v38, v38, v39, s17 bitop3:0xec
	v_add_u16_e32 v47, 0xe000, v38
	scratch_load_dwordx2 v[38:39], off, off offset:92 ; 8-byte Folded Reload
	v_lshlrev_b16_e32 v49, 8, v45
	s_waitcnt vmcnt(0)
	v_mad_u64_u32 v[38:39], s[0:1], v38, s5, v[36:37]
	v_lshl_add_u64 v[40:41], v[38:39], 0, v[52:53]
	v_lshl_add_u64 v[38:39], v[38:39], 0, v[54:55]
	global_load_dword v50, v[40:41], off
	global_load_dword v51, v[38:39], off offset:128
	v_add_u16_e32 v38, 0xe000, v49
	v_lshrrev_b16_e32 v38, 8, v38
	v_bitop3_b16 v38, v45, v38, s17 bitop3:0xec
	v_add_u16_sdwa v38, v38, s16 dst_sel:WORD_1 dst_unused:UNUSED_PAD src0_sel:DWORD src1_sel:DWORD
	v_add_u32_e32 v39, 0x800, v56
	v_or_b32_e32 v38, v47, v38
	ds_write2_b32 v39, v43, v38 offset0:8 offset1:24
	scratch_load_dwordx2 v[38:39], off, off offset:100 ; 8-byte Folded Reload
	s_waitcnt vmcnt(0)
	v_mad_u64_u32 v[38:39], s[0:1], v38, s5, v[36:37]
	v_lshl_add_u64 v[40:41], v[38:39], 0, v[52:53]
	v_lshl_add_u64 v[38:39], v[38:39], 0, v[54:55]
	global_load_dword v43, v[40:41], off
	global_load_dword v45, v[38:39], off offset:128
	v_ashrrev_i32_e32 v40, v61, v42
	v_and_b32_e32 v38, 0xf0f0f0f, v48
	v_lshlrev_b32_e32 v41, 4, v40
	v_and_or_b32 v38, v41, s15, v38
	v_lshlrev_b16_e32 v42, 8, v38
	v_add_u16_e32 v42, 0xe000, v42
	v_lshrrev_b32_e32 v41, 16, v38
	v_lshrrev_b16_e32 v42, 8, v42
	v_bitop3_b16 v38, v38, v42, s17 bitop3:0xec
	v_lshlrev_b16_e32 v42, 8, v41
	v_add_u16_e32 v42, 0xe000, v42
	v_lshrrev_b32_e32 v39, 4, v48
	v_lshrrev_b16_e32 v42, 8, v42
	v_and_b32_e32 v39, 0xf0f0f0f, v39
	v_bitop3_b16 v41, v41, v42, s17 bitop3:0xec
	v_add_u16_e32 v38, 0xe000, v38
	v_add_u16_sdwa v41, v41, s16 dst_sel:WORD_1 dst_unused:UNUSED_PAD src0_sel:DWORD src1_sel:DWORD
	v_and_or_b32 v39, v40, s15, v39
	v_or_b32_e32 v38, v38, v41
	v_lshlrev_b16_e32 v41, 8, v39
	v_add_u16_e32 v41, 0xe000, v41
	v_lshrrev_b32_e32 v40, 16, v39
	v_lshrrev_b16_e32 v41, 8, v41
	v_bitop3_b16 v39, v39, v41, s17 bitop3:0xec
	v_lshlrev_b16_e32 v41, 8, v40
	v_add_u16_e32 v41, 0xe000, v41
	v_lshrrev_b16_e32 v41, 8, v41
	v_bitop3_b16 v40, v40, v41, s17 bitop3:0xec
	v_add_u16_e32 v39, 0xe000, v39
	v_add_u16_sdwa v40, v40, s16 dst_sel:WORD_1 dst_unused:UNUSED_PAD src0_sel:DWORD src1_sel:DWORD
	s_nop 0
	v_or_b32_e32 v39, v39, v40
	v_add_u32_e32 v40, 0x1000, v56
	ds_write2_b32 v40, v38, v39 offset0:16 offset1:32
	v_ashrrev_i32_e32 v40, v61, v46
	v_and_b32_e32 v38, 0xf0f0f0f, v44
	v_lshlrev_b32_e32 v41, 4, v40
	v_and_or_b32 v38, v41, s15, v38
	v_lshlrev_b16_e32 v42, 8, v38
	v_add_u16_e32 v42, 0xe000, v42
	v_lshrrev_b32_e32 v41, 16, v38
	v_lshrrev_b16_e32 v42, 8, v42
	v_bitop3_b16 v38, v38, v42, s17 bitop3:0xec
	v_lshlrev_b16_e32 v42, 8, v41
	v_add_u16_e32 v42, 0xe000, v42
	v_lshrrev_b32_e32 v39, 4, v44
	v_lshrrev_b16_e32 v42, 8, v42
	v_and_b32_e32 v39, 0xf0f0f0f, v39
	v_bitop3_b16 v41, v41, v42, s17 bitop3:0xec
	v_add_u16_e32 v38, 0xe000, v38
	v_add_u16_sdwa v41, v41, s16 dst_sel:WORD_1 dst_unused:UNUSED_PAD src0_sel:DWORD src1_sel:DWORD
	v_and_or_b32 v39, v40, s15, v39
	v_or_b32_e32 v38, v38, v41
	v_lshlrev_b16_e32 v41, 8, v39
	v_add_u16_e32 v41, 0xe000, v41
	v_lshrrev_b32_e32 v40, 16, v39
	v_lshrrev_b16_e32 v41, 8, v41
	v_bitop3_b16 v39, v39, v41, s17 bitop3:0xec
	v_lshlrev_b16_e32 v41, 8, v40
	v_add_u16_e32 v41, 0xe000, v41
	v_lshrrev_b16_e32 v41, 8, v41
	v_bitop3_b16 v40, v40, v41, s17 bitop3:0xec
	v_add_u16_e32 v39, 0xe000, v39
	v_add_u16_sdwa v40, v40, s16 dst_sel:WORD_1 dst_unused:UNUSED_PAD src0_sel:DWORD src1_sel:DWORD
	v_ashrrev_i32_e32 v46, v61, v51
	v_or_b32_e32 v39, v39, v40
	v_add_u32_e32 v40, 0x1800, v56
	ds_write2_b32 v40, v38, v39 offset0:24 offset1:40
	v_lshrrev_b32_e32 v38, 4, v50
	v_and_b32_e32 v44, 0xf0f0f0f, v38
	scratch_load_dwordx2 v[38:39], off, off offset:108 ; 8-byte Folded Reload
	v_and_b32_e32 v42, 0xf0f0f0f, v50
	v_lshlrev_b32_e32 v47, 4, v46
	v_and_or_b32 v42, v47, s15, v42
	s_waitcnt vmcnt(0)
	v_mad_u64_u32 v[38:39], s[0:1], v38, s5, v[36:37]
	v_lshl_add_u64 v[40:41], v[38:39], 0, v[52:53]
	v_lshl_add_u64 v[38:39], v[38:39], 0, v[54:55]
	global_load_dword v47, v[40:41], off
	global_load_dword v48, v[38:39], off offset:128
	v_lshrrev_b32_e32 v38, 16, v42
	v_lshlrev_b16_e32 v39, 8, v42
	v_lshlrev_b16_e32 v40, 8, v38
	v_add_u16_e32 v39, 0xe000, v39
	v_add_u16_e32 v40, 0xe000, v40
	v_lshrrev_b16_e32 v39, 8, v39
	v_lshrrev_b16_e32 v40, 8, v40
	v_bitop3_b16 v39, v42, v39, s17 bitop3:0xec
	v_bitop3_b16 v38, v38, v40, s17 bitop3:0xec
	v_add_u16_e32 v39, 0xe000, v39
	v_add_u16_sdwa v38, v38, s16 dst_sel:WORD_1 dst_unused:UNUSED_PAD src0_sel:DWORD src1_sel:DWORD
	s_nop 0
	v_or_b32_e32 v42, v39, v38
	v_and_or_b32 v38, v46, s15, v44
	v_lshlrev_b16_e32 v40, 8, v38
	v_add_u16_e32 v40, 0xe000, v40
	v_lshrrev_b32_e32 v39, 16, v38
	v_lshrrev_b16_e32 v40, 8, v40
	v_bitop3_b16 v38, v38, v40, s17 bitop3:0xec
	v_lshlrev_b16_e32 v40, 8, v39
	v_add_u16_e32 v40, 0xe000, v40
	v_lshrrev_b16_e32 v40, 8, v40
	v_bitop3_b16 v39, v39, v40, s17 bitop3:0xec
	v_add_u16_e32 v38, 0xe000, v38
	v_add_u16_sdwa v39, v39, s16 dst_sel:WORD_1 dst_unused:UNUSED_PAD src0_sel:DWORD src1_sel:DWORD
	v_add_u32_e32 v46, 0x5140, v63
	v_or_b32_e32 v44, v38, v39
	scratch_load_dwordx2 v[38:39], off, off offset:116 ; 8-byte Folded Reload
	ds_write2_b32 v46, v42, v44 offset1:16
	s_waitcnt vmcnt(0)
	v_mad_u64_u32 v[38:39], s[0:1], v38, s5, v[36:37]
	v_lshl_add_u64 v[40:41], v[38:39], 0, v[52:53]
	v_lshl_add_u64 v[38:39], v[38:39], 0, v[54:55]
	global_load_dword v44, v[40:41], off
	global_load_dword v46, v[38:39], off offset:128
	v_ashrrev_i32_e32 v40, v61, v45
	v_and_b32_e32 v38, 0xf0f0f0f, v43
	v_lshlrev_b32_e32 v41, 4, v40
	v_and_or_b32 v38, v41, s15, v38
	v_lshlrev_b16_e32 v42, 8, v38
	v_add_u16_e32 v42, 0xe000, v42
	v_lshrrev_b32_e32 v41, 16, v38
	v_lshrrev_b16_e32 v42, 8, v42
	v_bitop3_b16 v38, v38, v42, s17 bitop3:0xec
	v_lshlrev_b16_e32 v42, 8, v41
	v_add_u16_e32 v42, 0xe000, v42
	v_lshrrev_b32_e32 v39, 4, v43
	v_lshrrev_b16_e32 v42, 8, v42
	v_and_b32_e32 v39, 0xf0f0f0f, v39
	v_bitop3_b16 v41, v41, v42, s17 bitop3:0xec
	v_add_u16_e32 v38, 0xe000, v38
	v_add_u16_sdwa v41, v41, s16 dst_sel:WORD_1 dst_unused:UNUSED_PAD src0_sel:DWORD src1_sel:DWORD
	v_and_or_b32 v39, v40, s15, v39
	v_or_b32_e32 v38, v38, v41
	v_lshlrev_b16_e32 v41, 8, v39
	v_add_u16_e32 v41, 0xe000, v41
	v_lshrrev_b32_e32 v40, 16, v39
	v_lshrrev_b16_e32 v41, 8, v41
	v_bitop3_b16 v39, v39, v41, s17 bitop3:0xec
	v_lshlrev_b16_e32 v41, 8, v40
	v_add_u16_e32 v41, 0xe000, v41
	v_lshrrev_b16_e32 v41, 8, v41
	v_bitop3_b16 v40, v40, v41, s17 bitop3:0xec
	v_add_u16_e32 v39, 0xe000, v39
	v_add_u16_sdwa v40, v40, s16 dst_sel:WORD_1 dst_unused:UNUSED_PAD src0_sel:DWORD src1_sel:DWORD
	scratch_load_dwordx2 v[42:43], off, off offset:132 ; 8-byte Folded Reload
	v_or_b32_e32 v39, v39, v40
	v_add_u32_e32 v40, 0x5960, v63
	ds_write2_b32 v40, v38, v39 offset1:16
	scratch_load_dwordx2 v[38:39], off, off offset:124 ; 8-byte Folded Reload
	s_waitcnt vmcnt(0)
	v_mad_u64_u32 v[38:39], s[0:1], v38, s5, v[36:37]
	v_lshl_add_u64 v[40:41], v[38:39], 0, v[52:53]
	v_lshl_add_u64 v[38:39], v[38:39], 0, v[54:55]
	v_mad_u64_u32 v[36:37], s[0:1], v42, s5, v[36:37]
	v_lshl_add_u64 v[42:43], v[36:37], 0, v[52:53]
	v_lshl_add_u64 v[36:37], v[36:37], 0, v[54:55]
	global_load_dword v56, v[40:41], off
	global_load_dword v58, v[38:39], off offset:128
	global_load_dword v59, v[42:43], off
	global_load_dword v60, v[36:37], off offset:128
	v_ashrrev_i32_e32 v38, v61, v48
	v_and_b32_e32 v36, 0xf0f0f0f, v47
	v_lshlrev_b32_e32 v39, 4, v38
	v_and_or_b32 v36, v39, s15, v36
	v_lshlrev_b16_e32 v40, 8, v36
	v_add_u16_e32 v40, 0xe000, v40
	v_lshrrev_b32_e32 v39, 16, v36
	v_lshrrev_b16_e32 v40, 8, v40
	v_bitop3_b16 v36, v36, v40, s17 bitop3:0xec
	v_lshlrev_b16_e32 v40, 8, v39
	v_add_u16_e32 v40, 0xe000, v40
	v_lshrrev_b32_e32 v37, 4, v47
	v_lshrrev_b16_e32 v40, 8, v40
	v_and_b32_e32 v37, 0xf0f0f0f, v37
	v_bitop3_b16 v39, v39, v40, s17 bitop3:0xec
	v_add_u16_e32 v36, 0xe000, v36
	v_add_u16_sdwa v39, v39, s16 dst_sel:WORD_1 dst_unused:UNUSED_PAD src0_sel:DWORD src1_sel:DWORD
	v_and_or_b32 v37, v38, s15, v37
	v_or_b32_e32 v36, v36, v39
	v_lshlrev_b16_e32 v39, 8, v37
	v_add_u16_e32 v39, 0xe000, v39
	v_lshrrev_b32_e32 v38, 16, v37
	v_lshrrev_b16_e32 v39, 8, v39
	v_bitop3_b16 v37, v37, v39, s17 bitop3:0xec
	v_lshlrev_b16_e32 v39, 8, v38
	v_add_u16_e32 v39, 0xe000, v39
	v_lshrrev_b16_e32 v39, 8, v39
	v_bitop3_b16 v38, v38, v39, s17 bitop3:0xec
	v_add_u16_e32 v37, 0xe000, v37
	v_add_u16_sdwa v38, v38, s16 dst_sel:WORD_1 dst_unused:UNUSED_PAD src0_sel:DWORD src1_sel:DWORD
	v_add_u32_e32 v48, s18, v79
	v_or_b32_e32 v37, v37, v38
	v_add_u32_e32 v38, 0x6180, v63
	ds_write2_b32 v38, v36, v37 offset1:16
	v_ashrrev_i32_e32 v38, v61, v46
	v_and_b32_e32 v36, 0xf0f0f0f, v44
	v_lshlrev_b32_e32 v39, 4, v38
	v_and_or_b32 v36, v39, s15, v36
	v_lshlrev_b16_e32 v40, 8, v36
	v_add_u16_e32 v40, 0xe000, v40
	v_lshrrev_b32_e32 v39, 16, v36
	v_lshrrev_b16_e32 v40, 8, v40
	v_bitop3_b16 v36, v36, v40, s17 bitop3:0xec
	v_lshlrev_b16_e32 v40, 8, v39
	v_add_u16_e32 v40, 0xe000, v40
	v_lshrrev_b16_e32 v40, 8, v40
	v_lshrrev_b32_e32 v37, 4, v44
	v_bitop3_b16 v39, v39, v40, s17 bitop3:0xec
	v_and_b32_e32 v37, 0xf0f0f0f, v37
	v_add_u16_e32 v36, 0xe000, v36
	v_add_u16_sdwa v39, v39, s16 dst_sel:WORD_1 dst_unused:UNUSED_PAD src0_sel:DWORD src1_sel:DWORD
	scratch_load_dwordx2 v[40:41], off, off offset:164 ; 8-byte Folded Reload
	v_or_b32_e32 v62, v36, v39
	v_and_or_b32 v36, v38, s15, v37
	v_lshlrev_b16_e32 v38, 8, v36
	v_add_u16_e32 v38, 0xe000, v38
	v_lshrrev_b16_e32 v38, 8, v38
	v_lshrrev_b32_e32 v37, 16, v36
	v_bitop3_b16 v36, v36, v38, s17 bitop3:0xec
	v_add_u16_e32 v64, 0xe000, v36
	v_lshlrev_b16_e32 v36, 8, v37
	v_add_u16_e32 v36, 0xe000, v36
	v_lshrrev_b16_e32 v36, 8, v36
	v_bitop3_b16 v65, v37, v36, s17 bitop3:0xec
	scratch_load_dwordx2 v[36:37], off, off offset:140 ; 8-byte Folded Reload
	scratch_load_dwordx2 v[38:39], off, off offset:152 ; 8-byte Folded Reload
	v_add_u32_e32 v42, v48, v91
	v_mad_i64_i32 v[42:43], s[0:1], v42, 36, v[0:1]
	v_add_u32_e32 v44, v48, v93
	v_add_u32_e32 v46, v48, v95
	v_mad_i64_i32 v[44:45], s[0:1], v44, 36, v[0:1]
	v_mad_i64_i32 v[46:47], s[0:1], v46, 36, v[0:1]
	s_waitcnt vmcnt(1)
	v_mad_u64_u32 v[36:37], s[0:1], v36, s5, v[34:35]
	s_waitcnt vmcnt(0)
	v_mad_u64_u32 v[38:39], s[0:1], v38, s5, v[34:35]
	v_mad_u64_u32 v[34:35], s[0:1], v40, s5, v[34:35]
	v_lshl_add_u64 v[34:35], v[34:35], 0, v[88:89]
	v_lshl_add_u64 v[38:39], v[38:39], 0, v[88:89]
	global_load_ushort v66, v[36:37], off offset:208
	global_load_dword v68, v[38:39], off offset:192
	global_load_dword v69, v[34:35], off offset:192
	v_add_u32_e32 v36, v48, v57
	scratch_load_dwordx2 v[34:35], off, off offset:176 ; 8-byte Folded Reload
	v_add_u32_e32 v38, v48, v85
	v_add_u32_e32 v40, v48, v87
	v_mad_i64_i32 v[36:37], s[0:1], v36, 36, v[0:1]
	v_mad_i64_i32 v[38:39], s[0:1], v38, 36, v[0:1]
	;; [unrolled: 1-line block ×3, first 2 shown]
	s_waitcnt vmcnt(0)
	v_add_u32_e32 v219, s18, v34
	scratch_load_dword v34, off, off offset:4 ; 4-byte Folded Reload
	v_mad_u64_u32 v[50:51], s[0:1], v219, 36, s[2:3]
	s_waitcnt vmcnt(0)
	v_add_u32_e32 v34, v48, v34
	v_mad_i64_i32 v[34:35], s[0:1], v34, 36, v[0:1]
	v_add_u32_e32 v48, v48, v184
	v_mad_i64_i32 v[48:49], s[0:1], v48, 36, v[0:1]
	global_load_dword v50, v[50:51], off
	s_nop 0
	global_load_dword v34, v[34:35], off offset:4
	s_nop 0
	global_load_dword v35, v[36:37], off offset:4
	;; [unrolled: 2-line block ×3, first 2 shown]
	global_load_dword v37, v[40:41], off offset:4
	s_nop 0
	global_load_dword v38, v[42:43], off offset:4
	global_load_dword v39, v[44:45], off offset:4
	global_load_dword v40, v[46:47], off offset:4
	global_load_dword v41, v[48:49], off offset:4
	v_add_u16_sdwa v42, v65, s16 dst_sel:WORD_1 dst_unused:UNUSED_PAD src0_sel:DWORD src1_sel:DWORD
	v_add_u32_e32 v43, 0x69a0, v63
	v_or_b32_e32 v42, v64, v42
	v_ashrrev_i32_e32 v44, v61, v58
	ds_write2_b32 v43, v62, v42 offset1:16
	v_and_b32_e32 v42, 0xf0f0f0f, v56
	v_lshlrev_b32_e32 v45, 4, v44
	v_and_or_b32 v42, v45, s15, v42
	v_lshlrev_b16_e32 v46, 8, v42
	v_add_u16_e32 v46, 0xe000, v46
	v_lshrrev_b32_e32 v45, 16, v42
	v_lshrrev_b16_e32 v46, 8, v46
	v_bitop3_b16 v42, v42, v46, s17 bitop3:0xec
	v_lshlrev_b16_e32 v46, 8, v45
	v_add_u16_e32 v46, 0xe000, v46
	v_lshrrev_b32_e32 v43, 4, v56
	v_lshrrev_b16_e32 v46, 8, v46
	v_and_b32_e32 v43, 0xf0f0f0f, v43
	v_bitop3_b16 v45, v45, v46, s17 bitop3:0xec
	v_add_u16_e32 v42, 0xe000, v42
	v_add_u16_sdwa v45, v45, s16 dst_sel:WORD_1 dst_unused:UNUSED_PAD src0_sel:DWORD src1_sel:DWORD
	v_and_or_b32 v43, v44, s15, v43
	v_or_b32_e32 v42, v42, v45
	v_lshlrev_b16_e32 v45, 8, v43
	v_add_u16_e32 v45, 0xe000, v45
	v_lshrrev_b32_e32 v44, 16, v43
	v_lshrrev_b16_e32 v45, 8, v45
	v_bitop3_b16 v43, v43, v45, s17 bitop3:0xec
	v_lshlrev_b16_e32 v45, 8, v44
	v_add_u16_e32 v45, 0xe000, v45
	v_lshrrev_b16_e32 v45, 8, v45
	v_bitop3_b16 v44, v44, v45, s17 bitop3:0xec
	v_add_u16_e32 v43, 0xe000, v43
	v_add_u16_sdwa v44, v44, s16 dst_sel:WORD_1 dst_unused:UNUSED_PAD src0_sel:DWORD src1_sel:DWORD
	s_mov_b64 s[0:1], -1
	v_or_b32_e32 v43, v43, v44
	v_add_u32_e32 v44, 0x71c0, v63
	ds_write2_b32 v44, v42, v43 offset1:16
	v_ashrrev_i32_e32 v44, v61, v60
	v_and_b32_e32 v42, 0xf0f0f0f, v59
	v_lshlrev_b32_e32 v45, 4, v44
	v_and_or_b32 v42, v45, s15, v42
	v_lshlrev_b16_e32 v46, 8, v42
	v_add_u16_e32 v46, 0xe000, v46
	v_lshrrev_b32_e32 v45, 16, v42
	v_lshrrev_b16_e32 v46, 8, v46
	v_bitop3_b16 v42, v42, v46, s17 bitop3:0xec
	v_lshlrev_b16_e32 v46, 8, v45
	v_add_u16_e32 v46, 0xe000, v46
	v_lshrrev_b32_e32 v43, 4, v59
	v_lshrrev_b16_e32 v46, 8, v46
	v_and_b32_e32 v43, 0xf0f0f0f, v43
	v_bitop3_b16 v45, v45, v46, s17 bitop3:0xec
	v_add_u16_e32 v42, 0xe000, v42
	v_add_u16_sdwa v45, v45, s16 dst_sel:WORD_1 dst_unused:UNUSED_PAD src0_sel:DWORD src1_sel:DWORD
	v_and_or_b32 v43, v44, s15, v43
	v_or_b32_e32 v42, v42, v45
	v_lshlrev_b16_e32 v45, 8, v43
	v_add_u16_e32 v45, 0xe000, v45
	v_lshrrev_b32_e32 v44, 16, v43
	v_lshrrev_b16_e32 v45, 8, v45
	v_bitop3_b16 v43, v43, v45, s17 bitop3:0xec
	v_lshlrev_b16_e32 v45, 8, v44
	v_add_u16_e32 v45, 0xe000, v45
	v_lshrrev_b16_e32 v45, 8, v45
	v_bitop3_b16 v44, v44, v45, s17 bitop3:0xec
	v_add_u16_e32 v43, 0xe000, v43
	v_add_u16_sdwa v44, v44, s16 dst_sel:WORD_1 dst_unused:UNUSED_PAD src0_sel:DWORD src1_sel:DWORD
	v_cvt_f32_f16_e32 v45, v66
	v_or_b32_e32 v43, v43, v44
	v_add_u32_e32 v44, 0x79e0, v63
	ds_write2_b32 v44, v42, v43 offset1:16
	scratch_load_dword v42, off, off offset:148 ; 4-byte Folded Reload
	s_waitcnt vmcnt(0)
	ds_write_b32 v42, v45
	scratch_load_dword v42, off, off offset:160 ; 4-byte Folded Reload
	s_waitcnt vmcnt(0)
	ds_write_b32 v42, v68
	;; [unrolled: 3-line block ×3, first 2 shown]
	ds_write_b32 v203, v34
	ds_write_b32 v204, v35
	;; [unrolled: 1-line block ×8, first 2 shown]
	scratch_load_dword v35, off, off        ; 4-byte Folded Reload
	v_cvt_f32_f16_e32 v34, v50
	s_waitcnt vmcnt(0)
	ds_write_b32 v35, v34
	s_waitcnt lgkmcnt(0)
	s_barrier
	ds_read_b32 v96, v185
	ds_read_b32 v98, v187 offset:128
	ds_read_b32 v100, v189 offset:256
	;; [unrolled: 1-line block ×3, first 2 shown]
	s_waitcnt lgkmcnt(3)
	v_mov_b32_e32 v97, v96
	v_mov_b32_e32 v104, v96
	v_mov_b32_e32 v105, v96
	s_waitcnt lgkmcnt(2)
	v_mov_b32_e32 v99, v98
	v_mov_b32_e32 v106, v98
	v_mov_b32_e32 v107, v98
	;; [unrolled: 4-line block ×4, first 2 shown]
.LBB135_6:                              ;   Parent Loop BB135_5 Depth=1
                                        ; =>  This Inner Loop Header: Depth=2
	s_lshl_b32 s19, s20, 1
	v_or_b32_e32 v34, s19, v67
	s_lshr_b32 s21, s20, 1
	s_lshl_b32 s20, s20, 3
	v_lshlrev_b32_e32 v46, 2, v34
	v_add_u32_e32 v50, s20, v199
	v_lshrrev_b32_e32 v176, 1, v34
	ds_read_b128 v[34:37], v46 offset:33280
	ds_read_b128 v[38:41], v46 offset:33296
	;; [unrolled: 1-line block ×4, first 2 shown]
	ds_read2_b32 v[162:163], v50 offset0:6 offset1:7
	ds_read2_b32 v[166:167], v50 offset0:4 offset1:5
	;; [unrolled: 1-line block ×3, first 2 shown]
	ds_read2_b32 v[164:165], v50 offset1:1
	ds_read2_b32 v[168:169], v50 offset0:14 offset1:15
	ds_read2_b32 v[170:171], v50 offset0:12 offset1:13
	;; [unrolled: 1-line block ×4, first 2 shown]
	v_add_u32_e32 v50, s20, v200
	ds_read2_b32 v[146:147], v50 offset0:6 offset1:7
	ds_read2_b32 v[150:151], v50 offset0:4 offset1:5
	;; [unrolled: 1-line block ×3, first 2 shown]
	ds_read2_b32 v[148:149], v50 offset1:1
	ds_read2_b32 v[152:153], v50 offset0:14 offset1:15
	ds_read2_b32 v[154:155], v50 offset0:12 offset1:13
	;; [unrolled: 1-line block ×4, first 2 shown]
	v_add_u32_e32 v50, s20, v201
	v_add_u32_e32 v56, s20, v202
	ds_read2_b32 v[130:131], v50 offset0:6 offset1:7
	ds_read2_b32 v[134:135], v50 offset0:4 offset1:5
	;; [unrolled: 1-line block ×3, first 2 shown]
	ds_read2_b32 v[132:133], v50 offset1:1
	ds_read2_b32 v[136:137], v50 offset0:14 offset1:15
	ds_read2_b32 v[138:139], v50 offset0:12 offset1:13
	;; [unrolled: 1-line block ×7, first 2 shown]
	ds_read2_b32 v[114:115], v56 offset1:1
	ds_read2_b32 v[124:125], v56 offset0:14 offset1:15
	ds_read2_b32 v[126:127], v56 offset0:12 offset1:13
	;; [unrolled: 1-line block ×4, first 2 shown]
	v_mov_b32_e32 v64, 0
	v_mov_b32_e32 v221, 0
	;; [unrolled: 1-line block ×16, first 2 shown]
	s_waitcnt lgkmcnt(14)
	v_dot4c_i32_i8_e32 v64, v170, v46
	v_dot4c_i32_i8_e32 v221, v174, v42
	;; [unrolled: 1-line block ×8, first 2 shown]
	s_waitcnt lgkmcnt(10)
	v_dot4c_i32_i8_e32 v71, v138, v46
	s_waitcnt lgkmcnt(8)
	v_dot4c_i32_i8_e32 v73, v142, v42
	v_dot4c_i32_i8_e32 v84, v134, v38
	;; [unrolled: 1-line block ×3, first 2 shown]
	s_waitcnt lgkmcnt(2)
	v_dot4c_i32_i8_e32 v50, v126, v46
	s_waitcnt lgkmcnt(0)
	v_dot4c_i32_i8_e32 v56, v122, v42
	v_dot4c_i32_i8_e32 v58, v118, v38
	;; [unrolled: 1-line block ×19, first 2 shown]
	v_or_b32_e32 v34, s19, v192
	v_dot4c_i32_i8_e32 v64, v168, v48
	v_dot4c_i32_i8_e32 v221, v172, v44
	;; [unrolled: 1-line block ×16, first 2 shown]
	v_lshlrev_b32_e32 v46, 2, v34
	v_dot4c_i32_i8_e32 v64, v169, v49
	v_dot4c_i32_i8_e32 v221, v173, v45
	;; [unrolled: 1-line block ×16, first 2 shown]
	v_lshrrev_b32_e32 v179, 1, v34
	ds_read_b128 v[34:37], v46 offset:33280
	ds_read_b128 v[38:41], v46 offset:33296
	;; [unrolled: 1-line block ×4, first 2 shown]
	v_mov_b32_e32 v82, 0
	v_mov_b32_e32 v230, 0
	;; [unrolled: 1-line block ×16, first 2 shown]
	s_waitcnt lgkmcnt(0)
	v_dot4c_i32_i8_e32 v82, v170, v46
	v_dot4c_i32_i8_e32 v230, v174, v42
	;; [unrolled: 1-line block ×32, first 2 shown]
	v_or_b32_e32 v34, s19, v193
	v_dot4c_i32_i8_e32 v82, v168, v48
	v_dot4c_i32_i8_e32 v230, v172, v44
	;; [unrolled: 1-line block ×16, first 2 shown]
	v_lshlrev_b32_e32 v46, 2, v34
	v_dot4c_i32_i8_e32 v82, v169, v49
	v_dot4c_i32_i8_e32 v230, v173, v45
	;; [unrolled: 1-line block ×16, first 2 shown]
	v_lshrrev_b32_e32 v65, 1, v34
	ds_read_b128 v[34:37], v46 offset:33280
	ds_read_b128 v[38:41], v46 offset:33296
	;; [unrolled: 1-line block ×4, first 2 shown]
	v_mov_b32_e32 v232, 0
	v_mov_b32_e32 v77, 0
	;; [unrolled: 1-line block ×16, first 2 shown]
	s_waitcnt lgkmcnt(0)
	v_dot4c_i32_i8_e32 v232, v170, v46
	v_dot4c_i32_i8_e32 v77, v174, v42
	;; [unrolled: 1-line block ×16, first 2 shown]
	s_add_i32 s21, s21, 0xa200
	v_lshlrev_b32_e32 v214, 2, v79
	v_lshlrev_b32_e32 v215, 2, v75
	v_dot4c_i32_i8_e32 v232, v171, v47
	v_dot4c_i32_i8_e32 v77, v175, v43
	v_dot4c_i32_i8_e32 v83, v167, v39
	v_dot4c_i32_i8_e32 v245, v165, v35
	v_dot4c_i32_i8_e32 v236, v155, v47
	v_dot4c_i32_i8_e32 v237, v159, v43
	v_dot4c_i32_i8_e32 v238, v151, v39
	v_dot4c_i32_i8_e32 v239, v149, v35
	v_dot4c_i32_i8_e32 v241, v139, v47
	v_dot4c_i32_i8_e32 v242, v143, v43
	v_dot4c_i32_i8_e32 v243, v135, v39
	v_dot4c_i32_i8_e32 v244, v133, v35
	v_dot4c_i32_i8_e32 v80, v127, v47
	v_dot4c_i32_i8_e32 v225, v123, v43
	v_dot4c_i32_i8_e32 v227, v119, v39
	v_dot4c_i32_i8_e32 v240, v115, v35
	v_or_b32_e32 v34, s19, v194
	v_add3_u32 v178, s21, v214, v215
	v_dot4c_i32_i8_e32 v232, v168, v48
	v_dot4c_i32_i8_e32 v77, v172, v44
	;; [unrolled: 1-line block ×16, first 2 shown]
	v_lshlrev_b32_e32 v46, 2, v34
	v_dot4c_i32_i8_e32 v232, v169, v49
	v_dot4c_i32_i8_e32 v77, v173, v45
	;; [unrolled: 1-line block ×16, first 2 shown]
	v_lshrrev_b32_e32 v246, 1, v34
	ds_read_b128 v[34:37], v46 offset:33280
	ds_read_b128 v[38:41], v46 offset:33296
	;; [unrolled: 1-line block ×4, first 2 shown]
	ds_read_b64 v[176:177], v176 offset:43584
	ds_read_b32 v178, v178
	v_mov_b32_e32 v249, 0
	s_waitcnt lgkmcnt(4)
	v_dot4c_i32_i8_e32 v249, v166, v38
	v_dot4c_i32_i8_e32 v249, v167, v39
	;; [unrolled: 1-line block ×3, first 2 shown]
	s_waitcnt lgkmcnt(0)
	v_bfe_i32 v233, v178, 0, 8
	v_mul_lo_u32 v248, v181, v233
	v_mov_b32_e32 v181, 0
	v_dot4c_i32_i8_e32 v181, v164, v34
	v_dot4c_i32_i8_e32 v181, v165, v35
	v_bfe_i32 v231, v178, 8, 8
	v_dot4c_i32_i8_e32 v249, v163, v41
	v_dot4c_i32_i8_e32 v181, v160, v36
	v_lshlrev_b32_e32 v216, 2, v186
	v_lshlrev_b32_e32 v217, 2, v188
	;; [unrolled: 1-line block ×3, first 2 shown]
	v_ashrrev_i32_e32 v228, 24, v178
	v_bfe_i32 v229, v178, 16, 8
	ds_read_b64 v[234:235], v179 offset:43584
	ds_read_b64 v[178:179], v65 offset:43584
	;; [unrolled: 1-line block ×3, first 2 shown]
	v_mul_lo_u32 v250, v183, v231
	v_mul_lo_u32 v252, v245, v233
	v_mul_lo_u32 v254, v249, v231
	v_dot4c_i32_i8_e32 v181, v161, v37
	v_add3_u32 v90, s21, v216, v211
	v_add3_u32 v69, s21, v217, v212
	;; [unrolled: 1-line block ×3, first 2 shown]
	v_mov_b32_e32 v65, 0
	v_mad_u64_u32 v[254:255], s[20:21], v181, v233, v[254:255]
	v_mad_u64_u32 v[252:253], s[20:21], v83, v231, v[252:253]
	;; [unrolled: 1-line block ×3, first 2 shown]
	v_dot4c_i32_i8_e32 v65, v170, v46
	v_mov_b32_e32 v81, 0
	v_mad_u64_u32 v[180:181], s[20:21], v180, v231, v[248:249]
	v_cvt_f32_i32_e32 v248, v182
	v_cvt_f32_i32_e32 v183, v252
	;; [unrolled: 1-line block ×3, first 2 shown]
	v_dot4c_i32_i8_e32 v65, v171, v47
	v_dot4c_i32_i8_e32 v81, v174, v42
	;; [unrolled: 1-line block ×6, first 2 shown]
	v_cvt_f32_i32_e32 v249, v180
	s_waitcnt lgkmcnt(0)
	v_mov_b32_e32 v180, v246
	v_mov_b32_e32 v181, v178
	v_dot4c_i32_i8_e32 v81, v173, v45
	v_pk_fma_f32 v[250:251], v[180:181], v[182:183], 0 op_sel_hi:[1,1,0]
	v_mov_b32_e32 v182, v234
	v_mov_b32_e32 v183, v176
	v_mul_lo_u32 v176, v77, v229
	v_mul_lo_u32 v178, v65, v228
	;; [unrolled: 1-line block ×4, first 2 shown]
	v_mad_u64_u32 v[252:253], s[20:21], v230, v229, v[82:83]
	v_mad_u64_u32 v[254:255], s[20:21], v64, v228, v[234:235]
	;; [unrolled: 1-line block ×4, first 2 shown]
	v_cvt_f32_i32_e32 v65, v82
	v_cvt_f32_i32_e32 v64, v64
	v_cvt_f32_i32_e32 v83, v254
	v_cvt_f32_i32_e32 v82, v252
	v_mov_b32_e32 v178, v247
	v_pk_fma_f32 v[64:65], v[178:179], v[64:65], v[250:251]
	v_pk_fma_f32 v[248:249], v[182:183], v[248:249], 0 op_sel_hi:[1,1,0]
	v_mov_b32_e32 v176, v235
	v_pk_fma_f32 v[28:29], v[104:105], v[64:65], v[28:29]
	ds_read_b32 v64, v90
	v_pk_fma_f32 v[82:83], v[176:177], v[82:83], v[248:249]
	v_mov_b32_e32 v65, 0
	v_pk_fma_f32 v[26:27], v[96:97], v[82:83], v[26:27]
	v_dot4c_i32_i8_e32 v65, v150, v38
	v_mov_b32_e32 v83, 0
	v_mov_b32_e32 v77, 0
	v_dot4c_i32_i8_e32 v65, v151, v39
	v_dot4c_i32_i8_e32 v83, v148, v34
	;; [unrolled: 1-line block ×8, first 2 shown]
	s_waitcnt lgkmcnt(0)
	v_bfe_i32 v234, v64, 8, 8
	v_bfe_i32 v235, v64, 0, 8
	v_dot4c_i32_i8_e32 v77, v152, v48
	v_dot4c_i32_i8_e32 v83, v145, v37
	v_ashrrev_i32_e32 v230, 24, v64
	v_bfe_i32 v232, v64, 16, 8
	v_mul_lo_u32 v64, v220, v235
	v_mul_lo_u32 v82, v223, v234
	;; [unrolled: 1-line block ×4, first 2 shown]
	v_dot4c_i32_i8_e32 v77, v153, v49
	v_mad_u64_u32 v[220:221], s[20:21], v83, v235, v[220:221]
	v_mad_u64_u32 v[238:239], s[20:21], v238, v234, v[90:91]
	;; [unrolled: 1-line block ×4, first 2 shown]
	v_mul_lo_u32 v92, v92, v232
	v_mul_lo_u32 v76, v76, v230
	v_mov_b32_e32 v81, 0
	v_cvt_f32_i32_e32 v65, v64
	v_cvt_f32_i32_e32 v64, v82
	;; [unrolled: 1-line block ×4, first 2 shown]
	v_mad_u64_u32 v[220:221], s[20:21], v78, v232, v[76:77]
	v_mad_u64_u32 v[238:239], s[20:21], v60, v230, v[92:93]
	v_dot4c_i32_i8_e32 v81, v158, v42
	v_cvt_f32_i32_e32 v221, v238
	v_cvt_f32_i32_e32 v220, v220
	v_dot4c_i32_i8_e32 v81, v159, v43
	v_dot4c_i32_i8_e32 v81, v156, v44
	;; [unrolled: 1-line block ×3, first 2 shown]
	v_pk_fma_f32 v[64:65], v[182:183], v[64:65], 0 op_sel_hi:[1,1,0]
	v_mul_lo_u32 v90, v237, v232
	v_mul_lo_u32 v94, v77, v230
	ds_read_b32 v60, v69
	v_mad_u64_u32 v[246:247], s[20:21], v81, v232, v[94:95]
	v_mad_u64_u32 v[236:237], s[20:21], v236, v230, v[90:91]
	v_pk_fma_f32 v[64:65], v[176:177], v[220:221], v[64:65]
	v_cvt_f32_i32_e32 v237, v236
	v_cvt_f32_i32_e32 v236, v246
	v_pk_fma_f32 v[30:31], v[98:99], v[64:65], v[30:31]
	v_mov_b32_e32 v65, 0
	v_dot4c_i32_i8_e32 v65, v134, v38
	v_dot4c_i32_i8_e32 v65, v135, v39
	v_pk_fma_f32 v[82:83], v[180:181], v[82:83], 0 op_sel_hi:[1,1,0]
	v_dot4c_i32_i8_e32 v65, v130, v40
	s_waitcnt lgkmcnt(0)
	v_bfe_i32 v238, v60, 8, 8
	v_bfe_i32 v239, v60, 0, 8
	v_pk_fma_f32 v[82:83], v[178:179], v[236:237], v[82:83]
	v_dot4c_i32_i8_e32 v65, v131, v41
	v_ashrrev_i32_e32 v236, 24, v60
	v_bfe_i32 v237, v60, 16, 8
	v_mul_lo_u32 v60, v86, v239
	v_mul_lo_u32 v64, v74, v238
	;; [unrolled: 1-line block ×3, first 2 shown]
	v_mad_u64_u32 v[64:65], s[20:21], v222, v239, v[64:65]
	v_mad_u64_u32 v[222:223], s[20:21], v84, v238, v[60:61]
	v_mul_lo_u32 v60, v242, v237
	v_mov_b32_e32 v77, 0
	v_mov_b32_e32 v81, 0
	v_cvt_f32_i32_e32 v65, v222
	v_mad_u64_u32 v[222:223], s[20:21], v241, v236, v[60:61]
	v_mov_b32_e32 v60, 0
	v_dot4c_i32_i8_e32 v77, v138, v46
	v_mov_b32_e32 v78, 0
	v_dot4c_i32_i8_e32 v81, v132, v34
	v_dot4c_i32_i8_e32 v60, v126, v46
	v_mov_b32_e32 v46, 0
	v_dot4c_i32_i8_e32 v77, v139, v47
	v_dot4c_i32_i8_e32 v78, v142, v42
	;; [unrolled: 1-line block ×4, first 2 shown]
	v_mov_b32_e32 v42, 0
	v_dot4c_i32_i8_e32 v77, v136, v48
	v_dot4c_i32_i8_e32 v78, v143, v43
	;; [unrolled: 1-line block ×7, first 2 shown]
	v_mul_lo_u32 v74, v244, v239
	v_dot4c_i32_i8_e32 v42, v119, v39
	v_mov_b32_e32 v39, 0
	v_pk_fma_f32 v[32:33], v[106:107], v[82:83], v[32:33]
	v_dot4c_i32_i8_e32 v78, v141, v45
	v_mad_u64_u32 v[82:83], s[20:21], v81, v239, v[76:77]
	v_mad_u64_u32 v[220:221], s[20:21], v243, v238, v[74:75]
	v_mul_lo_u32 v74, v77, v236
	v_mul_lo_u32 v76, v73, v237
	v_mul_lo_u32 v70, v70, v236
	v_dot4c_i32_i8_e32 v39, v114, v34
	ds_read_b32 v34, v51
	v_cvt_f32_i32_e32 v64, v64
	v_cvt_f32_i32_e32 v83, v220
	;; [unrolled: 1-line block ×3, first 2 shown]
	v_mad_u64_u32 v[72:73], s[20:21], v72, v237, v[70:71]
	v_mad_u64_u32 v[70:71], s[20:21], v71, v236, v[76:77]
	;; [unrolled: 1-line block ×3, first 2 shown]
	v_cvt_f32_i32_e32 v221, v222
	v_cvt_f32_i32_e32 v220, v220
	;; [unrolled: 1-line block ×4, first 2 shown]
	v_dot4c_i32_i8_e32 v42, v116, v40
	v_dot4c_i32_i8_e32 v39, v115, v35
	v_pk_fma_f32 v[82:83], v[180:181], v[82:83], 0 op_sel_hi:[1,1,0]
	v_pk_fma_f32 v[64:65], v[182:183], v[64:65], 0 op_sel_hi:[1,1,0]
	v_dot4c_i32_i8_e32 v60, v127, v47
	v_dot4c_i32_i8_e32 v42, v117, v41
	v_dot4c_i32_i8_e32 v39, v112, v36
	s_waitcnt lgkmcnt(0)
	v_bfe_i32 v222, v34, 8, 8
	v_bfe_i32 v223, v34, 0, 8
	v_pk_fma_f32 v[64:65], v[176:177], v[70:71], v[64:65]
	v_pk_fma_f32 v[70:71], v[178:179], v[220:221], v[82:83]
	v_dot4c_i32_i8_e32 v60, v124, v48
	v_dot4c_i32_i8_e32 v46, v123, v43
	;; [unrolled: 1-line block ×3, first 2 shown]
	v_ashrrev_i32_e32 v220, 24, v34
	v_bfe_i32 v221, v34, 16, 8
	v_mul_lo_u32 v34, v59, v223
	v_mul_lo_u32 v36, v68, v222
	;; [unrolled: 1-line block ×4, first 2 shown]
	v_dot4c_i32_i8_e32 v60, v125, v49
	v_dot4c_i32_i8_e32 v46, v120, v44
	v_mad_u64_u32 v[40:41], s[20:21], v39, v223, v[40:41]
	v_mad_u64_u32 v[38:39], s[20:21], v227, v222, v[38:39]
	;; [unrolled: 1-line block ×4, first 2 shown]
	v_dot4c_i32_i8_e32 v46, v121, v45
	v_cvt_f32_i32_e32 v35, v34
	v_cvt_f32_i32_e32 v34, v36
	;; [unrolled: 1-line block ×4, first 2 shown]
	v_mul_lo_u32 v38, v225, v221
	v_mul_lo_u32 v40, v60, v220
	;; [unrolled: 1-line block ×4, first 2 shown]
	v_mad_u64_u32 v[44:45], s[20:21], v66, v221, v[44:45]
	v_mad_u64_u32 v[42:43], s[20:21], v50, v220, v[42:43]
	;; [unrolled: 1-line block ×4, first 2 shown]
	v_cvt_f32_i32_e32 v39, v38
	v_cvt_f32_i32_e32 v38, v40
	;; [unrolled: 1-line block ×4, first 2 shown]
	v_pk_fma_f32 v[34:35], v[182:183], v[34:35], 0 op_sel_hi:[1,1,0]
	v_pk_fma_f32 v[36:37], v[180:181], v[36:37], 0 op_sel_hi:[1,1,0]
	v_pk_fma_f32 v[24:25], v[108:109], v[70:71], v[24:25]
	v_pk_fma_f32 v[34:35], v[176:177], v[40:41], v[34:35]
	;; [unrolled: 1-line block ×4, first 2 shown]
	v_or_b32_e32 v34, s19, v195
	v_lshlrev_b32_e32 v46, 2, v34
	v_pk_fma_f32 v[20:21], v[110:111], v[36:37], v[20:21]
	v_lshrrev_b32_e32 v62, 1, v34
	ds_read_b128 v[34:37], v46 offset:33280
	ds_read_b128 v[38:41], v46 offset:33296
	;; [unrolled: 1-line block ×4, first 2 shown]
	v_pk_fma_f32 v[22:23], v[100:101], v[64:65], v[22:23]
	v_mov_b32_e32 v64, 0
	v_mov_b32_e32 v66, 0
	;; [unrolled: 1-line block ×16, first 2 shown]
	s_waitcnt lgkmcnt(0)
	v_dot4c_i32_i8_e32 v64, v170, v46
	v_dot4c_i32_i8_e32 v66, v174, v42
	;; [unrolled: 1-line block ×32, first 2 shown]
	v_or_b32_e32 v34, s19, v196
	v_dot4c_i32_i8_e32 v64, v168, v48
	v_dot4c_i32_i8_e32 v66, v172, v44
	;; [unrolled: 1-line block ×16, first 2 shown]
	v_lshlrev_b32_e32 v46, 2, v34
	v_dot4c_i32_i8_e32 v64, v169, v49
	v_dot4c_i32_i8_e32 v66, v173, v45
	;; [unrolled: 1-line block ×16, first 2 shown]
	v_lshrrev_b32_e32 v78, 1, v34
	ds_read_b128 v[34:37], v46 offset:33280
	ds_read_b128 v[38:41], v46 offset:33296
	;; [unrolled: 1-line block ×4, first 2 shown]
	v_mov_b32_e32 v80, 0
	v_mov_b32_e32 v243, 0
	;; [unrolled: 1-line block ×16, first 2 shown]
	s_waitcnt lgkmcnt(0)
	v_dot4c_i32_i8_e32 v80, v170, v46
	v_dot4c_i32_i8_e32 v243, v174, v42
	;; [unrolled: 1-line block ×32, first 2 shown]
	v_or_b32_e32 v34, s19, v197
	v_dot4c_i32_i8_e32 v80, v168, v48
	v_dot4c_i32_i8_e32 v243, v172, v44
	;; [unrolled: 1-line block ×16, first 2 shown]
	v_lshlrev_b32_e32 v46, 2, v34
	v_dot4c_i32_i8_e32 v80, v169, v49
	v_dot4c_i32_i8_e32 v243, v173, v45
	;; [unrolled: 1-line block ×16, first 2 shown]
	v_lshrrev_b32_e32 v82, 1, v34
	ds_read_b128 v[34:37], v46 offset:33280
	ds_read_b128 v[38:41], v46 offset:33296
	;; [unrolled: 1-line block ×4, first 2 shown]
	v_mov_b32_e32 v250, 0
	v_mov_b32_e32 v251, 0
	;; [unrolled: 1-line block ×16, first 2 shown]
	s_waitcnt lgkmcnt(0)
	v_dot4c_i32_i8_e32 v250, v170, v46
	v_dot4c_i32_i8_e32 v251, v174, v42
	;; [unrolled: 1-line block ×32, first 2 shown]
	v_or_b32_e32 v34, s19, v198
	v_dot4c_i32_i8_e32 v250, v168, v48
	v_dot4c_i32_i8_e32 v251, v172, v44
	;; [unrolled: 1-line block ×16, first 2 shown]
	v_lshlrev_b32_e32 v46, 2, v34
	v_dot4c_i32_i8_e32 v250, v169, v49
	v_dot4c_i32_i8_e32 v251, v173, v45
	;; [unrolled: 1-line block ×16, first 2 shown]
	v_lshrrev_b32_e32 v65, 1, v34
	ds_read_b128 v[34:37], v46 offset:33280
	ds_read_b128 v[38:41], v46 offset:33296
	;; [unrolled: 1-line block ×4, first 2 shown]
	v_mov_b32_e32 v77, 0
	v_mov_b32_e32 v81, 0
	v_mul_lo_u32 v66, v66, v229
	s_waitcnt lgkmcnt(1)
	v_dot4c_i32_i8_e32 v81, v174, v42
	s_waitcnt lgkmcnt(0)
	v_dot4c_i32_i8_e32 v77, v170, v46
	v_mov_b32_e32 v170, 0
	v_dot4c_i32_i8_e32 v170, v166, v38
	v_mov_b32_e32 v166, 0
	v_dot4c_i32_i8_e32 v170, v167, v39
	v_dot4c_i32_i8_e32 v166, v164, v34
	;; [unrolled: 1-line block ×11, first 2 shown]
	ds_read_b64 v[160:161], v62 offset:43584
	ds_read_b64 v[168:169], v78 offset:43584
	;; [unrolled: 1-line block ×4, first 2 shown]
	v_mul_lo_u32 v62, v92, v233
	v_mul_lo_u32 v92, v253, v233
	;; [unrolled: 1-line block ×3, first 2 shown]
	v_dot4c_i32_i8_e32 v81, v172, v44
	v_mul_lo_u32 v78, v244, v231
	v_mad_u64_u32 v[164:165], s[20:21], v166, v233, v[164:165]
	v_mad_u64_u32 v[166:167], s[20:21], v252, v231, v[92:93]
	v_dot4c_i32_i8_e32 v81, v173, v45
	v_mad_u64_u32 v[170:171], s[20:21], v245, v233, v[78:79]
	v_mad_u64_u32 v[172:173], s[20:21], v68, v231, v[62:63]
	v_cvt_f32_i32_e32 v167, v166
	v_cvt_f32_i32_e32 v166, v164
	v_mul_lo_u32 v78, v80, v228
	v_cvt_f32_i32_e32 v171, v172
	v_cvt_f32_i32_e32 v170, v170
	v_mad_u64_u32 v[174:175], s[20:21], v243, v229, v[78:79]
	v_mad_u64_u32 v[64:65], s[20:21], v64, v228, v[66:67]
	v_cvt_f32_i32_e32 v65, v64
	v_cvt_f32_i32_e32 v64, v174
	s_waitcnt lgkmcnt(0)
	v_mov_b32_e32 v164, v82
	v_mov_b32_e32 v165, v162
	v_pk_fma_f32 v[172:173], v[164:165], v[166:167], 0 op_sel_hi:[1,1,0]
	v_mov_b32_e32 v166, v168
	v_mov_b32_e32 v167, v160
	v_pk_fma_f32 v[170:171], v[166:167], v[170:171], 0 op_sel_hi:[1,1,0]
	v_mov_b32_e32 v160, v169
	v_mul_lo_u32 v62, v251, v229
	v_mul_lo_u32 v68, v77, v228
	v_pk_fma_f32 v[64:65], v[160:161], v[64:65], v[170:171]
	v_mad_u64_u32 v[244:245], s[20:21], v81, v229, v[68:69]
	v_mad_u64_u32 v[228:229], s[20:21], v250, v228, v[62:63]
	v_pk_fma_f32 v[14:15], v[96:97], v[64:65], v[14:15]
	v_mov_b32_e32 v65, 0
	v_cvt_f32_i32_e32 v229, v228
	v_cvt_f32_i32_e32 v228, v244
	v_dot4c_i32_i8_e32 v65, v150, v38
	v_mov_b32_e32 v80, 0
	v_dot4c_i32_i8_e32 v65, v151, v39
	v_dot4c_i32_i8_e32 v80, v148, v34
	;; [unrolled: 1-line block ×4, first 2 shown]
	v_mov_b32_e32 v162, v83
	v_dot4c_i32_i8_e32 v65, v147, v41
	v_dot4c_i32_i8_e32 v80, v144, v36
	v_pk_fma_f32 v[82:83], v[162:163], v[228:229], v[172:173]
	v_dot4c_i32_i8_e32 v80, v145, v37
	v_mul_lo_u32 v62, v73, v235
	v_mul_lo_u32 v64, v241, v234
	;; [unrolled: 1-line block ×4, first 2 shown]
	v_pk_fma_f32 v[16:17], v[104:105], v[82:83], v[16:17]
	v_mov_b32_e32 v77, 0
	v_mad_u64_u32 v[82:83], s[20:21], v80, v235, v[68:69]
	v_mad_u64_u32 v[144:145], s[20:21], v248, v234, v[66:67]
	;; [unrolled: 1-line block ×4, first 2 shown]
	v_mul_lo_u32 v56, v56, v232
	v_mul_lo_u32 v66, v94, v230
	v_dot4c_i32_i8_e32 v77, v154, v46
	v_mov_b32_e32 v78, 0
	v_cvt_f32_i32_e32 v65, v146
	v_cvt_f32_i32_e32 v64, v64
	;; [unrolled: 1-line block ×3, first 2 shown]
	v_mad_u64_u32 v[144:145], s[20:21], v240, v232, v[66:67]
	v_mad_u64_u32 v[146:147], s[20:21], v50, v230, v[56:57]
	v_dot4c_i32_i8_e32 v77, v155, v47
	v_dot4c_i32_i8_e32 v78, v158, v42
	v_cvt_f32_i32_e32 v145, v146
	v_cvt_f32_i32_e32 v144, v144
	v_dot4c_i32_i8_e32 v77, v152, v48
	v_dot4c_i32_i8_e32 v78, v159, v43
	;; [unrolled: 1-line block ×5, first 2 shown]
	v_pk_fma_f32 v[64:65], v[166:167], v[64:65], 0 op_sel_hi:[1,1,0]
	v_mul_lo_u32 v58, v247, v232
	v_mul_lo_u32 v62, v77, v230
	v_cvt_f32_i32_e32 v82, v82
	v_mad_u64_u32 v[148:149], s[20:21], v78, v232, v[62:63]
	v_mad_u64_u32 v[150:151], s[20:21], v246, v230, v[58:59]
	v_pk_fma_f32 v[64:65], v[160:161], v[144:145], v[64:65]
	v_mov_b32_e32 v62, 0
	v_cvt_f32_i32_e32 v149, v150
	v_cvt_f32_i32_e32 v148, v148
	v_pk_fma_f32 v[10:11], v[98:99], v[64:65], v[10:11]
	v_mov_b32_e32 v66, 0
	v_dot4c_i32_i8_e32 v62, v134, v38
	v_mov_b32_e32 v64, 0
	v_dot4c_i32_i8_e32 v66, v138, v46
	;; [unrolled: 2-line block ×3, first 2 shown]
	v_dot4c_i32_i8_e32 v64, v132, v34
	v_dot4c_i32_i8_e32 v66, v139, v47
	;; [unrolled: 1-line block ×5, first 2 shown]
	v_pk_fma_f32 v[82:83], v[164:165], v[82:83], 0 op_sel_hi:[1,1,0]
	v_dot4c_i32_i8_e32 v66, v136, v48
	v_dot4c_i32_i8_e32 v77, v143, v43
	;; [unrolled: 1-line block ×4, first 2 shown]
	v_pk_fma_f32 v[82:83], v[162:163], v[148:149], v[82:83]
	v_dot4c_i32_i8_e32 v66, v137, v49
	v_dot4c_i32_i8_e32 v77, v140, v44
	;; [unrolled: 1-line block ×3, first 2 shown]
	v_mul_lo_u32 v50, v71, v239
	v_mul_lo_u32 v56, v86, v238
	;; [unrolled: 1-line block ×4, first 2 shown]
	v_pk_fma_f32 v[12:13], v[106:107], v[82:83], v[12:13]
	v_dot4c_i32_i8_e32 v77, v141, v45
	v_mad_u64_u32 v[64:65], s[20:21], v64, v239, v[62:63]
	v_mad_u64_u32 v[82:83], s[20:21], v74, v238, v[58:59]
	v_mad_u64_u32 v[128:129], s[20:21], v90, v239, v[56:57]
	v_mad_u64_u32 v[68:69], s[20:21], v69, v238, v[50:51]
	v_mul_lo_u32 v50, v72, v237
	v_mul_lo_u32 v56, v66, v236
	;; [unrolled: 1-line block ×3, first 2 shown]
	v_cvt_f32_i32_e32 v65, v82
	v_cvt_f32_i32_e32 v64, v64
	v_mad_u64_u32 v[58:59], s[20:21], v51, v236, v[58:59]
	v_mad_u64_u32 v[82:83], s[20:21], v77, v237, v[56:57]
	;; [unrolled: 1-line block ×3, first 2 shown]
	v_cvt_f32_i32_e32 v51, v50
	v_cvt_f32_i32_e32 v50, v82
	v_pk_fma_f32 v[64:65], v[164:165], v[64:65], 0 op_sel_hi:[1,1,0]
	v_mul_lo_u32 v60, v60, v236
	v_cvt_f32_i32_e32 v69, v68
	v_pk_fma_f32 v[50:51], v[162:163], v[50:51], v[64:65]
	v_cvt_f32_i32_e32 v68, v128
	v_pk_fma_f32 v[8:9], v[108:109], v[50:51], v[8:9]
	v_mov_b32_e32 v51, 0
	v_dot4c_i32_i8_e32 v51, v126, v46
	v_mov_b32_e32 v46, 0
	v_dot4c_i32_i8_e32 v46, v122, v42
	;; [unrolled: 2-line block ×3, first 2 shown]
	v_dot4c_i32_i8_e32 v42, v119, v39
	v_mov_b32_e32 v39, 0
	v_dot4c_i32_i8_e32 v39, v114, v34
	v_dot4c_i32_i8_e32 v42, v116, v40
	v_dot4c_i32_i8_e32 v39, v115, v35
	v_dot4c_i32_i8_e32 v51, v127, v47
	v_dot4c_i32_i8_e32 v42, v117, v41
	v_dot4c_i32_i8_e32 v39, v112, v36
	v_dot4c_i32_i8_e32 v51, v124, v48
	v_dot4c_i32_i8_e32 v46, v123, v43
	v_dot4c_i32_i8_e32 v39, v113, v37
	v_mul_lo_u32 v34, v179, v223
	v_mul_lo_u32 v36, v183, v222
	;; [unrolled: 1-line block ×4, first 2 shown]
	v_dot4c_i32_i8_e32 v51, v125, v49
	v_dot4c_i32_i8_e32 v46, v120, v44
	v_mad_u64_u32 v[40:41], s[20:21], v39, v223, v[40:41]
	v_mad_u64_u32 v[38:39], s[20:21], v226, v222, v[38:39]
	;; [unrolled: 1-line block ×4, first 2 shown]
	v_dot4c_i32_i8_e32 v46, v121, v45
	v_cvt_f32_i32_e32 v35, v34
	v_cvt_f32_i32_e32 v34, v36
	;; [unrolled: 1-line block ×4, first 2 shown]
	v_mul_lo_u32 v38, v225, v221
	v_mul_lo_u32 v40, v51, v220
	;; [unrolled: 1-line block ×4, first 2 shown]
	v_mad_u64_u32 v[72:73], s[20:21], v84, v237, v[60:61]
	v_mad_u64_u32 v[44:45], s[20:21], v181, v221, v[44:45]
	;; [unrolled: 1-line block ×5, first 2 shown]
	v_cvt_f32_i32_e32 v59, v58
	v_cvt_f32_i32_e32 v58, v72
	;; [unrolled: 1-line block ×6, first 2 shown]
	v_pk_fma_f32 v[68:69], v[166:167], v[68:69], 0 op_sel_hi:[1,1,0]
	v_pk_fma_f32 v[36:37], v[164:165], v[36:37], 0 op_sel_hi:[1,1,0]
	;; [unrolled: 1-line block ×3, first 2 shown]
	v_pk_fma_f32 v[58:59], v[160:161], v[58:59], v[68:69]
	v_pk_fma_f32 v[34:35], v[160:161], v[40:41], v[34:35]
	v_pk_fma_f32 v[36:37], v[162:163], v[38:39], v[36:37]
	v_pk_fma_f32 v[6:7], v[100:101], v[58:59], v[6:7]
	v_pk_fma_f32 v[4:5], v[110:111], v[36:37], v[4:5]
	v_pk_fma_f32 v[2:3], v[102:103], v[34:35], v[2:3]
	s_mov_b32 s20, 8
	s_and_b64 vcc, exec, s[0:1]
	s_mov_b64 s[0:1], 0
	s_cbranch_vccnz .LBB135_6
; %bb.7:                                ;   in Loop: Header=BB135_5 Depth=1
	s_barrier
	scratch_load_dword v34, off, off offset:4 ; 4-byte Folded Reload
	v_add_u32_e32 v48, s18, v186
	v_add_u32_e32 v36, v48, v57
	;; [unrolled: 1-line block ×5, first 2 shown]
	v_mad_i64_i32 v[36:37], s[0:1], v36, 36, v[0:1]
	v_mad_i64_i32 v[38:39], s[0:1], v38, 36, v[0:1]
	;; [unrolled: 1-line block ×3, first 2 shown]
	v_add_u32_e32 v42, v48, v91
	v_add_u32_e32 v44, v48, v93
	;; [unrolled: 1-line block ×3, first 2 shown]
	v_mad_u64_u32 v[50:51], s[0:1], v50, 36, s[2:3]
	v_mad_i64_i32 v[42:43], s[0:1], v42, 36, v[0:1]
	v_mad_i64_i32 v[44:45], s[0:1], v44, 36, v[0:1]
	;; [unrolled: 1-line block ×3, first 2 shown]
	s_waitcnt vmcnt(0)
	v_add_u32_e32 v34, v48, v34
	v_mad_i64_i32 v[34:35], s[0:1], v34, 36, v[0:1]
	v_add_u32_e32 v48, v48, v184
	v_mad_i64_i32 v[48:49], s[0:1], v48, 36, v[0:1]
	global_load_dword v50, v[50:51], off
	s_nop 0
	global_load_dword v34, v[34:35], off offset:4
	s_nop 0
	global_load_dword v35, v[36:37], off offset:4
	;; [unrolled: 2-line block ×3, first 2 shown]
	global_load_dword v37, v[40:41], off offset:4
	s_nop 0
	global_load_dword v38, v[42:43], off offset:4
	global_load_dword v39, v[44:45], off offset:4
	;; [unrolled: 1-line block ×4, first 2 shown]
	s_mov_b32 s0, 16
	s_waitcnt vmcnt(7)
	ds_write_b32 v203, v34
	s_waitcnt vmcnt(6)
	ds_write_b32 v204, v35
	;; [unrolled: 2-line block ×8, first 2 shown]
	scratch_load_dword v34, off, off        ; 4-byte Folded Reload
	v_cvt_f32_f16_e32 v42, v50
	s_waitcnt vmcnt(0)
	ds_write_b32 v34, v42
	s_waitcnt lgkmcnt(0)
	s_barrier
	ds_read_b32 v96, v185
	ds_read_b32 v98, v187 offset:128
	ds_read_b32 v100, v189 offset:256
	;; [unrolled: 1-line block ×3, first 2 shown]
	s_waitcnt lgkmcnt(3)
	v_mov_b32_e32 v97, v96
	v_mov_b32_e32 v104, v96
	v_mov_b32_e32 v105, v96
	s_waitcnt lgkmcnt(2)
	v_mov_b32_e32 v99, v98
	v_mov_b32_e32 v106, v98
	v_mov_b32_e32 v107, v98
	;; [unrolled: 4-line block ×4, first 2 shown]
.LBB135_8:                              ;   Parent Loop BB135_5 Depth=1
                                        ; =>  This Inner Loop Header: Depth=2
	s_lshl_b32 s1, s0, 1
	s_and_b32 s1, s1, 16
	v_or_b32_e32 v34, s1, v67
	s_lshl_b32 s19, s0, 3
	v_lshlrev_b32_e32 v46, 2, v34
	v_add_u32_e32 v50, s19, v199
	v_lshrrev_b32_e32 v176, 1, v34
	ds_read_b128 v[34:37], v46 offset:33280
	ds_read_b128 v[38:41], v46 offset:33296
	;; [unrolled: 1-line block ×4, first 2 shown]
	ds_read2_b32 v[162:163], v50 offset0:6 offset1:7
	ds_read2_b32 v[166:167], v50 offset0:4 offset1:5
	;; [unrolled: 1-line block ×3, first 2 shown]
	ds_read2_b32 v[164:165], v50 offset1:1
	ds_read2_b32 v[168:169], v50 offset0:14 offset1:15
	ds_read2_b32 v[170:171], v50 offset0:12 offset1:13
	;; [unrolled: 1-line block ×4, first 2 shown]
	v_add_u32_e32 v50, s19, v200
	ds_read2_b32 v[148:149], v50 offset0:6 offset1:7
	ds_read2_b32 v[150:151], v50 offset0:4 offset1:5
	;; [unrolled: 1-line block ×3, first 2 shown]
	ds_read2_b32 v[146:147], v50 offset1:1
	ds_read2_b32 v[152:153], v50 offset0:14 offset1:15
	ds_read2_b32 v[154:155], v50 offset0:12 offset1:13
	;; [unrolled: 1-line block ×4, first 2 shown]
	v_add_u32_e32 v50, s19, v201
	v_add_u32_e32 v56, s19, v202
	ds_read2_b32 v[132:133], v50 offset0:6 offset1:7
	ds_read2_b32 v[134:135], v50 offset0:4 offset1:5
	;; [unrolled: 1-line block ×3, first 2 shown]
	ds_read2_b32 v[130:131], v50 offset1:1
	ds_read2_b32 v[136:137], v50 offset0:14 offset1:15
	ds_read2_b32 v[138:139], v50 offset0:12 offset1:13
	;; [unrolled: 1-line block ×7, first 2 shown]
	ds_read2_b32 v[114:115], v56 offset1:1
	ds_read2_b32 v[124:125], v56 offset0:14 offset1:15
	ds_read2_b32 v[126:127], v56 offset0:12 offset1:13
	;; [unrolled: 1-line block ×4, first 2 shown]
	v_mov_b32_e32 v68, 0
	v_mov_b32_e32 v219, 0
	;; [unrolled: 1-line block ×16, first 2 shown]
	s_waitcnt lgkmcnt(14)
	v_dot4c_i32_i8_e32 v68, v170, v46
	v_dot4c_i32_i8_e32 v219, v174, v42
	;; [unrolled: 1-line block ×8, first 2 shown]
	s_waitcnt lgkmcnt(10)
	v_dot4c_i32_i8_e32 v71, v138, v46
	s_waitcnt lgkmcnt(8)
	v_dot4c_i32_i8_e32 v73, v142, v42
	v_dot4c_i32_i8_e32 v84, v134, v38
	;; [unrolled: 1-line block ×3, first 2 shown]
	s_waitcnt lgkmcnt(2)
	v_dot4c_i32_i8_e32 v51, v126, v46
	s_waitcnt lgkmcnt(0)
	v_dot4c_i32_i8_e32 v56, v122, v42
	v_dot4c_i32_i8_e32 v58, v118, v38
	;; [unrolled: 1-line block ×19, first 2 shown]
	v_or_b32_e32 v34, s1, v192
	v_dot4c_i32_i8_e32 v68, v168, v48
	v_dot4c_i32_i8_e32 v219, v172, v44
	;; [unrolled: 1-line block ×16, first 2 shown]
	v_lshlrev_b32_e32 v46, 2, v34
	v_dot4c_i32_i8_e32 v68, v169, v49
	v_dot4c_i32_i8_e32 v219, v173, v45
	;; [unrolled: 1-line block ×16, first 2 shown]
	v_lshrrev_b32_e32 v179, 1, v34
	ds_read_b128 v[34:37], v46 offset:33280
	ds_read_b128 v[38:41], v46 offset:33296
	;; [unrolled: 1-line block ×4, first 2 shown]
	v_mov_b32_e32 v82, 0
	v_mov_b32_e32 v223, 0
	;; [unrolled: 1-line block ×16, first 2 shown]
	s_waitcnt lgkmcnt(0)
	v_dot4c_i32_i8_e32 v82, v170, v46
	v_dot4c_i32_i8_e32 v223, v174, v42
	;; [unrolled: 1-line block ×32, first 2 shown]
	v_or_b32_e32 v34, s1, v193
	v_dot4c_i32_i8_e32 v82, v168, v48
	v_dot4c_i32_i8_e32 v223, v172, v44
	v_dot4c_i32_i8_e32 v183, v162, v40
	v_dot4c_i32_i8_e32 v182, v160, v36
	v_dot4c_i32_i8_e32 v76, v152, v48
	v_dot4c_i32_i8_e32 v80, v156, v44
	v_dot4c_i32_i8_e32 v221, v148, v40
	v_dot4c_i32_i8_e32 v222, v144, v36
	v_dot4c_i32_i8_e32 v220, v136, v48
	v_dot4c_i32_i8_e32 v70, v140, v44
	v_dot4c_i32_i8_e32 v72, v132, v40
	v_dot4c_i32_i8_e32 v74, v128, v36
	v_dot4c_i32_i8_e32 v66, v124, v48
	v_dot4c_i32_i8_e32 v94, v120, v44
	v_dot4c_i32_i8_e32 v233, v116, v40
	v_dot4c_i32_i8_e32 v234, v112, v36
	v_lshlrev_b32_e32 v46, 2, v34
	v_dot4c_i32_i8_e32 v82, v169, v49
	v_dot4c_i32_i8_e32 v223, v173, v45
	v_dot4c_i32_i8_e32 v183, v163, v41
	v_dot4c_i32_i8_e32 v182, v161, v37
	v_dot4c_i32_i8_e32 v76, v153, v49
	v_dot4c_i32_i8_e32 v80, v157, v45
	v_dot4c_i32_i8_e32 v221, v149, v41
	v_dot4c_i32_i8_e32 v222, v145, v37
	v_dot4c_i32_i8_e32 v220, v137, v49
	v_dot4c_i32_i8_e32 v70, v141, v45
	v_dot4c_i32_i8_e32 v72, v133, v41
	v_dot4c_i32_i8_e32 v74, v129, v37
	v_dot4c_i32_i8_e32 v66, v125, v49
	v_dot4c_i32_i8_e32 v94, v121, v45
	v_dot4c_i32_i8_e32 v233, v117, v41
	v_dot4c_i32_i8_e32 v234, v113, v37
	v_lshrrev_b32_e32 v65, 1, v34
	ds_read_b128 v[34:37], v46 offset:33280
	ds_read_b128 v[38:41], v46 offset:33296
	;; [unrolled: 1-line block ×4, first 2 shown]
	v_mov_b32_e32 v224, 0
	v_mov_b32_e32 v225, 0
	;; [unrolled: 1-line block ×16, first 2 shown]
	s_waitcnt lgkmcnt(0)
	v_dot4c_i32_i8_e32 v224, v170, v46
	v_dot4c_i32_i8_e32 v225, v174, v42
	;; [unrolled: 1-line block ×16, first 2 shown]
	s_lshr_b32 s18, s0, 1
	v_dot4c_i32_i8_e32 v224, v171, v47
	v_dot4c_i32_i8_e32 v225, v175, v43
	;; [unrolled: 1-line block ×16, first 2 shown]
	v_or_b32_e32 v34, s1, v194
	s_add_i32 s18, s18, 0xa200
	v_dot4c_i32_i8_e32 v224, v168, v48
	v_dot4c_i32_i8_e32 v225, v172, v44
	;; [unrolled: 1-line block ×16, first 2 shown]
	v_lshlrev_b32_e32 v46, 2, v34
	v_add3_u32 v178, s18, v214, v215
	v_dot4c_i32_i8_e32 v224, v169, v49
	v_dot4c_i32_i8_e32 v225, v173, v45
	;; [unrolled: 1-line block ×16, first 2 shown]
	v_lshrrev_b32_e32 v81, 1, v34
	ds_read_b128 v[34:37], v46 offset:33280
	ds_read_b128 v[38:41], v46 offset:33296
	;; [unrolled: 1-line block ×4, first 2 shown]
	ds_read_b64 v[176:177], v176 offset:43584
	ds_read_b32 v83, v178
	ds_read_b64 v[244:245], v179 offset:43584
	ds_read_b64 v[178:179], v65 offset:43584
	;; [unrolled: 1-line block ×3, first 2 shown]
	v_add3_u32 v90, s18, v216, v211
	v_add3_u32 v69, s18, v217, v212
	;; [unrolled: 1-line block ×3, first 2 shown]
	s_waitcnt lgkmcnt(3)
	v_bfe_i32 v239, v83, 8, 8
	v_bfe_i32 v240, v83, 0, 8
	v_ashrrev_i32_e32 v231, 24, v83
	v_bfe_i32 v232, v83, 16, 8
	v_mov_b32_e32 v83, 0
	v_dot4c_i32_i8_e32 v83, v166, v38
	v_mul_lo_u32 v252, v77, v240
	v_mov_b32_e32 v77, 0
	v_dot4c_i32_i8_e32 v83, v167, v39
	v_dot4c_i32_i8_e32 v77, v164, v34
	;; [unrolled: 1-line block ×6, first 2 shown]
	v_mul_lo_u32 v250, v183, v239
	v_dot4c_i32_i8_e32 v77, v161, v37
	v_mul_lo_u32 v254, v83, v239
	v_mov_b32_e32 v65, 0
	v_mul_lo_u32 v248, v181, v240
	v_mad_u64_u32 v[254:255], s[18:19], v77, v240, v[254:255]
	v_mad_u64_u32 v[252:253], s[18:19], v226, v239, v[252:253]
	;; [unrolled: 1-line block ×3, first 2 shown]
	v_dot4c_i32_i8_e32 v65, v170, v46
	v_mov_b32_e32 v81, 0
	v_mad_u64_u32 v[180:181], s[18:19], v180, v239, v[248:249]
	v_cvt_f32_i32_e32 v248, v182
	v_cvt_f32_i32_e32 v183, v252
	;; [unrolled: 1-line block ×3, first 2 shown]
	v_dot4c_i32_i8_e32 v65, v171, v47
	v_dot4c_i32_i8_e32 v81, v174, v42
	v_mul_lo_u32 v226, v219, v232
	v_mul_lo_u32 v82, v82, v231
	v_dot4c_i32_i8_e32 v65, v168, v48
	v_dot4c_i32_i8_e32 v81, v175, v43
	v_cvt_f32_i32_e32 v249, v180
	v_mad_u64_u32 v[82:83], s[18:19], v223, v232, v[82:83]
	v_mad_u64_u32 v[252:253], s[18:19], v68, v231, v[226:227]
	v_dot4c_i32_i8_e32 v65, v169, v49
	v_dot4c_i32_i8_e32 v81, v172, v44
	s_waitcnt lgkmcnt(0)
	v_mov_b32_e32 v180, v246
	v_mov_b32_e32 v181, v178
	v_cvt_f32_i32_e32 v83, v252
	v_cvt_f32_i32_e32 v82, v82
	v_dot4c_i32_i8_e32 v81, v173, v45
	v_pk_fma_f32 v[250:251], v[180:181], v[182:183], 0 op_sel_hi:[1,1,0]
	v_mov_b32_e32 v183, v176
	v_mul_lo_u32 v176, v225, v232
	v_mul_lo_u32 v178, v65, v231
	v_mov_b32_e32 v182, v244
	v_mad_u64_u32 v[254:255], s[18:19], v81, v232, v[178:179]
	v_mad_u64_u32 v[224:225], s[18:19], v224, v231, v[176:177]
	v_pk_fma_f32 v[248:249], v[182:183], v[248:249], 0 op_sel_hi:[1,1,0]
	v_cvt_f32_i32_e32 v225, v224
	v_cvt_f32_i32_e32 v224, v254
	v_mov_b32_e32 v176, v245
	ds_read_b32 v68, v90
	v_pk_fma_f32 v[82:83], v[176:177], v[82:83], v[248:249]
	v_mov_b32_e32 v65, 0
	v_pk_fma_f32 v[26:27], v[96:97], v[82:83], v[26:27]
	v_dot4c_i32_i8_e32 v65, v150, v38
	v_mov_b32_e32 v83, 0
	v_mov_b32_e32 v178, v247
	;; [unrolled: 1-line block ×3, first 2 shown]
	v_dot4c_i32_i8_e32 v65, v151, v39
	v_dot4c_i32_i8_e32 v83, v146, v34
	v_pk_fma_f32 v[224:225], v[178:179], v[224:225], v[250:251]
	v_dot4c_i32_i8_e32 v77, v154, v46
	v_dot4c_i32_i8_e32 v65, v148, v40
	;; [unrolled: 1-line block ×3, first 2 shown]
	v_pk_fma_f32 v[28:29], v[104:105], v[224:225], v[28:29]
	v_dot4c_i32_i8_e32 v77, v155, v47
	v_dot4c_i32_i8_e32 v65, v149, v41
	;; [unrolled: 1-line block ×3, first 2 shown]
	s_waitcnt lgkmcnt(0)
	v_bfe_i32 v225, v68, 8, 8
	v_bfe_i32 v226, v68, 0, 8
	v_dot4c_i32_i8_e32 v77, v152, v48
	v_dot4c_i32_i8_e32 v83, v145, v37
	v_ashrrev_i32_e32 v223, 24, v68
	v_bfe_i32 v224, v68, 16, 8
	v_mul_lo_u32 v64, v64, v226
	v_mul_lo_u32 v68, v221, v225
	;; [unrolled: 1-line block ×4, first 2 shown]
	v_dot4c_i32_i8_e32 v77, v153, v49
	v_mad_u64_u32 v[244:245], s[18:19], v83, v226, v[90:91]
	v_mad_u64_u32 v[82:83], s[18:19], v229, v225, v[82:83]
	;; [unrolled: 1-line block ×4, first 2 shown]
	v_mul_lo_u32 v90, v92, v224
	v_mul_lo_u32 v76, v76, v223
	v_cvt_f32_i32_e32 v65, v64
	v_cvt_f32_i32_e32 v64, v246
	;; [unrolled: 1-line block ×4, first 2 shown]
	v_mul_lo_u32 v62, v228, v224
	v_mad_u64_u32 v[228:229], s[18:19], v80, v224, v[76:77]
	v_mad_u64_u32 v[244:245], s[18:19], v60, v223, v[90:91]
	v_mov_b32_e32 v81, 0
	v_cvt_f32_i32_e32 v229, v244
	v_cvt_f32_i32_e32 v228, v228
	v_dot4c_i32_i8_e32 v81, v158, v42
	v_dot4c_i32_i8_e32 v81, v159, v43
	v_dot4c_i32_i8_e32 v81, v156, v44
	v_pk_fma_f32 v[64:65], v[182:183], v[64:65], 0 op_sel_hi:[1,1,0]
	ds_read_b32 v60, v69
	v_dot4c_i32_i8_e32 v81, v157, v45
	v_mul_lo_u32 v68, v77, v223
	v_pk_fma_f32 v[64:65], v[176:177], v[228:229], v[64:65]
	v_mad_u64_u32 v[248:249], s[18:19], v227, v223, v[62:63]
	v_mad_u64_u32 v[246:247], s[18:19], v81, v224, v[68:69]
	v_pk_fma_f32 v[30:31], v[98:99], v[64:65], v[30:31]
	v_mov_b32_e32 v65, 0
	v_cvt_f32_i32_e32 v247, v248
	v_cvt_f32_i32_e32 v246, v246
	v_dot4c_i32_i8_e32 v65, v134, v38
	v_dot4c_i32_i8_e32 v65, v135, v39
	;; [unrolled: 1-line block ×3, first 2 shown]
	s_waitcnt lgkmcnt(0)
	v_bfe_i32 v230, v60, 0, 8
	v_pk_fma_f32 v[82:83], v[180:181], v[82:83], 0 op_sel_hi:[1,1,0]
	v_dot4c_i32_i8_e32 v65, v133, v41
	v_bfe_i32 v229, v60, 8, 8
	v_ashrrev_i32_e32 v227, 24, v60
	v_bfe_i32 v228, v60, 16, 8
	v_mul_lo_u32 v60, v86, v230
	v_mul_lo_u32 v64, v243, v230
	v_pk_fma_f32 v[82:83], v[178:179], v[246:247], v[82:83]
	v_mul_lo_u32 v62, v72, v229
	v_mul_lo_u32 v68, v65, v229
	v_mad_u64_u32 v[64:65], s[18:19], v242, v229, v[64:65]
	v_mad_u64_u32 v[242:243], s[18:19], v84, v229, v[60:61]
	v_mul_lo_u32 v60, v241, v228
	v_pk_fma_f32 v[32:33], v[106:107], v[82:83], v[32:33]
	v_mov_b32_e32 v76, 0
	v_mad_u64_u32 v[82:83], s[18:19], v74, v230, v[62:63]
	v_mul_lo_u32 v74, v220, v227
	v_mad_u64_u32 v[220:221], s[18:19], v238, v227, v[60:61]
	v_mov_b32_e32 v60, 0
	v_dot4c_i32_i8_e32 v76, v138, v46
	v_mov_b32_e32 v77, 0
	v_dot4c_i32_i8_e32 v60, v126, v46
	;; [unrolled: 2-line block ×3, first 2 shown]
	v_dot4c_i32_i8_e32 v46, v122, v42
	v_mov_b32_e32 v42, 0
	v_dot4c_i32_i8_e32 v42, v118, v38
	v_mov_b32_e32 v80, 0
	;; [unrolled: 2-line block ×3, first 2 shown]
	v_dot4c_i32_i8_e32 v80, v130, v34
	v_dot4c_i32_i8_e32 v39, v114, v34
	ds_read_b32 v34, v50
	v_dot4c_i32_i8_e32 v76, v139, v47
	v_dot4c_i32_i8_e32 v80, v131, v35
	v_cvt_f32_i32_e32 v83, v242
	v_cvt_f32_i32_e32 v82, v82
	v_dot4c_i32_i8_e32 v76, v136, v48
	v_dot4c_i32_i8_e32 v77, v143, v43
	;; [unrolled: 1-line block ×7, first 2 shown]
	v_mul_lo_u32 v62, v76, v227
	v_mul_lo_u32 v72, v73, v228
	v_mad_u64_u32 v[68:69], s[18:19], v80, v230, v[68:69]
	v_dot4c_i32_i8_e32 v42, v116, v40
	v_dot4c_i32_i8_e32 v39, v115, v35
	v_cvt_f32_i32_e32 v65, v64
	v_cvt_f32_i32_e32 v64, v68
	v_pk_fma_f32 v[68:69], v[182:183], v[82:83], 0 op_sel_hi:[1,1,0]
	v_mad_u64_u32 v[82:83], s[18:19], v70, v228, v[74:75]
	v_mad_u64_u32 v[70:71], s[18:19], v71, v227, v[72:73]
	v_mad_u64_u32 v[72:73], s[18:19], v77, v228, v[62:63]
	v_dot4c_i32_i8_e32 v60, v127, v47
	v_dot4c_i32_i8_e32 v42, v117, v41
	;; [unrolled: 1-line block ×3, first 2 shown]
	s_waitcnt lgkmcnt(0)
	v_bfe_i32 v221, v34, 8, 8
	v_bfe_i32 v222, v34, 0, 8
	v_cvt_f32_i32_e32 v73, v220
	v_dot4c_i32_i8_e32 v60, v124, v48
	v_dot4c_i32_i8_e32 v46, v123, v43
	;; [unrolled: 1-line block ×3, first 2 shown]
	v_ashrrev_i32_e32 v219, 24, v34
	v_bfe_i32 v220, v34, 16, 8
	v_mul_lo_u32 v34, v59, v222
	v_mul_lo_u32 v36, v233, v221
	;; [unrolled: 1-line block ×4, first 2 shown]
	v_dot4c_i32_i8_e32 v60, v125, v49
	v_dot4c_i32_i8_e32 v46, v120, v44
	v_mad_u64_u32 v[40:41], s[18:19], v39, v222, v[40:41]
	v_mad_u64_u32 v[38:39], s[18:19], v236, v221, v[38:39]
	;; [unrolled: 1-line block ×4, first 2 shown]
	v_dot4c_i32_i8_e32 v46, v121, v45
	v_cvt_f32_i32_e32 v35, v34
	v_cvt_f32_i32_e32 v34, v36
	;; [unrolled: 1-line block ×4, first 2 shown]
	v_mul_lo_u32 v38, v235, v220
	v_mul_lo_u32 v40, v60, v219
	;; [unrolled: 1-line block ×4, first 2 shown]
	v_mad_u64_u32 v[44:45], s[18:19], v94, v220, v[44:45]
	v_mad_u64_u32 v[42:43], s[18:19], v51, v219, v[42:43]
	;; [unrolled: 1-line block ×4, first 2 shown]
	v_cvt_f32_i32_e32 v39, v38
	v_cvt_f32_i32_e32 v38, v40
	;; [unrolled: 1-line block ×4, first 2 shown]
	v_pk_fma_f32 v[34:35], v[182:183], v[34:35], 0 op_sel_hi:[1,1,0]
	v_pk_fma_f32 v[36:37], v[180:181], v[36:37], 0 op_sel_hi:[1,1,0]
	v_cvt_f32_i32_e32 v72, v72
	v_pk_fma_f32 v[34:35], v[176:177], v[40:41], v[34:35]
	v_pk_fma_f32 v[36:37], v[178:179], v[38:39], v[36:37]
	;; [unrolled: 1-line block ×3, first 2 shown]
	v_or_b32_e32 v34, s1, v195
	v_lshlrev_b32_e32 v46, 2, v34
	v_cvt_f32_i32_e32 v71, v70
	v_cvt_f32_i32_e32 v70, v82
	v_pk_fma_f32 v[20:21], v[110:111], v[36:37], v[20:21]
	v_lshrrev_b32_e32 v74, 1, v34
	ds_read_b128 v[34:37], v46 offset:33280
	ds_read_b128 v[38:41], v46 offset:33296
	;; [unrolled: 1-line block ×4, first 2 shown]
	v_pk_fma_f32 v[64:65], v[180:181], v[64:65], 0 op_sel_hi:[1,1,0]
	v_pk_fma_f32 v[68:69], v[176:177], v[70:71], v[68:69]
	v_pk_fma_f32 v[64:65], v[178:179], v[72:73], v[64:65]
	v_mov_b32_e32 v90, 0
	v_mov_b32_e32 v73, 0
	;; [unrolled: 1-line block ×16, first 2 shown]
	s_waitcnt lgkmcnt(0)
	v_dot4c_i32_i8_e32 v90, v170, v46
	v_dot4c_i32_i8_e32 v73, v174, v42
	;; [unrolled: 1-line block ×32, first 2 shown]
	v_or_b32_e32 v34, s1, v196
	v_dot4c_i32_i8_e32 v90, v168, v48
	v_dot4c_i32_i8_e32 v73, v172, v44
	;; [unrolled: 1-line block ×16, first 2 shown]
	v_lshlrev_b32_e32 v46, 2, v34
	v_dot4c_i32_i8_e32 v90, v169, v49
	v_dot4c_i32_i8_e32 v73, v173, v45
	v_dot4c_i32_i8_e32 v94, v163, v41
	v_dot4c_i32_i8_e32 v56, v161, v37
	v_dot4c_i32_i8_e32 v243, v153, v49
	v_dot4c_i32_i8_e32 v244, v157, v45
	v_dot4c_i32_i8_e32 v245, v149, v41
	v_dot4c_i32_i8_e32 v246, v145, v37
	v_dot4c_i32_i8_e32 v233, v137, v49
	v_dot4c_i32_i8_e32 v236, v141, v45
	v_dot4c_i32_i8_e32 v241, v133, v41
	v_dot4c_i32_i8_e32 v242, v129, v37
	v_dot4c_i32_i8_e32 v176, v125, v49
	v_dot4c_i32_i8_e32 v177, v121, v45
	v_dot4c_i32_i8_e32 v178, v117, v41
	v_dot4c_i32_i8_e32 v179, v113, v37
	v_lshrrev_b32_e32 v60, 1, v34
	ds_read_b128 v[34:37], v46 offset:33280
	ds_read_b128 v[38:41], v46 offset:33296
	;; [unrolled: 1-line block ×4, first 2 shown]
	v_pk_fma_f32 v[24:25], v[108:109], v[64:65], v[24:25]
	v_pk_fma_f32 v[22:23], v[100:101], v[68:69], v[22:23]
	v_mov_b32_e32 v50, 0
	v_mov_b32_e32 v58, 0
	;; [unrolled: 1-line block ×16, first 2 shown]
	s_waitcnt lgkmcnt(0)
	v_dot4c_i32_i8_e32 v50, v170, v46
	v_dot4c_i32_i8_e32 v58, v174, v42
	;; [unrolled: 1-line block ×32, first 2 shown]
	v_or_b32_e32 v34, s1, v197
	v_dot4c_i32_i8_e32 v50, v168, v48
	v_dot4c_i32_i8_e32 v58, v172, v44
	;; [unrolled: 1-line block ×16, first 2 shown]
	v_lshlrev_b32_e32 v46, 2, v34
	v_dot4c_i32_i8_e32 v50, v169, v49
	v_dot4c_i32_i8_e32 v58, v173, v45
	;; [unrolled: 1-line block ×16, first 2 shown]
	v_lshrrev_b32_e32 v76, 1, v34
	ds_read_b128 v[34:37], v46 offset:33280
	ds_read_b128 v[38:41], v46 offset:33296
	;; [unrolled: 1-line block ×4, first 2 shown]
	v_mov_b32_e32 v62, 0
	v_mov_b32_e32 v66, 0
	;; [unrolled: 1-line block ×16, first 2 shown]
	s_waitcnt lgkmcnt(0)
	v_dot4c_i32_i8_e32 v62, v170, v46
	v_dot4c_i32_i8_e32 v66, v174, v42
	;; [unrolled: 1-line block ×32, first 2 shown]
	v_or_b32_e32 v34, s1, v198
	v_dot4c_i32_i8_e32 v62, v168, v48
	v_dot4c_i32_i8_e32 v66, v172, v44
	;; [unrolled: 1-line block ×16, first 2 shown]
	v_lshlrev_b32_e32 v46, 2, v34
	v_dot4c_i32_i8_e32 v62, v169, v49
	v_dot4c_i32_i8_e32 v66, v173, v45
	;; [unrolled: 1-line block ×16, first 2 shown]
	v_lshrrev_b32_e32 v82, 1, v34
	ds_read_b128 v[34:37], v46 offset:33280
	ds_read_b128 v[38:41], v46 offset:33296
	;; [unrolled: 1-line block ×4, first 2 shown]
	v_mov_b32_e32 v70, 0
	v_mov_b32_e32 v72, 0
	v_mul_lo_u32 v56, v56, v240
	s_waitcnt lgkmcnt(1)
	v_dot4c_i32_i8_e32 v72, v174, v42
	s_waitcnt lgkmcnt(0)
	v_dot4c_i32_i8_e32 v70, v170, v46
	v_mov_b32_e32 v170, 0
	v_dot4c_i32_i8_e32 v170, v166, v38
	v_mov_b32_e32 v166, 0
	v_dot4c_i32_i8_e32 v170, v167, v39
	v_dot4c_i32_i8_e32 v166, v164, v34
	;; [unrolled: 1-line block ×13, first 2 shown]
	ds_read_b64 v[160:161], v74 offset:43584
	ds_read_b64 v[172:173], v60 offset:43584
	ds_read_b64 v[162:163], v76 offset:43584
	ds_read_b64 v[168:169], v82 offset:43584
	v_mul_lo_u32 v60, v64, v239
	v_mul_lo_u32 v64, v80, v240
	;; [unrolled: 1-line block ×3, first 2 shown]
	v_mad_u64_u32 v[82:83], s[18:19], v166, v240, v[74:75]
	v_mad_u64_u32 v[64:65], s[18:19], v78, v239, v[64:65]
	;; [unrolled: 1-line block ×4, first 2 shown]
	v_cvt_f32_i32_e32 v175, v166
	v_cvt_f32_i32_e32 v174, v164
	;; [unrolled: 1-line block ×4, first 2 shown]
	s_waitcnt lgkmcnt(0)
	v_mov_b32_e32 v164, v168
	v_mov_b32_e32 v165, v162
	v_mov_b32_e32 v166, v172
	v_mov_b32_e32 v167, v160
	v_mul_lo_u32 v56, v66, v232
	v_mul_lo_u32 v60, v70, v231
	;; [unrolled: 1-line block ×4, first 2 shown]
	v_pk_fma_f32 v[170:171], v[164:165], v[64:65], 0 op_sel_hi:[1,1,0]
	v_pk_fma_f32 v[64:65], v[166:167], v[174:175], 0 op_sel_hi:[1,1,0]
	v_mad_u64_u32 v[82:83], s[18:19], v58, v232, v[50:51]
	v_mad_u64_u32 v[174:175], s[18:19], v90, v231, v[66:67]
	;; [unrolled: 1-line block ×4, first 2 shown]
	v_cvt_f32_i32_e32 v73, v76
	v_cvt_f32_i32_e32 v77, v174
	v_cvt_f32_i32_e32 v76, v82
	v_mov_b32_e32 v160, v173
	v_mov_b32_e32 v60, 0
	v_cvt_f32_i32_e32 v72, v72
	v_pk_fma_f32 v[64:65], v[160:161], v[76:77], v[64:65]
	v_mov_b32_e32 v62, 0
	v_pk_fma_f32 v[14:15], v[96:97], v[64:65], v[14:15]
	v_dot4c_i32_i8_e32 v60, v150, v38
	v_mov_b32_e32 v64, 0
	v_dot4c_i32_i8_e32 v62, v154, v46
	v_mov_b32_e32 v66, 0
	v_dot4c_i32_i8_e32 v60, v151, v39
	v_dot4c_i32_i8_e32 v64, v146, v34
	;; [unrolled: 1-line block ×6, first 2 shown]
	v_mov_b32_e32 v162, v169
	v_dot4c_i32_i8_e32 v62, v152, v48
	v_dot4c_i32_i8_e32 v66, v159, v43
	;; [unrolled: 1-line block ×4, first 2 shown]
	v_pk_fma_f32 v[72:73], v[162:163], v[72:73], v[170:171]
	v_dot4c_i32_i8_e32 v62, v153, v49
	v_dot4c_i32_i8_e32 v66, v156, v44
	;; [unrolled: 1-line block ×3, first 2 shown]
	v_mul_lo_u32 v50, v246, v226
	v_mul_lo_u32 v56, v253, v225
	;; [unrolled: 1-line block ×4, first 2 shown]
	v_pk_fma_f32 v[16:17], v[104:105], v[72:73], v[16:17]
	v_dot4c_i32_i8_e32 v66, v157, v45
	v_mad_u64_u32 v[64:65], s[18:19], v64, v226, v[60:61]
	v_mad_u64_u32 v[70:71], s[18:19], v71, v225, v[58:59]
	;; [unrolled: 1-line block ×4, first 2 shown]
	v_mul_lo_u32 v50, v69, v224
	v_mul_lo_u32 v56, v62, v223
	v_cvt_f32_i32_e32 v73, v76
	v_cvt_f32_i32_e32 v65, v70
	;; [unrolled: 1-line block ×3, first 2 shown]
	v_mad_u64_u32 v[76:77], s[18:19], v66, v224, v[56:57]
	v_mad_u64_u32 v[82:83], s[18:19], v86, v223, v[50:51]
	v_cvt_f32_i32_e32 v72, v72
	v_cvt_f32_i32_e32 v77, v82
	;; [unrolled: 1-line block ×3, first 2 shown]
	v_pk_fma_f32 v[64:65], v[164:165], v[64:65], 0 op_sel_hi:[1,1,0]
	v_mul_lo_u32 v58, v244, v224
	v_mul_lo_u32 v60, v251, v223
	v_pk_fma_f32 v[70:71], v[166:167], v[72:73], 0 op_sel_hi:[1,1,0]
	v_mad_u64_u32 v[68:69], s[18:19], v252, v224, v[60:61]
	v_mad_u64_u32 v[72:73], s[18:19], v243, v223, v[58:59]
	v_pk_fma_f32 v[64:65], v[162:163], v[76:77], v[64:65]
	v_mov_b32_e32 v60, 0
	v_cvt_f32_i32_e32 v69, v72
	v_cvt_f32_i32_e32 v68, v68
	v_pk_fma_f32 v[12:13], v[106:107], v[64:65], v[12:13]
	v_mov_b32_e32 v62, 0
	v_dot4c_i32_i8_e32 v60, v134, v38
	v_mov_b32_e32 v64, 0
	v_dot4c_i32_i8_e32 v62, v138, v46
	;; [unrolled: 2-line block ×3, first 2 shown]
	v_dot4c_i32_i8_e32 v64, v130, v34
	v_dot4c_i32_i8_e32 v62, v139, v47
	;; [unrolled: 1-line block ×9, first 2 shown]
	v_pk_fma_f32 v[68:69], v[160:161], v[68:69], v[70:71]
	v_dot4c_i32_i8_e32 v62, v137, v49
	v_dot4c_i32_i8_e32 v66, v140, v44
	;; [unrolled: 1-line block ×3, first 2 shown]
	v_mul_lo_u32 v50, v242, v230
	v_mul_lo_u32 v56, v249, v229
	v_mul_lo_u32 v58, v84, v230
	v_mul_lo_u32 v60, v60, v229
	v_pk_fma_f32 v[10:11], v[98:99], v[68:69], v[10:11]
	v_dot4c_i32_i8_e32 v66, v141, v45
	v_mad_u64_u32 v[64:65], s[18:19], v64, v230, v[60:61]
	v_mad_u64_u32 v[58:59], s[18:19], v59, v229, v[58:59]
	v_mad_u64_u32 v[68:69], s[18:19], v250, v230, v[56:57]
	v_mad_u64_u32 v[70:71], s[18:19], v241, v229, v[50:51]
	v_mul_lo_u32 v50, v51, v228
	v_mul_lo_u32 v56, v62, v227
	v_cvt_f32_i32_e32 v59, v58
	v_cvt_f32_i32_e32 v58, v64
	v_mad_u64_u32 v[72:73], s[18:19], v66, v228, v[56:57]
	v_mad_u64_u32 v[50:51], s[18:19], v255, v227, v[50:51]
	v_cvt_f32_i32_e32 v51, v50
	v_cvt_f32_i32_e32 v50, v72
	v_pk_fma_f32 v[58:59], v[164:165], v[58:59], 0 op_sel_hi:[1,1,0]
	v_cvt_f32_i32_e32 v69, v70
	v_cvt_f32_i32_e32 v68, v68
	v_pk_fma_f32 v[50:51], v[162:163], v[50:51], v[58:59]
	v_mul_lo_u32 v60, v236, v228
	v_pk_fma_f32 v[8:9], v[108:109], v[50:51], v[8:9]
	v_mov_b32_e32 v50, 0
	v_dot4c_i32_i8_e32 v50, v126, v46
	v_mov_b32_e32 v46, 0
	v_dot4c_i32_i8_e32 v46, v122, v42
	;; [unrolled: 2-line block ×3, first 2 shown]
	v_dot4c_i32_i8_e32 v42, v119, v39
	v_mov_b32_e32 v39, 0
	v_dot4c_i32_i8_e32 v39, v114, v34
	v_dot4c_i32_i8_e32 v42, v116, v40
	;; [unrolled: 1-line block ×9, first 2 shown]
	v_mul_lo_u32 v34, v179, v222
	v_mul_lo_u32 v36, v182, v221
	;; [unrolled: 1-line block ×4, first 2 shown]
	v_dot4c_i32_i8_e32 v50, v125, v49
	v_dot4c_i32_i8_e32 v46, v120, v44
	v_mad_u64_u32 v[40:41], s[18:19], v39, v222, v[40:41]
	v_mad_u64_u32 v[38:39], s[18:19], v237, v221, v[38:39]
	;; [unrolled: 1-line block ×4, first 2 shown]
	v_mul_lo_u32 v62, v247, v227
	v_dot4c_i32_i8_e32 v46, v121, v45
	v_cvt_f32_i32_e32 v35, v34
	v_cvt_f32_i32_e32 v34, v36
	;; [unrolled: 1-line block ×4, first 2 shown]
	v_mul_lo_u32 v38, v235, v220
	v_mul_lo_u32 v40, v50, v219
	;; [unrolled: 1-line block ×4, first 2 shown]
	v_pk_fma_f32 v[64:65], v[166:167], v[68:69], 0 op_sel_hi:[1,1,0]
	v_mad_u64_u32 v[68:69], s[18:19], v248, v228, v[62:63]
	v_mad_u64_u32 v[70:71], s[18:19], v233, v227, v[60:61]
	v_mad_u64_u32 v[44:45], s[18:19], v181, v220, v[44:45]
	v_mad_u64_u32 v[42:43], s[18:19], v176, v219, v[42:43]
	v_mad_u64_u32 v[40:41], s[18:19], v46, v220, v[40:41]
	v_mad_u64_u32 v[38:39], s[18:19], v234, v219, v[38:39]
	v_cvt_f32_i32_e32 v69, v70
	v_cvt_f32_i32_e32 v68, v68
	;; [unrolled: 1-line block ×6, first 2 shown]
	v_pk_fma_f32 v[36:37], v[164:165], v[36:37], 0 op_sel_hi:[1,1,0]
	v_pk_fma_f32 v[34:35], v[166:167], v[34:35], 0 op_sel_hi:[1,1,0]
	v_pk_fma_f32 v[64:65], v[160:161], v[68:69], v[64:65]
	v_pk_fma_f32 v[34:35], v[160:161], v[40:41], v[34:35]
	;; [unrolled: 1-line block ×3, first 2 shown]
	s_add_i32 s1, s0, 8
	v_pk_fma_f32 v[6:7], v[100:101], v[64:65], v[6:7]
	v_pk_fma_f32 v[4:5], v[110:111], v[36:37], v[4:5]
	;; [unrolled: 1-line block ×3, first 2 shown]
	s_cmp_lt_u32 s0, 24
	s_mov_b32 s0, s1
	s_cbranch_scc1 .LBB135_8
; %bb.9:                                ;   in Loop: Header=BB135_5 Depth=1
	s_add_i32 s14, s14, 1
	s_cmp_eq_u32 s14, s4
	s_barrier
	s_cbranch_scc0 .LBB135_5
; %bb.10:
	scratch_load_dword v1, off, off offset:8 ; 4-byte Folded Reload
	scratch_load_dword v34, off, off offset:184 ; 4-byte Folded Reload
	;; [unrolled: 1-line block ×3, first 2 shown]
.LBB135_11:
	s_waitcnt vmcnt(0)
	v_cmp_gt_u32_e32 vcc, s8, v35
	s_and_saveexec_b64 s[0:1], vcc
	s_cbranch_execz .LBB135_62
; %bb.12:
	v_add_u32_e32 v0, s6, v34
	v_mul_lo_u32 v34, v35, s10
	v_cmp_gt_u32_e32 vcc, s10, v0
	s_and_saveexec_b64 s[0:1], vcc
	s_cbranch_execz .LBB135_14
; %bb.13:
	v_add_u32_e32 v36, v0, v34
	v_mov_b32_e32 v37, 0
	s_waitcnt lgkmcnt(0)
	v_lshl_add_u64 v[36:37], v[36:37], 2, s[12:13]
	global_store_dword v[36:37], v27, off
.LBB135_14:
	s_or_b64 exec, exec, s[0:1]
	v_add_u32_e32 v27, 32, v0
	v_cmp_gt_u32_e64 s[0:1], s10, v27
	s_and_saveexec_b64 s[2:3], s[0:1]
	s_cbranch_execz .LBB135_16
; %bb.15:
	v_add_u32_e32 v36, v27, v34
	v_mov_b32_e32 v37, 0
	s_waitcnt lgkmcnt(0)
	v_lshl_add_u64 v[36:37], v[36:37], 2, s[12:13]
	global_store_dword v[36:37], v31, off
.LBB135_16:
	s_or_b64 exec, exec, s[2:3]
	v_add_u32_e32 v31, 64, v0
	v_cmp_gt_u32_e64 s[2:3], s10, v31
	s_and_saveexec_b64 s[4:5], s[2:3]
	;; [unrolled: 12-line block ×3, first 2 shown]
	s_cbranch_execz .LBB135_20
; %bb.19:
	v_add_u32_e32 v34, v23, v34
	v_mov_b32_e32 v35, 0
	s_waitcnt lgkmcnt(0)
	v_lshl_add_u64 v[34:35], v[34:35], 2, s[12:13]
	global_store_dword v[34:35], v19, off
.LBB135_20:
	s_or_b64 exec, exec, s[6:7]
	v_add3_u32 v19, v1, s11, 8
	v_cmp_gt_u32_e64 s[6:7], s8, v19
	s_and_b64 exec, exec, s[6:7]
	s_cbranch_execz .LBB135_62
; %bb.21:
	v_mul_lo_u32 v19, v19, s10
	s_and_saveexec_b64 s[6:7], vcc
	s_cbranch_execnz .LBB135_63
; %bb.22:
	s_or_b64 exec, exec, s[6:7]
	s_and_saveexec_b64 s[6:7], s[0:1]
	s_cbranch_execnz .LBB135_64
.LBB135_23:
	s_or_b64 exec, exec, s[6:7]
	s_and_saveexec_b64 s[6:7], s[2:3]
	s_cbranch_execnz .LBB135_65
.LBB135_24:
	s_or_b64 exec, exec, s[6:7]
	s_and_saveexec_b64 s[6:7], s[4:5]
	s_cbranch_execz .LBB135_26
.LBB135_25:
	v_add_u32_e32 v34, v19, v23
	v_mov_b32_e32 v35, 0
	s_waitcnt lgkmcnt(0)
	v_lshl_add_u64 v[34:35], v[34:35], 2, s[12:13]
	global_store_dword v[34:35], v18, off
.LBB135_26:
	s_or_b64 exec, exec, s[6:7]
	v_add3_u32 v18, v1, s11, 16
	v_cmp_gt_u32_e64 s[6:7], s8, v18
	s_and_b64 exec, exec, s[6:7]
	s_cbranch_execz .LBB135_62
; %bb.27:
	v_mul_lo_u32 v18, v18, s10
	s_and_saveexec_b64 s[6:7], vcc
	s_cbranch_execnz .LBB135_66
; %bb.28:
	s_or_b64 exec, exec, s[6:7]
	s_and_saveexec_b64 s[6:7], s[0:1]
	s_cbranch_execnz .LBB135_67
.LBB135_29:
	s_or_b64 exec, exec, s[6:7]
	s_and_saveexec_b64 s[6:7], s[2:3]
	s_cbranch_execnz .LBB135_68
.LBB135_30:
	s_or_b64 exec, exec, s[6:7]
	s_and_saveexec_b64 s[6:7], s[4:5]
	s_cbranch_execz .LBB135_32
.LBB135_31:
	v_add_u32_e32 v18, v18, v23
	v_mov_b32_e32 v19, 0
	s_waitcnt lgkmcnt(0)
	v_lshl_add_u64 v[18:19], v[18:19], 2, s[12:13]
	global_store_dword v[18:19], v21, off
.LBB135_32:
	s_or_b64 exec, exec, s[6:7]
	v_add3_u32 v18, v1, s11, 24
	v_cmp_gt_u32_e64 s[6:7], s8, v18
	s_and_b64 exec, exec, s[6:7]
	s_cbranch_execz .LBB135_62
; %bb.33:
	v_mul_lo_u32 v18, v18, s10
	s_and_saveexec_b64 s[6:7], vcc
	s_cbranch_execnz .LBB135_69
; %bb.34:
	s_or_b64 exec, exec, s[6:7]
	s_and_saveexec_b64 s[6:7], s[0:1]
	s_cbranch_execnz .LBB135_70
.LBB135_35:
	s_or_b64 exec, exec, s[6:7]
	s_and_saveexec_b64 s[6:7], s[2:3]
	s_cbranch_execnz .LBB135_71
.LBB135_36:
	s_or_b64 exec, exec, s[6:7]
	s_and_saveexec_b64 s[6:7], s[4:5]
	s_cbranch_execz .LBB135_38
.LBB135_37:
	v_add_u32_e32 v18, v18, v23
	v_mov_b32_e32 v19, 0
	s_waitcnt lgkmcnt(0)
	v_lshl_add_u64 v[18:19], v[18:19], 2, s[12:13]
	global_store_dword v[18:19], v20, off
.LBB135_38:
	s_or_b64 exec, exec, s[6:7]
	v_add3_u32 v18, v1, s11, 32
	v_cmp_gt_u32_e64 s[6:7], s8, v18
	s_and_b64 exec, exec, s[6:7]
	s_cbranch_execz .LBB135_62
; %bb.39:
	v_mul_lo_u32 v18, v18, s10
	s_and_saveexec_b64 s[6:7], vcc
	s_cbranch_execnz .LBB135_72
; %bb.40:
	s_or_b64 exec, exec, s[6:7]
	s_and_saveexec_b64 s[6:7], s[0:1]
	s_cbranch_execnz .LBB135_73
.LBB135_41:
	s_or_b64 exec, exec, s[6:7]
	s_and_saveexec_b64 s[6:7], s[2:3]
	s_cbranch_execnz .LBB135_74
.LBB135_42:
	s_or_b64 exec, exec, s[6:7]
	s_and_saveexec_b64 s[6:7], s[4:5]
	s_cbranch_execz .LBB135_44
.LBB135_43:
	v_add_u32_e32 v18, v18, v23
	v_mov_b32_e32 v19, 0
	s_waitcnt lgkmcnt(0)
	v_lshl_add_u64 v[18:19], v[18:19], 2, s[12:13]
	global_store_dword v[18:19], v3, off
.LBB135_44:
	s_or_b64 exec, exec, s[6:7]
	v_add3_u32 v3, v1, s11, 40
	v_cmp_gt_u32_e64 s[6:7], s8, v3
	s_and_b64 exec, exec, s[6:7]
	s_cbranch_execz .LBB135_62
; %bb.45:
	v_mul_lo_u32 v3, v3, s10
	s_and_saveexec_b64 s[6:7], vcc
	s_cbranch_execnz .LBB135_75
; %bb.46:
	s_or_b64 exec, exec, s[6:7]
	s_and_saveexec_b64 s[6:7], s[0:1]
	s_cbranch_execnz .LBB135_76
.LBB135_47:
	s_or_b64 exec, exec, s[6:7]
	s_and_saveexec_b64 s[6:7], s[2:3]
	s_cbranch_execnz .LBB135_77
.LBB135_48:
	s_or_b64 exec, exec, s[6:7]
	s_and_saveexec_b64 s[6:7], s[4:5]
	s_cbranch_execz .LBB135_50
.LBB135_49:
	v_add_u32_e32 v6, v3, v23
	v_mov_b32_e32 v7, 0
	s_waitcnt lgkmcnt(0)
	v_lshl_add_u64 v[6:7], v[6:7], 2, s[12:13]
	global_store_dword v[6:7], v2, off
.LBB135_50:
	s_or_b64 exec, exec, s[6:7]
	v_add3_u32 v2, v1, s11, 48
	v_cmp_gt_u32_e64 s[6:7], s8, v2
	s_and_b64 exec, exec, s[6:7]
	s_cbranch_execz .LBB135_62
; %bb.51:
	v_mul_lo_u32 v2, v2, s10
	s_and_saveexec_b64 s[6:7], vcc
	s_cbranch_execnz .LBB135_78
; %bb.52:
	s_or_b64 exec, exec, s[6:7]
	s_and_saveexec_b64 s[6:7], s[0:1]
	s_cbranch_execnz .LBB135_79
.LBB135_53:
	s_or_b64 exec, exec, s[6:7]
	s_and_saveexec_b64 s[6:7], s[2:3]
	s_cbranch_execnz .LBB135_80
.LBB135_54:
	s_or_b64 exec, exec, s[6:7]
	s_and_saveexec_b64 s[6:7], s[4:5]
	s_cbranch_execz .LBB135_56
.LBB135_55:
	v_add_u32_e32 v2, v2, v23
	v_mov_b32_e32 v3, 0
	s_waitcnt lgkmcnt(0)
	v_lshl_add_u64 v[2:3], v[2:3], 2, s[12:13]
	global_store_dword v[2:3], v5, off
.LBB135_56:
	s_or_b64 exec, exec, s[6:7]
	v_add3_u32 v1, v1, s11, 56
	v_cmp_gt_u32_e64 s[6:7], s8, v1
	s_and_b64 exec, exec, s[6:7]
	s_cbranch_execz .LBB135_62
; %bb.57:
	v_mul_lo_u32 v1, v1, s10
	s_and_saveexec_b64 s[6:7], vcc
	s_cbranch_execnz .LBB135_81
; %bb.58:
	s_or_b64 exec, exec, s[6:7]
	s_and_saveexec_b64 s[6:7], s[0:1]
	s_cbranch_execnz .LBB135_82
.LBB135_59:
	s_or_b64 exec, exec, s[6:7]
	s_and_saveexec_b64 s[0:1], s[2:3]
	s_cbranch_execnz .LBB135_83
.LBB135_60:
	s_or_b64 exec, exec, s[0:1]
	s_and_b64 exec, exec, s[4:5]
	s_cbranch_execz .LBB135_62
.LBB135_61:
	v_add_u32_e32 v0, v1, v23
	v_mov_b32_e32 v1, 0
	s_waitcnt lgkmcnt(0)
	v_lshl_add_u64 v[0:1], v[0:1], 2, s[12:13]
	global_store_dword v[0:1], v4, off
.LBB135_62:
	s_endpgm
.LBB135_63:
	v_add_u32_e32 v34, v19, v0
	v_mov_b32_e32 v35, 0
	s_waitcnt lgkmcnt(0)
	v_lshl_add_u64 v[34:35], v[34:35], 2, s[12:13]
	global_store_dword v[34:35], v26, off
	s_or_b64 exec, exec, s[6:7]
	s_and_saveexec_b64 s[6:7], s[0:1]
	s_cbranch_execz .LBB135_23
.LBB135_64:
	v_add_u32_e32 v34, v19, v27
	v_mov_b32_e32 v35, 0
	s_waitcnt lgkmcnt(0)
	v_lshl_add_u64 v[34:35], v[34:35], 2, s[12:13]
	global_store_dword v[34:35], v30, off
	s_or_b64 exec, exec, s[6:7]
	s_and_saveexec_b64 s[6:7], s[2:3]
	s_cbranch_execz .LBB135_24
.LBB135_65:
	v_add_u32_e32 v34, v19, v31
	v_mov_b32_e32 v35, 0
	s_waitcnt lgkmcnt(0)
	v_lshl_add_u64 v[34:35], v[34:35], 2, s[12:13]
	global_store_dword v[34:35], v22, off
	s_or_b64 exec, exec, s[6:7]
	s_and_saveexec_b64 s[6:7], s[4:5]
	s_cbranch_execnz .LBB135_25
	s_branch .LBB135_26
.LBB135_66:
	v_add_u32_e32 v34, v18, v0
	v_mov_b32_e32 v35, 0
	s_waitcnt lgkmcnt(0)
	v_lshl_add_u64 v[34:35], v[34:35], 2, s[12:13]
	global_store_dword v[34:35], v29, off
	s_or_b64 exec, exec, s[6:7]
	s_and_saveexec_b64 s[6:7], s[0:1]
	s_cbranch_execz .LBB135_29
.LBB135_67:
	v_add_u32_e32 v34, v18, v27
	v_mov_b32_e32 v35, 0
	s_waitcnt lgkmcnt(0)
	v_lshl_add_u64 v[34:35], v[34:35], 2, s[12:13]
	global_store_dword v[34:35], v33, off
	s_or_b64 exec, exec, s[6:7]
	s_and_saveexec_b64 s[6:7], s[2:3]
	s_cbranch_execz .LBB135_30
.LBB135_68:
	v_add_u32_e32 v34, v18, v31
	v_mov_b32_e32 v35, 0
	s_waitcnt lgkmcnt(0)
	v_lshl_add_u64 v[34:35], v[34:35], 2, s[12:13]
	global_store_dword v[34:35], v25, off
	s_or_b64 exec, exec, s[6:7]
	s_and_saveexec_b64 s[6:7], s[4:5]
	s_cbranch_execnz .LBB135_31
	s_branch .LBB135_32
.LBB135_69:
	v_add_u32_e32 v34, v18, v0
	v_mov_b32_e32 v35, 0
	s_waitcnt lgkmcnt(0)
	v_lshl_add_u64 v[34:35], v[34:35], 2, s[12:13]
	global_store_dword v[34:35], v28, off
	s_or_b64 exec, exec, s[6:7]
	s_and_saveexec_b64 s[6:7], s[0:1]
	s_cbranch_execz .LBB135_35
.LBB135_70:
	v_add_u32_e32 v28, v18, v27
	v_mov_b32_e32 v29, 0
	s_waitcnt lgkmcnt(0)
	v_lshl_add_u64 v[28:29], v[28:29], 2, s[12:13]
	global_store_dword v[28:29], v32, off
	s_or_b64 exec, exec, s[6:7]
	s_and_saveexec_b64 s[6:7], s[2:3]
	s_cbranch_execz .LBB135_36
.LBB135_71:
	v_add_u32_e32 v28, v18, v31
	v_mov_b32_e32 v29, 0
	s_waitcnt lgkmcnt(0)
	v_lshl_add_u64 v[28:29], v[28:29], 2, s[12:13]
	global_store_dword v[28:29], v24, off
	s_or_b64 exec, exec, s[6:7]
	s_and_saveexec_b64 s[6:7], s[4:5]
	s_cbranch_execnz .LBB135_37
	s_branch .LBB135_38
.LBB135_72:
	v_add_u32_e32 v20, v18, v0
	v_mov_b32_e32 v21, 0
	s_waitcnt lgkmcnt(0)
	v_lshl_add_u64 v[20:21], v[20:21], 2, s[12:13]
	global_store_dword v[20:21], v15, off
	s_or_b64 exec, exec, s[6:7]
	s_and_saveexec_b64 s[6:7], s[0:1]
	s_cbranch_execz .LBB135_41
.LBB135_73:
	v_add_u32_e32 v20, v18, v27
	v_mov_b32_e32 v21, 0
	s_waitcnt lgkmcnt(0)
	v_lshl_add_u64 v[20:21], v[20:21], 2, s[12:13]
	global_store_dword v[20:21], v11, off
	s_or_b64 exec, exec, s[6:7]
	s_and_saveexec_b64 s[6:7], s[2:3]
	s_cbranch_execz .LBB135_42
.LBB135_74:
	v_add_u32_e32 v20, v18, v31
	v_mov_b32_e32 v21, 0
	s_waitcnt lgkmcnt(0)
	v_lshl_add_u64 v[20:21], v[20:21], 2, s[12:13]
	global_store_dword v[20:21], v7, off
	s_or_b64 exec, exec, s[6:7]
	s_and_saveexec_b64 s[6:7], s[4:5]
	s_cbranch_execnz .LBB135_43
	s_branch .LBB135_44
.LBB135_75:
	v_add_u32_e32 v18, v3, v0
	v_mov_b32_e32 v19, 0
	s_waitcnt lgkmcnt(0)
	v_lshl_add_u64 v[18:19], v[18:19], 2, s[12:13]
	global_store_dword v[18:19], v14, off
	s_or_b64 exec, exec, s[6:7]
	s_and_saveexec_b64 s[6:7], s[0:1]
	s_cbranch_execz .LBB135_47
.LBB135_76:
	v_add_u32_e32 v14, v3, v27
	v_mov_b32_e32 v15, 0
	s_waitcnt lgkmcnt(0)
	v_lshl_add_u64 v[14:15], v[14:15], 2, s[12:13]
	global_store_dword v[14:15], v10, off
	s_or_b64 exec, exec, s[6:7]
	s_and_saveexec_b64 s[6:7], s[2:3]
	s_cbranch_execz .LBB135_48
.LBB135_77:
	v_add_u32_e32 v10, v3, v31
	v_mov_b32_e32 v11, 0
	s_waitcnt lgkmcnt(0)
	v_lshl_add_u64 v[10:11], v[10:11], 2, s[12:13]
	global_store_dword v[10:11], v6, off
	s_or_b64 exec, exec, s[6:7]
	s_and_saveexec_b64 s[6:7], s[4:5]
	s_cbranch_execnz .LBB135_49
	s_branch .LBB135_50
.LBB135_78:
	v_add_u32_e32 v6, v2, v0
	v_mov_b32_e32 v7, 0
	s_waitcnt lgkmcnt(0)
	v_lshl_add_u64 v[6:7], v[6:7], 2, s[12:13]
	global_store_dword v[6:7], v17, off
	s_or_b64 exec, exec, s[6:7]
	s_and_saveexec_b64 s[6:7], s[0:1]
	s_cbranch_execz .LBB135_53
.LBB135_79:
	v_add_u32_e32 v6, v2, v27
	v_mov_b32_e32 v7, 0
	s_waitcnt lgkmcnt(0)
	v_lshl_add_u64 v[6:7], v[6:7], 2, s[12:13]
	global_store_dword v[6:7], v13, off
	s_or_b64 exec, exec, s[6:7]
	s_and_saveexec_b64 s[6:7], s[2:3]
	s_cbranch_execz .LBB135_54
.LBB135_80:
	v_add_u32_e32 v6, v2, v31
	v_mov_b32_e32 v7, 0
	s_waitcnt lgkmcnt(0)
	v_lshl_add_u64 v[6:7], v[6:7], 2, s[12:13]
	global_store_dword v[6:7], v9, off
	s_or_b64 exec, exec, s[6:7]
	s_and_saveexec_b64 s[6:7], s[4:5]
	s_cbranch_execnz .LBB135_55
	s_branch .LBB135_56
.LBB135_81:
	v_add_u32_e32 v2, v1, v0
	v_mov_b32_e32 v3, 0
	s_waitcnt lgkmcnt(0)
	v_lshl_add_u64 v[2:3], v[2:3], 2, s[12:13]
	global_store_dword v[2:3], v16, off
	s_or_b64 exec, exec, s[6:7]
	s_and_saveexec_b64 s[6:7], s[0:1]
	s_cbranch_execz .LBB135_59
.LBB135_82:
	v_add_u32_e32 v2, v1, v27
	v_mov_b32_e32 v3, 0
	s_waitcnt lgkmcnt(0)
	v_lshl_add_u64 v[2:3], v[2:3], 2, s[12:13]
	global_store_dword v[2:3], v12, off
	s_or_b64 exec, exec, s[6:7]
	s_and_saveexec_b64 s[0:1], s[2:3]
	s_cbranch_execz .LBB135_60
.LBB135_83:
	v_add_u32_e32 v2, v1, v31
	v_mov_b32_e32 v3, 0
	s_waitcnt lgkmcnt(0)
	v_lshl_add_u64 v[2:3], v[2:3], 2, s[12:13]
	global_store_dword v[2:3], v8, off
	s_or_b64 exec, exec, s[0:1]
	s_and_b64 exec, exec, s[4:5]
	s_cbranch_execnz .LBB135_61
	s_branch .LBB135_62
	.section	.rodata,"a",@progbits
	.p2align	6, 0x0
	.amdhsa_kernel _ZL12mul_mat_q6_KIfLb0EEvPKvS1_PT_iiiii
		.amdhsa_group_segment_fixed_size 45136
		.amdhsa_private_segment_fixed_size 196
		.amdhsa_kernarg_size 44
		.amdhsa_user_sgpr_count 2
		.amdhsa_user_sgpr_dispatch_ptr 0
		.amdhsa_user_sgpr_queue_ptr 0
		.amdhsa_user_sgpr_kernarg_segment_ptr 1
		.amdhsa_user_sgpr_dispatch_id 0
		.amdhsa_user_sgpr_kernarg_preload_length 0
		.amdhsa_user_sgpr_kernarg_preload_offset 0
		.amdhsa_user_sgpr_private_segment_size 0
		.amdhsa_uses_dynamic_stack 0
		.amdhsa_enable_private_segment 1
		.amdhsa_system_sgpr_workgroup_id_x 1
		.amdhsa_system_sgpr_workgroup_id_y 1
		.amdhsa_system_sgpr_workgroup_id_z 0
		.amdhsa_system_sgpr_workgroup_info 0
		.amdhsa_system_vgpr_workitem_id 1
		.amdhsa_next_free_vgpr 256
		.amdhsa_next_free_sgpr 96
		.amdhsa_accum_offset 256
		.amdhsa_reserve_vcc 1
		.amdhsa_float_round_mode_32 0
		.amdhsa_float_round_mode_16_64 0
		.amdhsa_float_denorm_mode_32 3
		.amdhsa_float_denorm_mode_16_64 3
		.amdhsa_dx10_clamp 1
		.amdhsa_ieee_mode 1
		.amdhsa_fp16_overflow 0
		.amdhsa_tg_split 0
		.amdhsa_exception_fp_ieee_invalid_op 0
		.amdhsa_exception_fp_denorm_src 0
		.amdhsa_exception_fp_ieee_div_zero 0
		.amdhsa_exception_fp_ieee_overflow 0
		.amdhsa_exception_fp_ieee_underflow 0
		.amdhsa_exception_fp_ieee_inexact 0
		.amdhsa_exception_int_div_zero 0
	.end_amdhsa_kernel
	.section	.text._ZL12mul_mat_q6_KIfLb0EEvPKvS1_PT_iiiii,"axG",@progbits,_ZL12mul_mat_q6_KIfLb0EEvPKvS1_PT_iiiii,comdat
.Lfunc_end135:
	.size	_ZL12mul_mat_q6_KIfLb0EEvPKvS1_PT_iiiii, .Lfunc_end135-_ZL12mul_mat_q6_KIfLb0EEvPKvS1_PT_iiiii
                                        ; -- End function
	.set _ZL12mul_mat_q6_KIfLb0EEvPKvS1_PT_iiiii.num_vgpr, 256
	.set _ZL12mul_mat_q6_KIfLb0EEvPKvS1_PT_iiiii.num_agpr, 0
	.set _ZL12mul_mat_q6_KIfLb0EEvPKvS1_PT_iiiii.numbered_sgpr, 22
	.set _ZL12mul_mat_q6_KIfLb0EEvPKvS1_PT_iiiii.num_named_barrier, 0
	.set _ZL12mul_mat_q6_KIfLb0EEvPKvS1_PT_iiiii.private_seg_size, 196
	.set _ZL12mul_mat_q6_KIfLb0EEvPKvS1_PT_iiiii.uses_vcc, 1
	.set _ZL12mul_mat_q6_KIfLb0EEvPKvS1_PT_iiiii.uses_flat_scratch, 0
	.set _ZL12mul_mat_q6_KIfLb0EEvPKvS1_PT_iiiii.has_dyn_sized_stack, 0
	.set _ZL12mul_mat_q6_KIfLb0EEvPKvS1_PT_iiiii.has_recursion, 0
	.set _ZL12mul_mat_q6_KIfLb0EEvPKvS1_PT_iiiii.has_indirect_call, 0
	.section	.AMDGPU.csdata,"",@progbits
; Kernel info:
; codeLenInByte = 19256
; TotalNumSgprs: 28
; NumVgprs: 256
; NumAgprs: 0
; TotalNumVgprs: 256
; ScratchSize: 196
; MemoryBound: 0
; FloatMode: 240
; IeeeMode: 1
; LDSByteSize: 45136 bytes/workgroup (compile time only)
; SGPRBlocks: 12
; VGPRBlocks: 31
; NumSGPRsForWavesPerEU: 102
; NumVGPRsForWavesPerEU: 256
; AccumOffset: 256
; Occupancy: 2
; WaveLimiterHint : 0
; COMPUTE_PGM_RSRC2:SCRATCH_EN: 1
; COMPUTE_PGM_RSRC2:USER_SGPR: 2
; COMPUTE_PGM_RSRC2:TRAP_HANDLER: 0
; COMPUTE_PGM_RSRC2:TGID_X_EN: 1
; COMPUTE_PGM_RSRC2:TGID_Y_EN: 1
; COMPUTE_PGM_RSRC2:TGID_Z_EN: 0
; COMPUTE_PGM_RSRC2:TIDIG_COMP_CNT: 1
; COMPUTE_PGM_RSRC3_GFX90A:ACCUM_OFFSET: 63
; COMPUTE_PGM_RSRC3_GFX90A:TG_SPLIT: 0
	.section	.text._ZL12mul_mat_q6_KIfLb1EEvPKvS1_PT_iiiii,"axG",@progbits,_ZL12mul_mat_q6_KIfLb1EEvPKvS1_PT_iiiii,comdat
	.globl	_ZL12mul_mat_q6_KIfLb1EEvPKvS1_PT_iiiii ; -- Begin function _ZL12mul_mat_q6_KIfLb1EEvPKvS1_PT_iiiii
	.p2align	8
	.type	_ZL12mul_mat_q6_KIfLb1EEvPKvS1_PT_iiiii,@function
_ZL12mul_mat_q6_KIfLb1EEvPKvS1_PT_iiiii: ; @_ZL12mul_mat_q6_KIfLb1EEvPKvS1_PT_iiiii
; %bb.0:
	s_load_dwordx4 s[8:11], s[0:1], 0x18
	s_load_dword s14, s[0:1], 0x28
	s_lshl_b32 s15, s3, 6
	v_bfe_u32 v35, v0, 10, 10
	s_waitcnt lgkmcnt(0)
	s_cmpk_gt_i32 s8, 0xff
	s_cbranch_scc1 .LBB136_2
; %bb.1:
	v_bfe_u32 v1, v0, 10, 10
	v_and_b32_e32 v34, 0x3ff, v0
	v_add_u32_e32 v36, s15, v1
	s_mov_b64 s[4:5], 0
	s_branch .LBB136_3
.LBB136_2:
	s_mov_b64 s[4:5], -1
                                        ; implicit-def: $vgpr1
                                        ; implicit-def: $vgpr34
                                        ; implicit-def: $vgpr36
.LBB136_3:
	s_load_dwordx2 s[12:13], s[0:1], 0x10
	s_lshl_b32 s6, s2, 7
	v_mov_b32_e32 v5, 0
	s_andn2_b64 vcc, exec, s[4:5]
	v_mov_b32_e32 v4, 0
	v_mov_b32_e32 v3, 0
	;; [unrolled: 1-line block ×31, first 2 shown]
	s_cbranch_vccnz .LBB136_11
; %bb.4:
	s_ashr_i32 s4, s8, 31
	s_load_dwordx4 s[0:3], s[0:1], 0x0
	s_lshr_b32 s4, s4, 24
	s_add_i32 s4, s8, s4
	s_ashr_i32 s5, s11, 31
	s_ashr_i32 s4, s4, 8
	s_lshr_b32 s5, s5, 27
	s_add_i32 s5, s11, s5
	s_mul_i32 s7, s4, s6
	v_lshrrev_b32_e32 v3, 1, v0
	v_and_b32_e32 v4, 7, v0
	s_ashr_i32 s11, s5, 5
	s_mul_hi_i32 s8, s7, 0xd2
	s_mulk_i32 s7, 0xd2
	v_and_b32_e32 v1, 31, v0
	v_and_or_b32 v3, v3, 8, v4
	s_waitcnt lgkmcnt(0)
	s_add_u32 s7, s0, s7
	v_lshlrev_b32_e32 v54, 2, v3
	v_add_u16_e32 v3, -16, v1
	v_cmp_gt_u32_e32 vcc, 16, v1
	s_addc_u32 s8, s1, s8
	s_not_b32 s0, s6
	v_lshlrev_b32_e32 v2, 1, v1
	v_lshlrev_b32_e32 v52, 2, v1
	v_cndmask_b32_e32 v1, v3, v1, vcc
	s_add_i32 s18, s9, s0
	v_cmp_lt_u16_e64 s[0:1], 7, v1
	v_add_u32_e32 v1, 0xe0, v2
	v_cndmask_b32_e32 v1, v1, v2, vcc
	v_and_b32_e32 v1, 0xfe, v1
	v_sub_u32_e32 v1, v2, v1
	v_and_b32_e32 v2, 15, v0
	v_min_i32_e32 v3, s18, v35
	v_cndmask_b32_e64 v61, 0, 2, s[0:1]
	v_mul_lo_u32 v4, v3, s4
	v_add_lshl_u32 v2, v1, v2, 2
	s_movk_i32 s0, 0x104
	scratch_store_dwordx2 off, v[4:5], off offset:16 ; 8-byte Folded Spill
	v_mad_u64_u32 v[4:5], s[16:17], v3, s0, v[2:3]
	v_add_u32_e32 v3, 8, v35
	v_min_i32_e32 v1, s18, v3
	scratch_store_dwordx2 off, v[4:5], off offset:24 ; 8-byte Folded Spill
	v_mul_lo_u32 v4, v1, s4
	v_add_u32_e32 v8, 16, v35
	scratch_store_dwordx2 off, v[4:5], off offset:32 ; 8-byte Folded Spill
	v_mad_u64_u32 v[4:5], s[16:17], v1, s0, v[2:3]
	v_min_i32_e32 v1, s18, v8
	scratch_store_dwordx2 off, v[4:5], off offset:40 ; 8-byte Folded Spill
	v_mul_lo_u32 v4, v1, s4
	v_add_u32_e32 v9, 24, v35
	scratch_store_dwordx2 off, v[4:5], off offset:48 ; 8-byte Folded Spill
	v_mad_u64_u32 v[4:5], s[16:17], v1, s0, v[2:3]
	;; [unrolled: 6-line block ×6, first 2 shown]
	v_min_i32_e32 v1, s18, v13
	scratch_store_dwordx2 off, v[4:5], off offset:120 ; 8-byte Folded Spill
	v_mul_lo_u32 v4, v1, s4
	scratch_store_dwordx2 off, v[4:5], off offset:128 ; 8-byte Folded Spill
	v_mad_u64_u32 v[4:5], s[16:17], v1, s0, v[2:3]
	v_add_u32_e32 v1, 64, v35
	v_min_i32_e32 v1, s18, v1
	scratch_store_dwordx2 off, v[4:5], off offset:136 ; 8-byte Folded Spill
	v_mul_lo_u32 v4, v1, s4
	scratch_store_dwordx2 off, v[4:5], off offset:144 ; 8-byte Folded Spill
	v_mad_u64_u32 v[4:5], s[16:17], v1, s0, v[2:3]
	v_add_u32_e32 v1, 0x48, v35
	;; [unrolled: 6-line block ×8, first 2 shown]
	v_min_i32_e32 v1, s18, v1
	v_and_b32_e32 v26, 0x3ff, v0
	scratch_store_dwordx2 off, v[4:5], off offset:248 ; 8-byte Folded Spill
	v_mul_lo_u32 v4, v1, s4
	v_lshlrev_b32_e32 v63, 5, v35
	scratch_store_dwordx2 off, v[4:5], off offset:256 ; 8-byte Folded Spill
	v_mad_u64_u32 v[4:5], s[16:17], v1, s0, v[2:3]
	v_add_u32_e32 v1, v63, v26
	v_and_b32_e32 v1, 0x7f, v1
	v_min_i32_e32 v1, s18, v1
	v_mul_lo_u32 v2, v1, s4
	scratch_store_dwordx2 off, v[2:3], off offset:272 ; 8-byte Folded Spill
	v_ashrrev_i32_e32 v2, 31, v1
	v_lshrrev_b32_e32 v2, 27, v2
	v_add_u32_e32 v2, v1, v2
	v_ashrrev_i32_e32 v2, 5, v2
	v_lshlrev_b32_e32 v2, 2, v2
	v_lshlrev_b32_e32 v1, 2, v1
	s_mov_b32 s1, 0xae40
	v_add3_u32 v1, v2, v1, s1
	scratch_store_dword off, v1, off offset:280 ; 4-byte Folded Spill
	v_bfe_u32 v1, v0, 2, 8
	v_lshl_add_u32 v1, v35, 3, v1
	scratch_store_dwordx2 off, v[4:5], off offset:264 ; 8-byte Folded Spill
	v_and_b32_e32 v4, 0x7f, v1
	v_min_i32_e32 v4, s18, v4
	v_ashrrev_i32_e32 v5, 31, v4
	v_lshrrev_b32_e32 v5, 29, v5
	v_mul_lo_u32 v6, v4, s4
	v_add_u32_e32 v5, v4, v5
	v_lshlrev_b32_e32 v15, 4, v4
	v_mov_b32_e32 v4, 0x7f
	v_and_b32_e32 v2, 3, v0
	v_ashrrev_i32_e32 v5, 3, v5
	v_bitop3_b32 v4, v1, 64, v4 bitop3:0x6c
	v_lshlrev_b32_e32 v122, 2, v2
	v_lshlrev_b32_e32 v5, 2, v5
	s_mov_b32 s16, 0xa200
	v_min_i32_e32 v4, s18, v4
	v_add3_u32 v14, v5, v122, s16
	v_ashrrev_i32_e32 v5, 31, v4
	v_lshrrev_b32_e32 v5, 29, v5
	v_add_u32_e32 v5, v4, v5
	v_ashrrev_i32_e32 v5, 3, v5
	v_and_b32_e32 v1, 63, v1
	v_lshlrev_b32_e32 v5, 2, v5
	v_or_b32_e32 v19, s15, v1
	v_lshl_or_b32 v1, v1, 4, v122
	v_add3_u32 v16, v5, v122, s16
	v_add_u32_e32 v25, s15, v35
	s_add_i32 s16, s10, -1
	v_add_u32_e32 v1, 0xaa40, v1
	v_bfe_u32 v28, v0, 5, 5
	scratch_store_dwordx2 off, v[6:7], off offset:284 ; 8-byte Folded Spill
	v_mul_lo_u32 v6, v4, s4
	v_lshlrev_b32_e32 v17, 4, v4
	v_cvt_f64_i32_e32 v[4:5], s16
	scratch_store_dword off, v1, off        ; 4-byte Folded Spill
	v_bfe_u32 v71, v0, 3, 7
	v_cvt_f64_u32_e32 v[0:1], v25
	v_min_f64 v[0:1], v[0:1], v[4:5]
	v_min_i32_e32 v19, s16, v19
	v_cvt_i32_f64_e32 v0, v[0:1]
	v_mad_u64_u32 v[20:21], s[16:17], v19, s11, v[2:3]
	v_mul_lo_u32 v0, s11, v0
	scratch_store_dwordx2 off, v[6:7], off offset:292 ; 8-byte Folded Spill
	scratch_store_dwordx2 off, v[20:21], off offset:300 ; 8-byte Folded Spill
	scratch_store_dword off, v0, off offset:4 ; 4-byte Folded Spill
	scratch_store_dword off, v35, off offset:320 ; 4-byte Folded Spill
	v_add_u32_e32 v0, 8, v25
	v_cvt_f64_u32_e32 v[0:1], v0
	v_min_f64 v[0:1], v[0:1], v[4:5]
	v_cvt_i32_f64_e32 v0, v[0:1]
	v_mul_lo_u32 v75, s11, v0
	v_add_u32_e32 v0, 16, v25
	v_cvt_f64_u32_e32 v[0:1], v0
	v_min_f64 v[0:1], v[0:1], v[4:5]
	v_cvt_i32_f64_e32 v0, v[0:1]
	v_mul_lo_u32 v77, s11, v0
	;; [unrolled: 5-line block ×7, first 2 shown]
	v_mov_b32_e32 v0, v28
	v_lshlrev_b32_e32 v67, 2, v26
	scratch_store_dwordx2 off, v[0:1], off offset:8 ; 8-byte Folded Spill
	v_lshlrev_b32_e32 v0, 2, v28
	v_add3_u32 v73, v0, v67, s1
	v_add_u32_e32 v0, 32, v26
	v_lshrrev_b32_e32 v91, 3, v0
	v_lshlrev_b32_e32 v5, 2, v0
	v_and_b32_e32 v0, 60, v91
	v_add3_u32 v93, v67, v0, s1
	v_add_u32_e32 v0, 64, v26
	v_lshrrev_b32_e32 v95, 3, v0
	scratch_store_dword off, v25, off offset:324 ; 4-byte Folded Spill
	v_lshlrev_b32_e32 v25, 2, v0
	v_and_b32_e32 v0, 60, v95
	v_add3_u32 v50, v67, v0, s1
	v_add_u32_e32 v0, 0x60, v26
	v_lshrrev_b32_e32 v99, 3, v0
	v_lshlrev_b32_e32 v30, 2, v0
	v_and_b32_e32 v0, 60, v99
	v_add3_u32 v101, v67, v0, s1
	v_mov_b32_e32 v0, 0x2080
	v_mad_u32_u24 v119, v26, s0, v0
	v_mov_b32_e32 v0, 0x4100
	v_mov_b32_e32 v53, 0
	v_lshlrev_b32_e32 v19, 7, v3
	v_lshlrev_b32_e32 v103, 5, v3
	v_mad_u32_u24 v121, v26, s0, v0
	v_mov_b32_e32 v0, 0x6180
	v_add_u32_e32 v3, v14, v15
	v_and_b32_e32 v6, 28, v67
	v_mov_b32_e32 v7, v53
	v_or_b32_e32 v18, 0x8200, v52
	v_lshlrev_b32_e32 v2, 7, v35
	v_lshlrev_b32_e32 v20, 7, v8
	;; [unrolled: 1-line block ×7, first 2 shown]
	v_mul_u32_u24_e32 v117, 0x104, v26
	scratch_store_dword off, v26, off offset:316 ; 4-byte Folded Spill
	v_mad_u32_u24 v125, v26, s0, v0
	v_mov_b32_e32 v26, v53
	v_mov_b32_e32 v27, v53
	;; [unrolled: 1-line block ×4, first 2 shown]
	scratch_store_dword off, v3, off offset:308 ; 4-byte Folded Spill
	v_add_u32_e32 v3, v16, v17
	v_lshlrev_b32_e32 v105, 5, v8
	v_lshlrev_b32_e32 v107, 5, v9
	;; [unrolled: 1-line block ×6, first 2 shown]
	v_lshl_add_u64 v[0:1], s[2:3], 0, v[6:7]
	scratch_store_dword off, v3, off offset:312 ; 4-byte Folded Spill
	v_add_u32_e32 v218, v18, v2
	v_add_u32_e32 v219, v18, v19
	;; [unrolled: 1-line block ×8, first 2 shown]
	v_lshlrev_b32_e32 v226, 2, v5
	v_lshlrev_b32_e32 v227, 2, v25
	;; [unrolled: 1-line block ×3, first 2 shown]
	v_mov_b64_e32 v[14:15], v[26:27]
	v_mov_b64_e32 v[32:33], v[28:29]
	;; [unrolled: 1-line block ×7, first 2 shown]
	s_movk_i32 s5, 0xd2
	v_mov_b32_e32 v55, v53
	s_mov_b32 s9, 0
	v_mov_b32_e32 v123, v53
	s_mov_b32 s11, 0x30303030
	s_movk_i32 s16, 0xe000
	s_movk_i32 s17, 0x3f00
	v_mov_b64_e32 v[16:17], v[28:29]
	v_mov_b64_e32 v[30:31], v[26:27]
	;; [unrolled: 1-line block ×7, first 2 shown]
.LBB136_5:                              ; =>This Loop Header: Depth=1
                                        ;     Child Loop BB136_6 Depth 2
                                        ;     Child Loop BB136_8 Depth 2
	scratch_load_dwordx2 v[36:37], off, off offset:8 ; 8-byte Folded Reload
	scratch_load_dwordx2 v[38:39], off, off offset:16 ; 8-byte Folded Reload
	;; [unrolled: 1-line block ×3, first 2 shown]
	s_mul_i32 s0, s9, 0xd2
	s_mul_hi_u32 s1, s9, 0xd2
	s_add_u32 s0, s7, s0
	s_addc_u32 s1, s8, s1
	v_mov_b64_e32 v[34:35], s[0:1]
	s_lshl_b32 s18, s9, 3
	s_mov_b32 s20, 0
	s_waitcnt vmcnt(2)
	v_mad_u64_u32 v[36:37], s[0:1], v36, s5, v[34:35]
	s_waitcnt vmcnt(1)
	v_mad_i64_i32 v[38:39], s[0:1], v38, s5, v[36:37]
	s_waitcnt vmcnt(0)
	v_mad_i64_i32 v[42:43], s[0:1], v42, s5, v[36:37]
	v_lshl_add_u64 v[40:41], v[38:39], 0, v[52:53]
	v_lshl_add_u64 v[44:45], v[42:43], 0, v[52:53]
	;; [unrolled: 1-line block ×3, first 2 shown]
	global_load_dword v46, v[40:41], off
	global_load_dword v47, v[38:39], off offset:128
	s_nop 0
	global_load_dword v44, v[44:45], off
	v_lshl_add_u64 v[38:39], v[42:43], 0, v[54:55]
	scratch_load_dwordx2 v[40:41], off, off offset:48 ; 8-byte Folded Reload
	s_waitcnt vmcnt(0)
	v_mad_i64_i32 v[40:41], s[0:1], v40, s5, v[36:37]
	v_lshl_add_u64 v[42:43], v[40:41], 0, v[52:53]
	global_load_dword v45, v[38:39], off offset:128
	s_nop 0
	global_load_dword v42, v[42:43], off
	v_lshl_add_u64 v[38:39], v[40:41], 0, v[54:55]
	global_load_dword v43, v[38:39], off offset:128
	s_nop 0
	scratch_load_dwordx2 v[38:39], off, off offset:64 ; 8-byte Folded Reload
	s_waitcnt vmcnt(3)
	v_ashrrev_i32_e32 v45, v61, v45
	v_lshlrev_b32_e32 v51, 4, v45
	s_waitcnt vmcnt(1)
	v_ashrrev_i32_e32 v43, v61, v43
	s_waitcnt vmcnt(0)
	v_mad_i64_i32 v[38:39], s[0:1], v38, s5, v[36:37]
	v_lshl_add_u64 v[40:41], v[38:39], 0, v[52:53]
	v_lshl_add_u64 v[38:39], v[38:39], 0, v[54:55]
	global_load_dword v48, v[40:41], off
	global_load_dword v49, v[38:39], off offset:128
	v_lshrrev_b32_e32 v39, 4, v46
	v_ashrrev_i32_e32 v40, v61, v47
	v_and_b32_e32 v38, 0xf0f0f0f, v46
	v_and_b32_e32 v41, 0xf0f0f0f, v44
	v_lshrrev_b32_e32 v44, 4, v44
	v_and_b32_e32 v39, 0xf0f0f0f, v39
	v_lshlrev_b32_e32 v47, 4, v40
	v_and_b32_e32 v44, 0xf0f0f0f, v44
	v_and_or_b32 v38, v47, s11, v38
	v_and_or_b32 v39, v40, s11, v39
	;; [unrolled: 1-line block ×4, first 2 shown]
	v_lshrrev_b32_e32 v44, 16, v38
	v_lshlrev_b16_e32 v45, 8, v38
	v_lshrrev_b32_e32 v47, 16, v39
	v_lshlrev_b16_e32 v51, 8, v39
	v_add_u16_e32 v45, 0xe000, v45
	v_lshlrev_b16_e32 v60, 8, v44
	v_add_u16_e32 v51, 0xe000, v51
	v_lshlrev_b16_e32 v62, 8, v47
	v_lshrrev_b16_e32 v45, 8, v45
	v_add_u16_e32 v60, 0xe000, v60
	v_lshrrev_b16_e32 v51, 8, v51
	v_add_u16_e32 v62, 0xe000, v62
	v_bitop3_b16 v38, v38, v45, s17 bitop3:0xec
	v_lshrrev_b16_e32 v45, 8, v60
	v_bitop3_b16 v39, v39, v51, s17 bitop3:0xec
	v_lshrrev_b16_e32 v51, 8, v62
	v_bitop3_b16 v44, v44, v45, s17 bitop3:0xec
	v_bitop3_b16 v45, v47, v51, s17 bitop3:0xec
	v_add_u16_e32 v38, 0xe000, v38
	v_add_u16_e32 v39, 0xe000, v39
	v_add_u16_sdwa v44, v44, s16 dst_sel:WORD_1 dst_unused:UNUSED_PAD src0_sel:DWORD src1_sel:DWORD
	v_add_u16_sdwa v45, v45, s16 dst_sel:WORD_1 dst_unused:UNUSED_PAD src0_sel:DWORD src1_sel:DWORD
	v_or_b32_e32 v38, v38, v44
	v_or_b32_e32 v39, v39, v45
	scratch_load_dwordx2 v[44:45], off, off offset:24 ; 8-byte Folded Reload
	v_lshrrev_b32_e32 v56, 16, v40
	v_lshlrev_b16_e32 v57, 8, v40
	v_lshrrev_b32_e32 v58, 16, v41
	v_lshlrev_b16_e32 v59, 8, v41
	v_add_u16_e32 v57, 0xe000, v57
	v_lshlrev_b16_e32 v64, 8, v56
	v_add_u16_e32 v59, 0xe000, v59
	v_lshlrev_b16_e32 v65, 8, v58
	v_lshrrev_b16_e32 v57, 8, v57
	v_add_u16_e32 v64, 0xe000, v64
	v_lshrrev_b16_e32 v59, 8, v59
	v_add_u16_e32 v65, 0xe000, v65
	v_bitop3_b16 v40, v40, v57, s17 bitop3:0xec
	v_lshrrev_b16_e32 v57, 8, v64
	v_bitop3_b16 v41, v41, v59, s17 bitop3:0xec
	v_lshrrev_b16_e32 v59, 8, v65
	v_bitop3_b16 v47, v56, v57, s17 bitop3:0xec
	v_bitop3_b16 v51, v58, v59, s17 bitop3:0xec
	v_add_u16_e32 v40, 0xe000, v40
	v_add_u16_e32 v41, 0xe000, v41
	v_add_u16_sdwa v47, v47, s16 dst_sel:WORD_1 dst_unused:UNUSED_PAD src0_sel:DWORD src1_sel:DWORD
	v_add_u16_sdwa v51, v51, s16 dst_sel:WORD_1 dst_unused:UNUSED_PAD src0_sel:DWORD src1_sel:DWORD
	v_or_b32_e32 v40, v40, v47
	v_or_b32_e32 v41, v41, v51
	v_and_b32_e32 v46, 0xf0f0f0f, v42
	v_lshrrev_b32_e32 v42, 4, v42
	v_and_b32_e32 v42, 0xf0f0f0f, v42
	v_add_u32_e32 v59, s18, v71
	s_waitcnt vmcnt(0)
	ds_write2_b32 v44, v38, v39 offset1:16
	scratch_load_dwordx2 v[38:39], off, off offset:40 ; 8-byte Folded Reload
	v_lshlrev_b32_e32 v44, 4, v43
	s_waitcnt vmcnt(0)
	ds_write2_b32 v38, v40, v41 offset1:16
	scratch_load_dwordx2 v[38:39], off, off offset:80 ; 8-byte Folded Reload
	s_waitcnt vmcnt(0)
	v_mad_i64_i32 v[38:39], s[0:1], v38, s5, v[36:37]
	v_lshl_add_u64 v[40:41], v[38:39], 0, v[52:53]
	global_load_dword v45, v[40:41], off
	v_and_or_b32 v40, v44, s11, v46
	v_lshl_add_u64 v[38:39], v[38:39], 0, v[54:55]
	global_load_dword v44, v[38:39], off offset:128
	v_lshlrev_b16_e32 v39, 8, v40
	v_add_u16_e32 v39, 0xe000, v39
	v_lshrrev_b32_e32 v38, 16, v40
	v_lshrrev_b16_e32 v39, 8, v39
	v_bitop3_b16 v39, v40, v39, s17 bitop3:0xec
	v_lshlrev_b16_e32 v40, 8, v38
	v_add_u16_e32 v40, 0xe000, v40
	v_lshrrev_b16_e32 v40, 8, v40
	v_bitop3_b16 v38, v38, v40, s17 bitop3:0xec
	v_add_u16_e32 v39, 0xe000, v39
	v_add_u16_sdwa v38, v38, s16 dst_sel:WORD_1 dst_unused:UNUSED_PAD src0_sel:DWORD src1_sel:DWORD
	s_nop 0
	v_or_b32_e32 v46, v39, v38
	v_and_or_b32 v38, v43, s11, v42
	v_lshlrev_b16_e32 v40, 8, v38
	v_add_u16_e32 v40, 0xe000, v40
	v_lshrrev_b32_e32 v39, 16, v38
	v_lshrrev_b16_e32 v40, 8, v40
	v_bitop3_b16 v38, v38, v40, s17 bitop3:0xec
	v_lshlrev_b16_e32 v40, 8, v39
	v_add_u16_e32 v40, 0xe000, v40
	v_lshrrev_b16_e32 v40, 8, v40
	v_bitop3_b16 v39, v39, v40, s17 bitop3:0xec
	v_add_u16_e32 v38, 0xe000, v38
	v_add_u16_sdwa v39, v39, s16 dst_sel:WORD_1 dst_unused:UNUSED_PAD src0_sel:DWORD src1_sel:DWORD
	s_nop 0
	v_or_b32_e32 v42, v38, v39
	scratch_load_dwordx2 v[38:39], off, off offset:96 ; 8-byte Folded Reload
	s_waitcnt vmcnt(0)
	v_mad_i64_i32 v[38:39], s[0:1], v38, s5, v[36:37]
	v_lshl_add_u64 v[40:41], v[38:39], 0, v[52:53]
	global_load_dword v43, v[40:41], off
	s_nop 0
	scratch_load_dwordx2 v[40:41], off, off offset:56 ; 8-byte Folded Reload
	v_lshl_add_u64 v[38:39], v[38:39], 0, v[54:55]
	s_waitcnt vmcnt(0)
	ds_write2_b32 v40, v46, v42 offset1:16
	v_ashrrev_i32_e32 v40, v61, v49
	global_load_dword v42, v[38:39], off offset:128
	v_and_b32_e32 v38, 0xf0f0f0f, v48
	v_lshlrev_b32_e32 v41, 4, v40
	v_and_or_b32 v38, v41, s11, v38
	v_lshlrev_b16_e32 v46, 8, v38
	v_add_u16_e32 v46, 0xe000, v46
	v_lshrrev_b32_e32 v41, 16, v38
	v_lshrrev_b16_e32 v46, 8, v46
	v_bitop3_b16 v38, v38, v46, s17 bitop3:0xec
	v_lshlrev_b16_e32 v46, 8, v41
	v_add_u16_e32 v46, 0xe000, v46
	v_lshrrev_b16_e32 v46, 8, v46
	v_lshrrev_b32_e32 v39, 4, v48
	v_bitop3_b16 v41, v41, v46, s17 bitop3:0xec
	v_and_b32_e32 v39, 0xf0f0f0f, v39
	v_add_u16_e32 v38, 0xe000, v38
	v_add_u16_sdwa v41, v41, s16 dst_sel:WORD_1 dst_unused:UNUSED_PAD src0_sel:DWORD src1_sel:DWORD
	s_nop 0
	v_or_b32_e32 v46, v38, v41
	v_and_or_b32 v38, v40, s11, v39
	v_lshlrev_b16_e32 v39, 8, v38
	v_add_u16_e32 v39, 0xe000, v39
	v_lshrrev_b16_e32 v39, 8, v39
	v_lshrrev_b32_e32 v47, 16, v38
	v_bitop3_b16 v38, v38, v39, s17 bitop3:0xec
	v_add_u16_e32 v48, 0xe000, v38
	scratch_load_dwordx2 v[38:39], off, off offset:112 ; 8-byte Folded Reload
	s_waitcnt vmcnt(0)
	v_mad_i64_i32 v[38:39], s[0:1], v38, s5, v[36:37]
	v_lshl_add_u64 v[40:41], v[38:39], 0, v[52:53]
	v_lshl_add_u64 v[38:39], v[38:39], 0, v[54:55]
	global_load_dword v49, v[40:41], off
	global_load_dword v51, v[38:39], off offset:128
	v_lshlrev_b16_e32 v40, 8, v47
	v_add_u16_e32 v38, 0xe000, v40
	scratch_load_dwordx2 v[40:41], off, off offset:72 ; 8-byte Folded Reload
	v_lshrrev_b16_e32 v38, 8, v38
	v_bitop3_b16 v38, v47, v38, s17 bitop3:0xec
	v_add_u16_sdwa v38, v38, s16 dst_sel:WORD_1 dst_unused:UNUSED_PAD src0_sel:DWORD src1_sel:DWORD
	s_nop 0
	v_or_b32_e32 v38, v48, v38
	s_waitcnt vmcnt(0)
	ds_write2_b32 v40, v46, v38 offset1:16
	scratch_load_dwordx2 v[38:39], off, off offset:128 ; 8-byte Folded Reload
	s_waitcnt vmcnt(0)
	v_mad_i64_i32 v[38:39], s[0:1], v38, s5, v[36:37]
	v_lshl_add_u64 v[40:41], v[38:39], 0, v[52:53]
	v_lshl_add_u64 v[38:39], v[38:39], 0, v[54:55]
	global_load_dword v46, v[40:41], off
	global_load_dword v47, v[38:39], off offset:128
	v_ashrrev_i32_e32 v40, v61, v44
	v_and_b32_e32 v38, 0xf0f0f0f, v45
	v_lshlrev_b32_e32 v41, 4, v40
	v_and_or_b32 v38, v41, s11, v38
	v_lshlrev_b16_e32 v44, 8, v38
	v_add_u16_e32 v44, 0xe000, v44
	v_lshrrev_b32_e32 v41, 16, v38
	v_lshrrev_b16_e32 v44, 8, v44
	v_bitop3_b16 v38, v38, v44, s17 bitop3:0xec
	v_lshlrev_b16_e32 v44, 8, v41
	v_add_u16_e32 v44, 0xe000, v44
	v_lshrrev_b32_e32 v39, 4, v45
	v_lshrrev_b16_e32 v44, 8, v44
	v_and_b32_e32 v39, 0xf0f0f0f, v39
	v_bitop3_b16 v41, v41, v44, s17 bitop3:0xec
	v_add_u16_e32 v38, 0xe000, v38
	v_add_u16_sdwa v41, v41, s16 dst_sel:WORD_1 dst_unused:UNUSED_PAD src0_sel:DWORD src1_sel:DWORD
	v_and_or_b32 v39, v40, s11, v39
	v_or_b32_e32 v38, v38, v41
	v_lshlrev_b16_e32 v41, 8, v39
	v_add_u16_e32 v41, 0xe000, v41
	v_lshrrev_b32_e32 v40, 16, v39
	v_lshrrev_b16_e32 v41, 8, v41
	v_bitop3_b16 v39, v39, v41, s17 bitop3:0xec
	v_lshlrev_b16_e32 v41, 8, v40
	v_add_u16_e32 v41, 0xe000, v41
	v_lshrrev_b16_e32 v41, 8, v41
	v_bitop3_b16 v40, v40, v41, s17 bitop3:0xec
	v_add_u16_e32 v39, 0xe000, v39
	v_add_u16_sdwa v40, v40, s16 dst_sel:WORD_1 dst_unused:UNUSED_PAD src0_sel:DWORD src1_sel:DWORD
	v_ashrrev_i32_e32 v44, v61, v51
	v_or_b32_e32 v39, v39, v40
	scratch_load_dwordx2 v[40:41], off, off offset:88 ; 8-byte Folded Reload
	v_lshlrev_b32_e32 v45, 4, v44
	s_waitcnt vmcnt(0)
	ds_write2_b32 v40, v38, v39 offset1:16
	v_ashrrev_i32_e32 v40, v61, v42
	v_and_b32_e32 v38, 0xf0f0f0f, v43
	v_lshlrev_b32_e32 v41, 4, v40
	v_and_or_b32 v38, v41, s11, v38
	v_lshlrev_b16_e32 v42, 8, v38
	v_add_u16_e32 v42, 0xe000, v42
	v_lshrrev_b32_e32 v41, 16, v38
	v_lshrrev_b16_e32 v42, 8, v42
	v_bitop3_b16 v38, v38, v42, s17 bitop3:0xec
	v_lshlrev_b16_e32 v42, 8, v41
	v_add_u16_e32 v42, 0xe000, v42
	v_lshrrev_b32_e32 v39, 4, v43
	v_lshrrev_b16_e32 v42, 8, v42
	v_and_b32_e32 v39, 0xf0f0f0f, v39
	v_bitop3_b16 v41, v41, v42, s17 bitop3:0xec
	v_add_u16_e32 v38, 0xe000, v38
	v_add_u16_sdwa v41, v41, s16 dst_sel:WORD_1 dst_unused:UNUSED_PAD src0_sel:DWORD src1_sel:DWORD
	v_and_or_b32 v39, v40, s11, v39
	v_or_b32_e32 v38, v38, v41
	v_lshlrev_b16_e32 v41, 8, v39
	v_add_u16_e32 v41, 0xe000, v41
	v_lshrrev_b32_e32 v40, 16, v39
	v_lshrrev_b16_e32 v41, 8, v41
	v_bitop3_b16 v39, v39, v41, s17 bitop3:0xec
	v_lshlrev_b16_e32 v41, 8, v40
	v_add_u16_e32 v41, 0xe000, v41
	v_lshrrev_b16_e32 v41, 8, v41
	v_bitop3_b16 v40, v40, v41, s17 bitop3:0xec
	v_add_u16_e32 v39, 0xe000, v39
	v_add_u16_sdwa v40, v40, s16 dst_sel:WORD_1 dst_unused:UNUSED_PAD src0_sel:DWORD src1_sel:DWORD
	v_and_b32_e32 v42, 0xf0f0f0f, v49
	v_or_b32_e32 v39, v39, v40
	scratch_load_dwordx2 v[40:41], off, off offset:104 ; 8-byte Folded Reload
	s_waitcnt vmcnt(0)
	ds_write2_b32 v40, v38, v39 offset1:16
	v_lshrrev_b32_e32 v38, 4, v49
	v_and_b32_e32 v43, 0xf0f0f0f, v38
	scratch_load_dwordx2 v[38:39], off, off offset:144 ; 8-byte Folded Reload
	s_waitcnt vmcnt(0)
	v_mad_i64_i32 v[38:39], s[0:1], v38, s5, v[36:37]
	v_lshl_add_u64 v[40:41], v[38:39], 0, v[52:53]
	global_load_dword v48, v[40:41], off
	v_and_or_b32 v40, v45, s11, v42
	v_lshl_add_u64 v[38:39], v[38:39], 0, v[54:55]
	global_load_dword v42, v[38:39], off offset:128
	v_lshlrev_b16_e32 v39, 8, v40
	v_add_u16_e32 v39, 0xe000, v39
	v_lshrrev_b32_e32 v38, 16, v40
	v_lshrrev_b16_e32 v39, 8, v39
	v_bitop3_b16 v39, v40, v39, s17 bitop3:0xec
	v_lshlrev_b16_e32 v40, 8, v38
	v_add_u16_e32 v40, 0xe000, v40
	v_lshrrev_b16_e32 v40, 8, v40
	v_bitop3_b16 v38, v38, v40, s17 bitop3:0xec
	v_add_u16_e32 v39, 0xe000, v39
	v_add_u16_sdwa v38, v38, s16 dst_sel:WORD_1 dst_unused:UNUSED_PAD src0_sel:DWORD src1_sel:DWORD
	s_nop 0
	v_or_b32_e32 v45, v39, v38
	v_and_or_b32 v38, v44, s11, v43
	v_lshlrev_b16_e32 v40, 8, v38
	v_add_u16_e32 v40, 0xe000, v40
	v_lshrrev_b32_e32 v39, 16, v38
	v_lshrrev_b16_e32 v40, 8, v40
	v_bitop3_b16 v38, v38, v40, s17 bitop3:0xec
	v_lshlrev_b16_e32 v40, 8, v39
	v_add_u16_e32 v40, 0xe000, v40
	v_lshrrev_b16_e32 v40, 8, v40
	v_bitop3_b16 v39, v39, v40, s17 bitop3:0xec
	v_add_u16_e32 v38, 0xe000, v38
	v_add_u16_sdwa v39, v39, s16 dst_sel:WORD_1 dst_unused:UNUSED_PAD src0_sel:DWORD src1_sel:DWORD
	s_nop 0
	v_or_b32_e32 v43, v38, v39
	scratch_load_dwordx2 v[38:39], off, off offset:160 ; 8-byte Folded Reload
	s_waitcnt vmcnt(0)
	v_mad_i64_i32 v[38:39], s[0:1], v38, s5, v[36:37]
	v_lshl_add_u64 v[40:41], v[38:39], 0, v[52:53]
	global_load_dword v44, v[40:41], off
	s_nop 0
	scratch_load_dwordx2 v[40:41], off, off offset:120 ; 8-byte Folded Reload
	v_lshl_add_u64 v[38:39], v[38:39], 0, v[54:55]
	s_waitcnt vmcnt(0)
	ds_write2_b32 v40, v45, v43 offset1:16
	v_ashrrev_i32_e32 v40, v61, v47
	global_load_dword v43, v[38:39], off offset:128
	v_and_b32_e32 v38, 0xf0f0f0f, v46
	v_lshlrev_b32_e32 v41, 4, v40
	v_and_or_b32 v38, v41, s11, v38
	v_lshlrev_b16_e32 v45, 8, v38
	v_add_u16_e32 v45, 0xe000, v45
	v_lshrrev_b32_e32 v41, 16, v38
	v_lshrrev_b16_e32 v45, 8, v45
	v_bitop3_b16 v38, v38, v45, s17 bitop3:0xec
	v_lshlrev_b16_e32 v45, 8, v41
	v_add_u16_e32 v45, 0xe000, v45
	v_lshrrev_b16_e32 v45, 8, v45
	v_lshrrev_b32_e32 v39, 4, v46
	v_bitop3_b16 v41, v41, v45, s17 bitop3:0xec
	v_and_b32_e32 v39, 0xf0f0f0f, v39
	v_add_u16_e32 v38, 0xe000, v38
	v_add_u16_sdwa v41, v41, s16 dst_sel:WORD_1 dst_unused:UNUSED_PAD src0_sel:DWORD src1_sel:DWORD
	s_nop 0
	v_or_b32_e32 v45, v38, v41
	v_and_or_b32 v38, v40, s11, v39
	v_lshlrev_b16_e32 v39, 8, v38
	v_add_u16_e32 v39, 0xe000, v39
	v_lshrrev_b16_e32 v39, 8, v39
	v_lshrrev_b32_e32 v46, 16, v38
	v_bitop3_b16 v38, v38, v39, s17 bitop3:0xec
	v_add_u16_e32 v47, 0xe000, v38
	scratch_load_dwordx2 v[38:39], off, off offset:176 ; 8-byte Folded Reload
	s_waitcnt vmcnt(0)
	v_mad_i64_i32 v[38:39], s[0:1], v38, s5, v[36:37]
	v_lshl_add_u64 v[40:41], v[38:39], 0, v[52:53]
	v_lshl_add_u64 v[38:39], v[38:39], 0, v[54:55]
	global_load_dword v49, v[40:41], off
	global_load_dword v51, v[38:39], off offset:128
	v_lshlrev_b16_e32 v40, 8, v46
	v_add_u16_e32 v38, 0xe000, v40
	scratch_load_dwordx2 v[40:41], off, off offset:136 ; 8-byte Folded Reload
	v_lshrrev_b16_e32 v38, 8, v38
	v_bitop3_b16 v38, v46, v38, s17 bitop3:0xec
	v_add_u16_sdwa v38, v38, s16 dst_sel:WORD_1 dst_unused:UNUSED_PAD src0_sel:DWORD src1_sel:DWORD
	s_nop 0
	v_or_b32_e32 v38, v47, v38
	s_waitcnt vmcnt(0)
	ds_write2_b32 v40, v45, v38 offset1:16
	scratch_load_dwordx2 v[38:39], off, off offset:192 ; 8-byte Folded Reload
	s_waitcnt vmcnt(0)
	v_mad_i64_i32 v[38:39], s[0:1], v38, s5, v[36:37]
	v_lshl_add_u64 v[40:41], v[38:39], 0, v[52:53]
	v_lshl_add_u64 v[38:39], v[38:39], 0, v[54:55]
	global_load_dword v45, v[40:41], off
	global_load_dword v46, v[38:39], off offset:128
	v_ashrrev_i32_e32 v40, v61, v42
	v_and_b32_e32 v38, 0xf0f0f0f, v48
	v_lshlrev_b32_e32 v41, 4, v40
	v_and_or_b32 v38, v41, s11, v38
	v_lshlrev_b16_e32 v42, 8, v38
	v_add_u16_e32 v42, 0xe000, v42
	v_lshrrev_b32_e32 v41, 16, v38
	v_lshrrev_b16_e32 v42, 8, v42
	v_bitop3_b16 v38, v38, v42, s17 bitop3:0xec
	v_lshlrev_b16_e32 v42, 8, v41
	v_add_u16_e32 v42, 0xe000, v42
	v_lshrrev_b32_e32 v39, 4, v48
	v_lshrrev_b16_e32 v42, 8, v42
	v_and_b32_e32 v39, 0xf0f0f0f, v39
	v_bitop3_b16 v41, v41, v42, s17 bitop3:0xec
	v_add_u16_e32 v38, 0xe000, v38
	v_add_u16_sdwa v41, v41, s16 dst_sel:WORD_1 dst_unused:UNUSED_PAD src0_sel:DWORD src1_sel:DWORD
	v_and_or_b32 v39, v40, s11, v39
	v_or_b32_e32 v38, v38, v41
	v_lshlrev_b16_e32 v41, 8, v39
	v_add_u16_e32 v41, 0xe000, v41
	v_lshrrev_b32_e32 v40, 16, v39
	v_lshrrev_b16_e32 v41, 8, v41
	v_bitop3_b16 v39, v39, v41, s17 bitop3:0xec
	v_lshlrev_b16_e32 v41, 8, v40
	v_add_u16_e32 v41, 0xe000, v41
	v_lshrrev_b16_e32 v41, 8, v41
	v_bitop3_b16 v40, v40, v41, s17 bitop3:0xec
	v_add_u16_e32 v39, 0xe000, v39
	v_add_u16_sdwa v40, v40, s16 dst_sel:WORD_1 dst_unused:UNUSED_PAD src0_sel:DWORD src1_sel:DWORD
	s_nop 0
	v_or_b32_e32 v39, v39, v40
	scratch_load_dwordx2 v[40:41], off, off offset:152 ; 8-byte Folded Reload
	s_waitcnt vmcnt(0)
	ds_write2_b32 v40, v38, v39 offset1:16
	v_ashrrev_i32_e32 v40, v61, v43
	v_and_b32_e32 v38, 0xf0f0f0f, v44
	v_lshlrev_b32_e32 v41, 4, v40
	v_and_or_b32 v38, v41, s11, v38
	v_lshlrev_b16_e32 v42, 8, v38
	v_add_u16_e32 v42, 0xe000, v42
	v_lshrrev_b32_e32 v41, 16, v38
	v_lshrrev_b16_e32 v42, 8, v42
	v_bitop3_b16 v38, v38, v42, s17 bitop3:0xec
	v_lshlrev_b16_e32 v42, 8, v41
	v_add_u16_e32 v42, 0xe000, v42
	v_lshrrev_b32_e32 v39, 4, v44
	v_lshrrev_b16_e32 v42, 8, v42
	v_and_b32_e32 v39, 0xf0f0f0f, v39
	v_bitop3_b16 v41, v41, v42, s17 bitop3:0xec
	v_add_u16_e32 v38, 0xe000, v38
	v_add_u16_sdwa v41, v41, s16 dst_sel:WORD_1 dst_unused:UNUSED_PAD src0_sel:DWORD src1_sel:DWORD
	v_and_or_b32 v39, v40, s11, v39
	v_or_b32_e32 v38, v38, v41
	v_lshlrev_b16_e32 v41, 8, v39
	v_add_u16_e32 v41, 0xe000, v41
	v_lshrrev_b32_e32 v40, 16, v39
	v_lshrrev_b16_e32 v41, 8, v41
	v_bitop3_b16 v39, v39, v41, s17 bitop3:0xec
	v_lshlrev_b16_e32 v41, 8, v40
	v_add_u16_e32 v41, 0xe000, v41
	v_lshrrev_b16_e32 v41, 8, v41
	v_bitop3_b16 v40, v40, v41, s17 bitop3:0xec
	v_add_u16_e32 v39, 0xe000, v39
	v_add_u16_sdwa v40, v40, s16 dst_sel:WORD_1 dst_unused:UNUSED_PAD src0_sel:DWORD src1_sel:DWORD
	v_ashrrev_i32_e32 v44, v61, v51
	v_or_b32_e32 v39, v39, v40
	scratch_load_dwordx2 v[40:41], off, off offset:168 ; 8-byte Folded Reload
	v_and_b32_e32 v42, 0xf0f0f0f, v49
	v_lshlrev_b32_e32 v47, 4, v44
	s_waitcnt vmcnt(0)
	ds_write2_b32 v40, v38, v39 offset1:16
	v_lshrrev_b32_e32 v38, 4, v49
	v_and_b32_e32 v43, 0xf0f0f0f, v38
	scratch_load_dwordx2 v[38:39], off, off offset:208 ; 8-byte Folded Reload
	s_waitcnt vmcnt(0)
	v_mad_i64_i32 v[38:39], s[0:1], v38, s5, v[36:37]
	v_lshl_add_u64 v[40:41], v[38:39], 0, v[52:53]
	global_load_dword v48, v[40:41], off
	v_and_or_b32 v40, v47, s11, v42
	v_lshl_add_u64 v[38:39], v[38:39], 0, v[54:55]
	global_load_dword v47, v[38:39], off offset:128
	v_lshlrev_b16_e32 v39, 8, v40
	v_add_u16_e32 v39, 0xe000, v39
	v_lshrrev_b32_e32 v38, 16, v40
	v_lshrrev_b16_e32 v39, 8, v39
	v_bitop3_b16 v39, v40, v39, s17 bitop3:0xec
	v_lshlrev_b16_e32 v40, 8, v38
	v_add_u16_e32 v40, 0xe000, v40
	v_lshrrev_b16_e32 v40, 8, v40
	v_bitop3_b16 v38, v38, v40, s17 bitop3:0xec
	v_add_u16_e32 v39, 0xe000, v39
	v_add_u16_sdwa v38, v38, s16 dst_sel:WORD_1 dst_unused:UNUSED_PAD src0_sel:DWORD src1_sel:DWORD
	s_nop 0
	v_or_b32_e32 v42, v39, v38
	v_and_or_b32 v38, v44, s11, v43
	v_lshlrev_b16_e32 v40, 8, v38
	v_add_u16_e32 v40, 0xe000, v40
	v_lshrrev_b32_e32 v39, 16, v38
	v_lshrrev_b16_e32 v40, 8, v40
	v_bitop3_b16 v38, v38, v40, s17 bitop3:0xec
	v_lshlrev_b16_e32 v40, 8, v39
	v_add_u16_e32 v40, 0xe000, v40
	v_lshrrev_b16_e32 v40, 8, v40
	v_bitop3_b16 v39, v39, v40, s17 bitop3:0xec
	v_add_u16_e32 v38, 0xe000, v38
	v_add_u16_sdwa v39, v39, s16 dst_sel:WORD_1 dst_unused:UNUSED_PAD src0_sel:DWORD src1_sel:DWORD
	s_nop 0
	v_or_b32_e32 v43, v38, v39
	scratch_load_dwordx2 v[38:39], off, off offset:224 ; 8-byte Folded Reload
	s_waitcnt vmcnt(0)
	v_mad_i64_i32 v[38:39], s[0:1], v38, s5, v[36:37]
	v_lshl_add_u64 v[40:41], v[38:39], 0, v[52:53]
	global_load_dword v44, v[40:41], off
	s_nop 0
	scratch_load_dwordx2 v[40:41], off, off offset:184 ; 8-byte Folded Reload
	v_lshl_add_u64 v[38:39], v[38:39], 0, v[54:55]
	global_load_dword v49, v[38:39], off offset:128
	v_and_b32_e32 v38, 0xf0f0f0f, v45
	v_lshrrev_b32_e32 v39, 4, v45
	v_and_b32_e32 v39, 0xf0f0f0f, v39
	s_waitcnt vmcnt(1)
	ds_write2_b32 v40, v42, v43 offset1:16
	v_ashrrev_i32_e32 v40, v61, v46
	v_lshlrev_b32_e32 v41, 4, v40
	v_and_or_b32 v38, v41, s11, v38
	v_lshlrev_b16_e32 v42, 8, v38
	v_add_u16_e32 v42, 0xe000, v42
	v_lshrrev_b32_e32 v41, 16, v38
	v_lshrrev_b16_e32 v42, 8, v42
	v_bitop3_b16 v38, v38, v42, s17 bitop3:0xec
	v_lshlrev_b16_e32 v42, 8, v41
	v_add_u16_e32 v42, 0xe000, v42
	v_lshrrev_b16_e32 v42, 8, v42
	v_bitop3_b16 v41, v41, v42, s17 bitop3:0xec
	v_add_u16_e32 v38, 0xe000, v38
	v_add_u16_sdwa v41, v41, s16 dst_sel:WORD_1 dst_unused:UNUSED_PAD src0_sel:DWORD src1_sel:DWORD
	v_and_or_b32 v39, v40, s11, v39
	v_or_b32_e32 v38, v38, v41
	v_lshlrev_b16_e32 v41, 8, v39
	v_add_u16_e32 v41, 0xe000, v41
	v_lshrrev_b32_e32 v40, 16, v39
	v_lshrrev_b16_e32 v41, 8, v41
	v_bitop3_b16 v39, v39, v41, s17 bitop3:0xec
	v_lshlrev_b16_e32 v41, 8, v40
	v_add_u16_e32 v41, 0xe000, v41
	v_lshrrev_b16_e32 v41, 8, v41
	v_bitop3_b16 v40, v40, v41, s17 bitop3:0xec
	v_add_u16_e32 v39, 0xe000, v39
	v_add_u16_sdwa v40, v40, s16 dst_sel:WORD_1 dst_unused:UNUSED_PAD src0_sel:DWORD src1_sel:DWORD
	scratch_load_dwordx2 v[42:43], off, off offset:256 ; 8-byte Folded Reload
	v_or_b32_e32 v39, v39, v40
	scratch_load_dwordx2 v[40:41], off, off offset:200 ; 8-byte Folded Reload
	s_waitcnt vmcnt(0)
	ds_write2_b32 v40, v38, v39 offset1:16
	scratch_load_dwordx2 v[38:39], off, off offset:240 ; 8-byte Folded Reload
	s_waitcnt vmcnt(0)
	v_mad_i64_i32 v[38:39], s[0:1], v38, s5, v[36:37]
	v_lshl_add_u64 v[40:41], v[38:39], 0, v[52:53]
	v_lshl_add_u64 v[38:39], v[38:39], 0, v[54:55]
	v_mad_i64_i32 v[36:37], s[0:1], v42, s5, v[36:37]
	v_lshl_add_u64 v[42:43], v[36:37], 0, v[52:53]
	v_lshl_add_u64 v[36:37], v[36:37], 0, v[54:55]
	global_load_dword v45, v[40:41], off
	global_load_dword v46, v[38:39], off offset:128
	global_load_dword v51, v[42:43], off
	global_load_dword v56, v[36:37], off offset:128
	v_ashrrev_i32_e32 v38, v61, v47
	v_and_b32_e32 v36, 0xf0f0f0f, v48
	v_lshlrev_b32_e32 v39, 4, v38
	v_and_or_b32 v36, v39, s11, v36
	v_lshlrev_b16_e32 v40, 8, v36
	v_add_u16_e32 v40, 0xe000, v40
	v_lshrrev_b32_e32 v39, 16, v36
	v_lshrrev_b16_e32 v40, 8, v40
	v_bitop3_b16 v36, v36, v40, s17 bitop3:0xec
	v_lshlrev_b16_e32 v40, 8, v39
	v_add_u16_e32 v40, 0xe000, v40
	v_lshrrev_b32_e32 v37, 4, v48
	v_lshrrev_b16_e32 v40, 8, v40
	v_and_b32_e32 v37, 0xf0f0f0f, v37
	v_bitop3_b16 v39, v39, v40, s17 bitop3:0xec
	v_add_u16_e32 v36, 0xe000, v36
	v_add_u16_sdwa v39, v39, s16 dst_sel:WORD_1 dst_unused:UNUSED_PAD src0_sel:DWORD src1_sel:DWORD
	v_and_or_b32 v37, v38, s11, v37
	v_or_b32_e32 v36, v36, v39
	v_lshlrev_b16_e32 v39, 8, v37
	v_add_u16_e32 v39, 0xe000, v39
	v_lshrrev_b32_e32 v38, 16, v37
	v_lshrrev_b16_e32 v39, 8, v39
	v_bitop3_b16 v37, v37, v39, s17 bitop3:0xec
	v_lshlrev_b16_e32 v39, 8, v38
	v_add_u16_e32 v39, 0xe000, v39
	v_lshrrev_b16_e32 v39, 8, v39
	v_bitop3_b16 v38, v38, v39, s17 bitop3:0xec
	v_add_u16_e32 v37, 0xe000, v37
	v_add_u16_sdwa v38, v38, s16 dst_sel:WORD_1 dst_unused:UNUSED_PAD src0_sel:DWORD src1_sel:DWORD
	v_add_u32_e32 v42, v59, v81
	v_or_b32_e32 v37, v37, v38
	scratch_load_dwordx2 v[38:39], off, off offset:216 ; 8-byte Folded Reload
	v_mad_i64_i32 v[42:43], s[0:1], v42, 36, v[0:1]
	s_waitcnt vmcnt(0)
	ds_write2_b32 v38, v36, v37 offset1:16
	v_ashrrev_i32_e32 v38, v61, v49
	v_and_b32_e32 v36, 0xf0f0f0f, v44
	v_lshlrev_b32_e32 v39, 4, v38
	v_and_or_b32 v36, v39, s11, v36
	v_lshlrev_b16_e32 v40, 8, v36
	v_add_u16_e32 v40, 0xe000, v40
	v_lshrrev_b32_e32 v39, 16, v36
	v_lshrrev_b16_e32 v40, 8, v40
	v_bitop3_b16 v36, v36, v40, s17 bitop3:0xec
	v_lshlrev_b16_e32 v40, 8, v39
	v_add_u16_e32 v40, 0xe000, v40
	v_lshrrev_b16_e32 v40, 8, v40
	v_lshrrev_b32_e32 v37, 4, v44
	v_bitop3_b16 v39, v39, v40, s17 bitop3:0xec
	v_and_b32_e32 v37, 0xf0f0f0f, v37
	v_add_u16_e32 v36, 0xe000, v36
	v_add_u16_sdwa v39, v39, s16 dst_sel:WORD_1 dst_unused:UNUSED_PAD src0_sel:DWORD src1_sel:DWORD
	scratch_load_dwordx2 v[40:41], off, off offset:292 ; 8-byte Folded Reload
	v_or_b32_e32 v44, v36, v39
	v_and_or_b32 v36, v38, s11, v37
	v_lshlrev_b16_e32 v38, 8, v36
	v_add_u16_e32 v38, 0xe000, v38
	v_lshrrev_b16_e32 v38, 8, v38
	v_lshrrev_b32_e32 v37, 16, v36
	v_bitop3_b16 v36, v36, v38, s17 bitop3:0xec
	v_add_u16_e32 v47, 0xe000, v36
	v_lshlrev_b16_e32 v36, 8, v37
	v_add_u16_e32 v36, 0xe000, v36
	v_lshrrev_b16_e32 v36, 8, v36
	v_bitop3_b16 v48, v37, v36, s17 bitop3:0xec
	scratch_load_dwordx2 v[36:37], off, off offset:272 ; 8-byte Folded Reload
	scratch_load_dwordx2 v[38:39], off, off offset:284 ; 8-byte Folded Reload
	s_waitcnt vmcnt(1)
	v_mad_i64_i32 v[36:37], s[0:1], v36, s5, v[34:35]
	s_waitcnt vmcnt(0)
	v_mad_i64_i32 v[38:39], s[0:1], v38, s5, v[34:35]
	v_mad_i64_i32 v[34:35], s[0:1], v40, s5, v[34:35]
	v_lshl_add_u64 v[34:35], v[34:35], 0, v[122:123]
	v_lshl_add_u64 v[38:39], v[38:39], 0, v[122:123]
	global_load_ushort v49, v[36:37], off offset:208
	global_load_dword v57, v[38:39], off offset:192
	global_load_dword v58, v[34:35], off offset:192
	v_add_u32_e32 v36, v59, v75
	scratch_load_dwordx2 v[34:35], off, off offset:300 ; 8-byte Folded Reload
	v_add_u32_e32 v38, v59, v77
	v_mad_i64_i32 v[36:37], s[0:1], v36, 36, v[0:1]
	v_mad_i64_i32 v[38:39], s[0:1], v38, 36, v[0:1]
	v_add_u32_e32 v40, v59, v79
	v_mad_i64_i32 v[40:41], s[0:1], v40, 36, v[0:1]
	s_waitcnt vmcnt(0)
	v_add_u32_e32 v234, s18, v34
	scratch_load_dword v34, off, off offset:4 ; 4-byte Folded Reload
	s_waitcnt vmcnt(0)
	v_add_u32_e32 v34, v59, v34
	v_mad_i64_i32 v[34:35], s[0:1], v34, 36, v[0:1]
	global_load_dword v60, v[34:35], off offset:4
	global_load_dword v62, v[36:37], off offset:4
	;; [unrolled: 1-line block ×4, first 2 shown]
	s_nop 0
	global_load_dword v42, v[42:43], off offset:4
	v_add_u32_e32 v34, v59, v83
	v_add_u32_e32 v36, v59, v69
	;; [unrolled: 1-line block ×3, first 2 shown]
	v_mad_i64_i32 v[34:35], s[0:1], v34, 36, v[0:1]
	v_mad_i64_i32 v[36:37], s[0:1], v36, 36, v[0:1]
	;; [unrolled: 1-line block ×3, first 2 shown]
	v_mad_u64_u32 v[40:41], s[0:1], v234, 36, s[2:3]
	global_load_dword v40, v[40:41], off
	s_nop 0
	global_load_dword v34, v[34:35], off offset:4
	s_nop 0
	global_load_dword v35, v[36:37], off offset:4
	;; [unrolled: 2-line block ×3, first 2 shown]
	v_add_u16_sdwa v37, v48, s16 dst_sel:WORD_1 dst_unused:UNUSED_PAD src0_sel:DWORD src1_sel:DWORD
	scratch_load_dwordx2 v[38:39], off, off offset:232 ; 8-byte Folded Reload
	v_or_b32_e32 v37, v47, v37
	s_waitcnt vmcnt(0)
	v_ashrrev_i32_e32 v39, v61, v46
	v_lshlrev_b32_e32 v41, 4, v39
	s_mov_b64 s[0:1], -1
	ds_write2_b32 v38, v44, v37 offset1:16
	v_and_b32_e32 v37, 0xf0f0f0f, v45
	v_lshrrev_b32_e32 v38, 4, v45
	scratch_load_dwordx2 v[44:45], off, off offset:248 ; 8-byte Folded Reload
	v_and_or_b32 v37, v41, s11, v37
	v_lshlrev_b16_e32 v43, 8, v37
	v_add_u16_e32 v43, 0xe000, v43
	v_lshrrev_b32_e32 v41, 16, v37
	v_lshrrev_b16_e32 v43, 8, v43
	v_bitop3_b16 v37, v37, v43, s17 bitop3:0xec
	v_lshlrev_b16_e32 v43, 8, v41
	v_add_u16_e32 v43, 0xe000, v43
	v_lshrrev_b16_e32 v43, 8, v43
	v_and_b32_e32 v38, 0xf0f0f0f, v38
	v_bitop3_b16 v41, v41, v43, s17 bitop3:0xec
	v_add_u16_e32 v37, 0xe000, v37
	v_add_u16_sdwa v41, v41, s16 dst_sel:WORD_1 dst_unused:UNUSED_PAD src0_sel:DWORD src1_sel:DWORD
	v_and_or_b32 v38, v39, s11, v38
	v_or_b32_e32 v37, v37, v41
	v_lshlrev_b16_e32 v41, 8, v38
	v_add_u16_e32 v41, 0xe000, v41
	v_lshrrev_b32_e32 v39, 16, v38
	v_lshrrev_b16_e32 v41, 8, v41
	v_bitop3_b16 v38, v38, v41, s17 bitop3:0xec
	v_lshlrev_b16_e32 v41, 8, v39
	v_add_u16_e32 v41, 0xe000, v41
	v_lshrrev_b16_e32 v41, 8, v41
	v_bitop3_b16 v39, v39, v41, s17 bitop3:0xec
	v_add_u16_e32 v38, 0xe000, v38
	v_add_u16_sdwa v39, v39, s16 dst_sel:WORD_1 dst_unused:UNUSED_PAD src0_sel:DWORD src1_sel:DWORD
	s_nop 0
	v_or_b32_e32 v38, v38, v39
	v_ashrrev_i32_e32 v39, v61, v56
	v_lshlrev_b32_e32 v41, 4, v39
	s_waitcnt vmcnt(0)
	ds_write2_b32 v44, v37, v38 offset1:16
	scratch_load_dwordx2 v[44:45], off, off offset:264 ; 8-byte Folded Reload
	v_and_b32_e32 v37, 0xf0f0f0f, v51
	v_and_or_b32 v37, v41, s11, v37
	v_lshlrev_b16_e32 v43, 8, v37
	v_add_u16_e32 v43, 0xe000, v43
	v_lshrrev_b32_e32 v41, 16, v37
	v_lshrrev_b16_e32 v43, 8, v43
	v_bitop3_b16 v37, v37, v43, s17 bitop3:0xec
	v_lshlrev_b16_e32 v43, 8, v41
	v_add_u16_e32 v43, 0xe000, v43
	v_lshrrev_b32_e32 v38, 4, v51
	v_lshrrev_b16_e32 v43, 8, v43
	v_and_b32_e32 v38, 0xf0f0f0f, v38
	v_bitop3_b16 v41, v41, v43, s17 bitop3:0xec
	v_add_u16_e32 v37, 0xe000, v37
	v_add_u16_sdwa v41, v41, s16 dst_sel:WORD_1 dst_unused:UNUSED_PAD src0_sel:DWORD src1_sel:DWORD
	v_and_or_b32 v38, v39, s11, v38
	v_or_b32_e32 v37, v37, v41
	v_lshlrev_b16_e32 v41, 8, v38
	v_add_u16_e32 v41, 0xe000, v41
	v_lshrrev_b32_e32 v39, 16, v38
	v_lshrrev_b16_e32 v41, 8, v41
	v_bitop3_b16 v38, v38, v41, s17 bitop3:0xec
	v_lshlrev_b16_e32 v41, 8, v39
	v_add_u16_e32 v41, 0xe000, v41
	v_lshrrev_b16_e32 v41, 8, v41
	v_bitop3_b16 v39, v39, v41, s17 bitop3:0xec
	v_add_u16_e32 v38, 0xe000, v38
	v_add_u16_sdwa v39, v39, s16 dst_sel:WORD_1 dst_unused:UNUSED_PAD src0_sel:DWORD src1_sel:DWORD
	v_cvt_f32_f16_e32 v41, v49
	v_or_b32_e32 v38, v38, v39
	s_waitcnt vmcnt(0)
	ds_write2_b32 v44, v37, v38 offset1:16
	scratch_load_dword v37, off, off offset:280 ; 4-byte Folded Reload
	s_waitcnt vmcnt(0)
	ds_write_b32 v37, v41
	scratch_load_dword v37, off, off offset:308 ; 4-byte Folded Reload
	s_waitcnt vmcnt(0)
	ds_write_b32 v37, v57
	;; [unrolled: 3-line block ×3, first 2 shown]
	ds_write_b32 v218, v60
	ds_write_b32 v219, v62
	;; [unrolled: 1-line block ×8, first 2 shown]
	scratch_load_dword v34, off, off        ; 4-byte Folded Reload
	v_cvt_f32_f16_e32 v37, v40
	s_waitcnt vmcnt(0)
	ds_write_b32 v34, v37
	s_waitcnt lgkmcnt(0)
	s_barrier
	ds_read_b32 v130, v73
	ds_read_b32 v132, v93 offset:128
	ds_read_b32 v134, v50 offset:256
	;; [unrolled: 1-line block ×3, first 2 shown]
	s_waitcnt lgkmcnt(3)
	v_mov_b32_e32 v131, v130
	v_mov_b32_e32 v138, v130
	v_mov_b32_e32 v139, v130
	s_waitcnt lgkmcnt(2)
	v_mov_b32_e32 v133, v132
	v_mov_b32_e32 v140, v132
	v_mov_b32_e32 v141, v132
	;; [unrolled: 4-line block ×4, first 2 shown]
.LBB136_6:                              ;   Parent Loop BB136_5 Depth=1
                                        ; =>  This Inner Loop Header: Depth=2
	s_lshl_b32 s19, s20, 1
	v_or_b32_e32 v34, s19, v63
	s_lshr_b32 s21, s20, 1
	s_lshl_b32 s20, s20, 3
	v_lshlrev_b32_e32 v46, 2, v34
	v_add_u32_e32 v51, s20, v117
	v_add_u32_e32 v59, s20, v119
	;; [unrolled: 1-line block ×4, first 2 shown]
	v_lshrrev_b32_e32 v62, 1, v34
	ds_read_b128 v[34:37], v46 offset:33280
	ds_read_b128 v[38:41], v46 offset:33296
	;; [unrolled: 1-line block ×4, first 2 shown]
	ds_read2_b32 v[196:197], v51 offset0:6 offset1:7
	ds_read2_b32 v[200:201], v51 offset0:4 offset1:5
	ds_read2_b32 v[194:195], v51 offset0:2 offset1:3
	ds_read2_b32 v[198:199], v51 offset1:1
	ds_read2_b32 v[202:203], v51 offset0:14 offset1:15
	ds_read2_b32 v[204:205], v51 offset0:12 offset1:13
	ds_read2_b32 v[206:207], v51 offset0:10 offset1:11
	ds_read2_b32 v[208:209], v51 offset0:8 offset1:9
	ds_read2_b32 v[180:181], v59 offset0:6 offset1:7
	ds_read2_b32 v[184:185], v59 offset0:4 offset1:5
	ds_read2_b32 v[178:179], v59 offset0:2 offset1:3
	ds_read2_b32 v[182:183], v59 offset1:1
	ds_read2_b32 v[186:187], v59 offset0:14 offset1:15
	ds_read2_b32 v[188:189], v59 offset0:12 offset1:13
	ds_read2_b32 v[190:191], v59 offset0:10 offset1:11
	ds_read2_b32 v[192:193], v59 offset0:8 offset1:9
	;; [unrolled: 8-line block ×4, first 2 shown]
	v_mov_b32_e32 v56, 0
	v_mov_b32_e32 v57, 0
	;; [unrolled: 1-line block ×16, first 2 shown]
	s_waitcnt lgkmcnt(14)
	v_dot4c_i32_i8_e32 v56, v204, v46
	v_dot4c_i32_i8_e32 v57, v208, v42
	;; [unrolled: 1-line block ×8, first 2 shown]
	s_waitcnt lgkmcnt(10)
	v_dot4c_i32_i8_e32 v74, v172, v46
	s_waitcnt lgkmcnt(8)
	v_dot4c_i32_i8_e32 v76, v176, v42
	v_dot4c_i32_i8_e32 v78, v168, v38
	;; [unrolled: 1-line block ×3, first 2 shown]
	s_waitcnt lgkmcnt(2)
	v_dot4c_i32_i8_e32 v66, v160, v46
	s_waitcnt lgkmcnt(0)
	v_dot4c_i32_i8_e32 v68, v156, v42
	v_dot4c_i32_i8_e32 v70, v152, v38
	;; [unrolled: 1-line block ×19, first 2 shown]
	v_or_b32_e32 v34, s19, v103
	v_dot4c_i32_i8_e32 v56, v202, v48
	v_dot4c_i32_i8_e32 v57, v206, v44
	;; [unrolled: 1-line block ×16, first 2 shown]
	v_lshlrev_b32_e32 v46, 2, v34
	v_dot4c_i32_i8_e32 v56, v203, v49
	v_dot4c_i32_i8_e32 v57, v207, v45
	v_dot4c_i32_i8_e32 v58, v197, v41
	v_dot4c_i32_i8_e32 v96, v195, v37
	v_dot4c_i32_i8_e32 v60, v187, v49
	v_dot4c_i32_i8_e32 v82, v191, v45
	v_dot4c_i32_i8_e32 v84, v181, v41
	v_dot4c_i32_i8_e32 v86, v179, v37
	v_dot4c_i32_i8_e32 v74, v171, v49
	v_dot4c_i32_i8_e32 v76, v175, v45
	v_dot4c_i32_i8_e32 v78, v165, v41
	v_dot4c_i32_i8_e32 v80, v163, v37
	v_dot4c_i32_i8_e32 v66, v159, v49
	v_dot4c_i32_i8_e32 v68, v155, v45
	v_dot4c_i32_i8_e32 v70, v151, v41
	v_dot4c_i32_i8_e32 v72, v147, v37
	v_lshrrev_b32_e32 v124, 1, v34
	ds_read_b128 v[34:37], v46 offset:33280
	ds_read_b128 v[38:41], v46 offset:33296
	;; [unrolled: 1-line block ×4, first 2 shown]
	v_mov_b32_e32 v236, 0
	v_mov_b32_e32 v237, 0
	;; [unrolled: 1-line block ×16, first 2 shown]
	s_waitcnt lgkmcnt(0)
	v_dot4c_i32_i8_e32 v236, v204, v46
	v_dot4c_i32_i8_e32 v237, v208, v42
	;; [unrolled: 1-line block ×32, first 2 shown]
	v_or_b32_e32 v34, s19, v105
	v_dot4c_i32_i8_e32 v236, v202, v48
	v_dot4c_i32_i8_e32 v237, v206, v44
	;; [unrolled: 1-line block ×16, first 2 shown]
	v_lshlrev_b32_e32 v46, 2, v34
	v_dot4c_i32_i8_e32 v236, v203, v49
	v_dot4c_i32_i8_e32 v237, v207, v45
	v_dot4c_i32_i8_e32 v65, v197, v41
	v_dot4c_i32_i8_e32 v120, v195, v37
	v_dot4c_i32_i8_e32 v108, v187, v49
	v_dot4c_i32_i8_e32 v110, v191, v45
	v_dot4c_i32_i8_e32 v116, v181, v41
	v_dot4c_i32_i8_e32 v235, v179, v37
	v_dot4c_i32_i8_e32 v100, v171, v49
	v_dot4c_i32_i8_e32 v102, v175, v45
	v_dot4c_i32_i8_e32 v104, v165, v41
	v_dot4c_i32_i8_e32 v106, v163, v37
	v_dot4c_i32_i8_e32 v88, v159, v49
	v_dot4c_i32_i8_e32 v90, v155, v45
	v_dot4c_i32_i8_e32 v92, v151, v41
	v_dot4c_i32_i8_e32 v94, v147, v37
	v_lshrrev_b32_e32 v85, 1, v34
	ds_read_b128 v[34:37], v46 offset:33280
	ds_read_b128 v[38:41], v46 offset:33296
	;; [unrolled: 1-line block ×4, first 2 shown]
	v_mov_b32_e32 v89, 0
	v_mov_b32_e32 v97, 0
	;; [unrolled: 1-line block ×16, first 2 shown]
	s_waitcnt lgkmcnt(0)
	v_dot4c_i32_i8_e32 v89, v204, v46
	v_dot4c_i32_i8_e32 v97, v208, v42
	;; [unrolled: 1-line block ×16, first 2 shown]
	s_add_i32 s21, s21, 0xa200
	v_lshlrev_b32_e32 v229, 2, v71
	v_lshlrev_b32_e32 v230, 2, v67
	v_dot4c_i32_i8_e32 v89, v205, v47
	v_dot4c_i32_i8_e32 v97, v209, v43
	;; [unrolled: 1-line block ×16, first 2 shown]
	v_or_b32_e32 v34, s19, v107
	v_add3_u32 v98, s21, v229, v230
	v_dot4c_i32_i8_e32 v89, v202, v48
	v_dot4c_i32_i8_e32 v97, v206, v44
	;; [unrolled: 1-line block ×16, first 2 shown]
	v_lshlrev_b32_e32 v46, 2, v34
	v_dot4c_i32_i8_e32 v89, v203, v49
	v_dot4c_i32_i8_e32 v97, v207, v45
	;; [unrolled: 1-line block ×16, first 2 shown]
	v_lshrrev_b32_e32 v128, 1, v34
	ds_read_b128 v[34:37], v46 offset:33280
	ds_read_b128 v[38:41], v46 offset:33296
	;; [unrolled: 1-line block ×4, first 2 shown]
	ds_read_b64 v[210:211], v62 offset:43584
	ds_read_b32 v98, v98
	v_mov_b32_e32 v129, 0
	s_waitcnt lgkmcnt(4)
	v_dot4c_i32_i8_e32 v129, v200, v38
	v_dot4c_i32_i8_e32 v129, v201, v39
	;; [unrolled: 1-line block ×3, first 2 shown]
	s_waitcnt lgkmcnt(0)
	v_bfe_i32 v62, v98, 8, 8
	v_bfe_i32 v247, v98, 0, 8
	v_ashrrev_i32_e32 v245, 24, v98
	v_bfe_i32 v246, v98, 16, 8
	v_mul_lo_u32 v98, v65, v62
	v_mov_b32_e32 v65, 0
	v_dot4c_i32_i8_e32 v65, v198, v34
	v_dot4c_i32_i8_e32 v65, v199, v35
	ds_read_b64 v[250:251], v124 offset:43584
	ds_read_b64 v[212:213], v85 offset:43584
	;; [unrolled: 1-line block ×3, first 2 shown]
	v_mov_b32_e32 v85, 0
	v_dot4c_i32_i8_e32 v129, v197, v41
	v_dot4c_i32_i8_e32 v65, v194, v36
	v_lshlrev_b32_e32 v231, 2, v91
	v_lshlrev_b32_e32 v232, 2, v95
	;; [unrolled: 1-line block ×3, first 2 shown]
	v_dot4c_i32_i8_e32 v85, v204, v46
	v_mov_b32_e32 v128, 0
	v_mul_lo_u32 v124, v126, v247
	v_mul_lo_u32 v126, v129, v62
	v_dot4c_i32_i8_e32 v65, v195, v37
	v_add3_u32 v51, s21, v231, v226
	v_add3_u32 v59, s21, v232, v227
	v_add3_u32 v64, s21, v233, v228
	v_dot4c_i32_i8_e32 v85, v205, v47
	v_dot4c_i32_i8_e32 v128, v208, v42
	v_mul_lo_u32 v96, v96, v247
	v_mad_u64_u32 v[214:215], s[20:21], v65, v247, v[126:127]
	v_mad_u64_u32 v[216:217], s[20:21], v127, v62, v[124:125]
	v_dot4c_i32_i8_e32 v85, v202, v48
	v_dot4c_i32_i8_e32 v128, v209, v43
	v_mad_u64_u32 v[254:255], s[20:21], v120, v247, v[98:99]
	v_mad_u64_u32 v[126:127], s[20:21], v58, v62, v[96:97]
	v_cvt_f32_i32_e32 v217, v216
	v_cvt_f32_i32_e32 v216, v214
	v_mul_lo_u32 v98, v57, v246
	v_mul_lo_u32 v120, v236, v245
	v_dot4c_i32_i8_e32 v85, v203, v49
	v_dot4c_i32_i8_e32 v128, v206, v44
	v_cvt_f32_i32_e32 v127, v126
	v_cvt_f32_i32_e32 v126, v254
	v_mad_u64_u32 v[236:237], s[20:21], v237, v246, v[120:121]
	v_mad_u64_u32 v[56:57], s[20:21], v56, v245, v[98:99]
	v_dot4c_i32_i8_e32 v128, v207, v45
	v_mul_lo_u32 v58, v97, v246
	v_mul_lo_u32 v96, v85, v245
	v_cvt_f32_i32_e32 v57, v56
	v_cvt_f32_i32_e32 v56, v236
	s_waitcnt lgkmcnt(0)
	v_mov_b32_e32 v214, v252
	v_mov_b32_e32 v215, v212
	v_mad_u64_u32 v[128:129], s[20:21], v128, v246, v[96:97]
	v_mad_u64_u32 v[96:97], s[20:21], v89, v245, v[58:59]
	v_pk_fma_f32 v[254:255], v[214:215], v[216:217], 0 op_sel_hi:[1,1,0]
	v_mov_b32_e32 v216, v250
	v_mov_b32_e32 v217, v210
	v_cvt_f32_i32_e32 v97, v96
	v_cvt_f32_i32_e32 v96, v128
	v_pk_fma_f32 v[126:127], v[216:217], v[126:127], 0 op_sel_hi:[1,1,0]
	v_mov_b32_e32 v210, v251
	v_pk_fma_f32 v[56:57], v[210:211], v[56:57], v[126:127]
	v_mov_b32_e32 v212, v253
	v_pk_fma_f32 v[26:27], v[130:131], v[56:57], v[26:27]
	ds_read_b32 v56, v51
	v_pk_fma_f32 v[96:97], v[212:213], v[96:97], v[254:255]
	v_mov_b32_e32 v89, 0
	v_pk_fma_f32 v[28:29], v[138:139], v[96:97], v[28:29]
	v_dot4c_i32_i8_e32 v89, v184, v38
	v_mov_b32_e32 v97, 0
	v_dot4c_i32_i8_e32 v89, v185, v39
	v_dot4c_i32_i8_e32 v97, v182, v34
	;; [unrolled: 1-line block ×4, first 2 shown]
	v_mov_b32_e32 v65, 0
	v_dot4c_i32_i8_e32 v89, v181, v41
	v_dot4c_i32_i8_e32 v97, v178, v36
	s_waitcnt lgkmcnt(0)
	v_bfe_i32 v57, v56, 8, 8
	v_bfe_i32 v58, v56, 0, 8
	v_dot4c_i32_i8_e32 v65, v188, v46
	v_dot4c_i32_i8_e32 v97, v179, v37
	v_ashrrev_i32_e32 v51, 24, v56
	v_bfe_i32 v56, v56, 16, 8
	v_mul_lo_u32 v86, v86, v58
	v_mul_lo_u32 v96, v116, v57
	;; [unrolled: 1-line block ×3, first 2 shown]
	v_dot4c_i32_i8_e32 v65, v189, v47
	v_mad_u64_u32 v[126:127], s[20:21], v97, v58, v[116:117]
	v_mad_u64_u32 v[96:97], s[20:21], v235, v58, v[96:97]
	;; [unrolled: 1-line block ×3, first 2 shown]
	v_mul_lo_u32 v82, v82, v56
	v_dot4c_i32_i8_e32 v65, v186, v48
	v_cvt_f32_i32_e32 v97, v236
	v_mad_u64_u32 v[236:237], s[20:21], v60, v51, v[82:83]
	ds_read_b32 v60, v59
	v_dot4c_i32_i8_e32 v65, v187, v49
	v_mov_b32_e32 v85, 0
	v_dot4c_i32_i8_e32 v85, v192, v42
	v_dot4c_i32_i8_e32 v85, v193, v43
	v_mul_lo_u32 v86, v65, v51
	v_mov_b32_e32 v65, 0
	v_dot4c_i32_i8_e32 v65, v172, v46
	v_dot4c_i32_i8_e32 v85, v190, v44
	v_mul_lo_u32 v98, v249, v58
	v_dot4c_i32_i8_e32 v65, v173, v47
	v_dot4c_i32_i8_e32 v85, v191, v45
	v_mad_u64_u32 v[128:129], s[20:21], v248, v57, v[98:99]
	v_mul_lo_u32 v84, v244, v56
	v_mul_lo_u32 v98, v108, v51
	v_dot4c_i32_i8_e32 v65, v170, v48
	s_waitcnt lgkmcnt(0)
	v_bfe_i32 v244, v60, 0, 8
	v_cvt_f32_i32_e32 v127, v128
	v_mad_u64_u32 v[128:129], s[20:21], v110, v56, v[98:99]
	v_mad_u64_u32 v[250:251], s[20:21], v243, v51, v[84:85]
	v_dot4c_i32_i8_e32 v65, v171, v49
	v_bfe_i32 v243, v60, 8, 8
	v_ashrrev_i32_e32 v59, 24, v60
	v_mul_lo_u32 v80, v80, v244
	v_cvt_f32_i32_e32 v96, v96
	v_cvt_f32_i32_e32 v129, v236
	v_mad_u64_u32 v[236:237], s[20:21], v78, v243, v[80:81]
	v_mul_lo_u32 v80, v65, v59
	v_mov_b32_e32 v65, 0
	v_mad_u64_u32 v[248:249], s[20:21], v85, v56, v[86:87]
	v_cvt_f32_i32_e32 v128, v128
	v_mov_b32_e32 v85, 0
	v_dot4c_i32_i8_e32 v65, v160, v46
	v_mov_b32_e32 v46, 0
	v_dot4c_i32_i8_e32 v85, v176, v42
	v_mov_b32_e32 v86, 0
	v_dot4c_i32_i8_e32 v46, v156, v42
	v_mov_b32_e32 v42, 0
	v_cvt_f32_i32_e32 v126, v126
	v_dot4c_i32_i8_e32 v86, v168, v38
	v_dot4c_i32_i8_e32 v42, v152, v38
	v_pk_fma_f32 v[96:97], v[216:217], v[96:97], 0 op_sel_hi:[1,1,0]
	v_cvt_f32_i32_e32 v249, v250
	v_cvt_f32_i32_e32 v248, v248
	v_dot4c_i32_i8_e32 v86, v169, v39
	v_mov_b32_e32 v89, 0
	v_mul_lo_u32 v82, v104, v243
	v_dot4c_i32_i8_e32 v42, v153, v39
	v_mov_b32_e32 v39, 0
	v_pk_fma_f32 v[96:97], v[210:211], v[128:129], v[96:97]
	v_dot4c_i32_i8_e32 v89, v166, v34
	v_mad_u64_u32 v[128:129], s[20:21], v106, v244, v[82:83]
	v_dot4c_i32_i8_e32 v39, v148, v34
	ds_read_b32 v34, v64
	v_dot4c_i32_i8_e32 v85, v177, v43
	v_dot4c_i32_i8_e32 v86, v164, v40
	;; [unrolled: 1-line block ×3, first 2 shown]
	v_cvt_f32_i32_e32 v129, v236
	v_cvt_f32_i32_e32 v128, v128
	v_pk_fma_f32 v[126:127], v[214:215], v[126:127], 0 op_sel_hi:[1,1,0]
	v_dot4c_i32_i8_e32 v85, v174, v44
	v_dot4c_i32_i8_e32 v86, v165, v41
	;; [unrolled: 1-line block ×3, first 2 shown]
	v_bfe_i32 v60, v60, 16, 8
	v_pk_fma_f32 v[126:127], v[212:213], v[248:249], v[126:127]
	v_dot4c_i32_i8_e32 v85, v175, v45
	v_dot4c_i32_i8_e32 v89, v163, v37
	v_mul_lo_u32 v84, v242, v244
	v_mul_lo_u32 v86, v86, v243
	;; [unrolled: 1-line block ×3, first 2 shown]
	v_pk_fma_f32 v[32:33], v[140:141], v[126:127], v[32:33]
	v_pk_fma_f32 v[30:31], v[132:133], v[96:97], v[30:31]
	v_mad_u64_u32 v[96:97], s[20:21], v89, v244, v[86:87]
	v_mad_u64_u32 v[126:127], s[20:21], v241, v243, v[84:85]
	v_mul_lo_u32 v82, v100, v59
	v_mad_u64_u32 v[236:237], s[20:21], v74, v59, v[76:77]
	v_dot4c_i32_i8_e32 v42, v150, v40
	v_dot4c_i32_i8_e32 v39, v149, v35
	v_cvt_f32_i32_e32 v97, v126
	v_pk_fma_f32 v[126:127], v[216:217], v[128:129], 0 op_sel_hi:[1,1,0]
	v_mul_lo_u32 v78, v238, v60
	v_mad_u64_u32 v[128:129], s[20:21], v102, v60, v[82:83]
	v_dot4c_i32_i8_e32 v65, v161, v47
	v_dot4c_i32_i8_e32 v42, v151, v41
	;; [unrolled: 1-line block ×3, first 2 shown]
	s_waitcnt lgkmcnt(0)
	v_bfe_i32 v237, v34, 8, 8
	v_bfe_i32 v238, v34, 0, 8
	v_cvt_f32_i32_e32 v129, v236
	v_dot4c_i32_i8_e32 v65, v158, v48
	v_dot4c_i32_i8_e32 v46, v157, v43
	;; [unrolled: 1-line block ×3, first 2 shown]
	v_ashrrev_i32_e32 v235, 24, v34
	v_bfe_i32 v236, v34, 16, 8
	v_mul_lo_u32 v34, v72, v238
	v_mul_lo_u32 v36, v92, v237
	;; [unrolled: 1-line block ×4, first 2 shown]
	v_dot4c_i32_i8_e32 v65, v159, v49
	v_dot4c_i32_i8_e32 v46, v154, v44
	v_mad_u64_u32 v[40:41], s[20:21], v39, v238, v[40:41]
	v_mad_u64_u32 v[38:39], s[20:21], v239, v237, v[38:39]
	;; [unrolled: 1-line block ×4, first 2 shown]
	v_dot4c_i32_i8_e32 v46, v155, v45
	v_cvt_f32_i32_e32 v35, v34
	v_cvt_f32_i32_e32 v34, v36
	v_cvt_f32_i32_e32 v37, v38
	v_cvt_f32_i32_e32 v36, v40
	v_mul_lo_u32 v38, v114, v236
	v_mul_lo_u32 v40, v65, v235
	;; [unrolled: 1-line block ×4, first 2 shown]
	v_mad_u64_u32 v[44:45], s[20:21], v90, v236, v[44:45]
	v_mad_u64_u32 v[42:43], s[20:21], v66, v235, v[42:43]
	v_mad_u64_u32 v[40:41], s[20:21], v46, v236, v[40:41]
	v_mad_u64_u32 v[38:39], s[20:21], v112, v235, v[38:39]
	v_cvt_f32_i32_e32 v39, v38
	v_cvt_f32_i32_e32 v38, v40
	;; [unrolled: 1-line block ×4, first 2 shown]
	v_pk_fma_f32 v[34:35], v[216:217], v[34:35], 0 op_sel_hi:[1,1,0]
	v_pk_fma_f32 v[36:37], v[214:215], v[36:37], 0 op_sel_hi:[1,1,0]
	v_cvt_f32_i32_e32 v96, v96
	v_pk_fma_f32 v[34:35], v[210:211], v[40:41], v[34:35]
	v_mad_u64_u32 v[248:249], s[20:21], v85, v60, v[80:81]
	v_pk_fma_f32 v[18:19], v[136:137], v[34:35], v[18:19]
	v_or_b32_e32 v34, s19, v109
	v_mad_u64_u32 v[250:251], s[20:21], v118, v59, v[78:79]
	v_pk_fma_f32 v[36:37], v[212:213], v[38:39], v[36:37]
	v_lshlrev_b32_e32 v46, 2, v34
	v_cvt_f32_i32_e32 v249, v250
	v_cvt_f32_i32_e32 v248, v248
	;; [unrolled: 1-line block ×3, first 2 shown]
	v_pk_fma_f32 v[20:21], v[144:145], v[36:37], v[20:21]
	v_lshrrev_b32_e32 v80, 1, v34
	ds_read_b128 v[34:37], v46 offset:33280
	ds_read_b128 v[38:41], v46 offset:33296
	;; [unrolled: 1-line block ×4, first 2 shown]
	v_pk_fma_f32 v[96:97], v[214:215], v[96:97], 0 op_sel_hi:[1,1,0]
	v_pk_fma_f32 v[126:127], v[210:211], v[128:129], v[126:127]
	v_pk_fma_f32 v[96:97], v[212:213], v[248:249], v[96:97]
	v_mov_b32_e32 v90, 0
	v_mov_b32_e32 v94, 0
	;; [unrolled: 1-line block ×16, first 2 shown]
	s_waitcnt lgkmcnt(0)
	v_dot4c_i32_i8_e32 v90, v204, v46
	v_dot4c_i32_i8_e32 v94, v208, v42
	;; [unrolled: 1-line block ×32, first 2 shown]
	v_or_b32_e32 v34, s19, v111
	v_dot4c_i32_i8_e32 v90, v202, v48
	v_dot4c_i32_i8_e32 v94, v206, v44
	v_dot4c_i32_i8_e32 v98, v196, v40
	v_dot4c_i32_i8_e32 v102, v194, v36
	v_dot4c_i32_i8_e32 v72, v186, v48
	v_dot4c_i32_i8_e32 v74, v190, v44
	v_dot4c_i32_i8_e32 v76, v180, v40
	v_dot4c_i32_i8_e32 v78, v178, v36
	v_dot4c_i32_i8_e32 v64, v170, v48
	v_dot4c_i32_i8_e32 v66, v174, v44
	v_dot4c_i32_i8_e32 v68, v164, v40
	v_dot4c_i32_i8_e32 v70, v162, v36
	v_dot4c_i32_i8_e32 v210, v158, v48
	v_dot4c_i32_i8_e32 v211, v154, v44
	v_dot4c_i32_i8_e32 v212, v150, v40
	v_dot4c_i32_i8_e32 v213, v146, v36
	v_lshlrev_b32_e32 v46, 2, v34
	v_dot4c_i32_i8_e32 v90, v203, v49
	v_dot4c_i32_i8_e32 v94, v207, v45
	;; [unrolled: 1-line block ×16, first 2 shown]
	v_lshrrev_b32_e32 v114, 1, v34
	ds_read_b128 v[34:37], v46 offset:33280
	ds_read_b128 v[38:41], v46 offset:33296
	;; [unrolled: 1-line block ×4, first 2 shown]
	v_pk_fma_f32 v[24:25], v[142:143], v[96:97], v[24:25]
	v_mov_b32_e32 v116, 0
	v_mov_b32_e32 v118, 0
	;; [unrolled: 1-line block ×16, first 2 shown]
	s_waitcnt lgkmcnt(0)
	v_dot4c_i32_i8_e32 v116, v204, v46
	v_dot4c_i32_i8_e32 v118, v208, v42
	;; [unrolled: 1-line block ×32, first 2 shown]
	v_or_b32_e32 v34, s19, v113
	v_dot4c_i32_i8_e32 v116, v202, v48
	v_dot4c_i32_i8_e32 v118, v206, v44
	;; [unrolled: 1-line block ×16, first 2 shown]
	v_lshlrev_b32_e32 v46, 2, v34
	v_dot4c_i32_i8_e32 v116, v203, v49
	v_dot4c_i32_i8_e32 v118, v207, v45
	;; [unrolled: 1-line block ×16, first 2 shown]
	v_lshrrev_b32_e32 v85, 1, v34
	ds_read_b128 v[34:37], v46 offset:33280
	ds_read_b128 v[38:41], v46 offset:33296
	;; [unrolled: 1-line block ×4, first 2 shown]
	v_mov_b32_e32 v89, 0
	v_mov_b32_e32 v97, 0
	;; [unrolled: 1-line block ×16, first 2 shown]
	s_waitcnt lgkmcnt(0)
	v_dot4c_i32_i8_e32 v89, v204, v46
	v_dot4c_i32_i8_e32 v97, v208, v42
	;; [unrolled: 1-line block ×32, first 2 shown]
	v_or_b32_e32 v34, s19, v115
	v_dot4c_i32_i8_e32 v89, v202, v48
	v_dot4c_i32_i8_e32 v97, v206, v44
	v_dot4c_i32_i8_e32 v251, v196, v40
	v_dot4c_i32_i8_e32 v252, v194, v36
	v_dot4c_i32_i8_e32 v248, v186, v48
	v_dot4c_i32_i8_e32 v120, v190, v44
	v_dot4c_i32_i8_e32 v65, v180, v40
	v_dot4c_i32_i8_e32 v250, v178, v36
	v_dot4c_i32_i8_e32 v106, v170, v48
	v_dot4c_i32_i8_e32 v108, v174, v44
	v_dot4c_i32_i8_e32 v110, v164, v40
	v_dot4c_i32_i8_e32 v112, v162, v36
	v_dot4c_i32_i8_e32 v239, v158, v48
	v_dot4c_i32_i8_e32 v240, v154, v44
	v_dot4c_i32_i8_e32 v241, v150, v40
	v_dot4c_i32_i8_e32 v242, v146, v36
	v_lshlrev_b32_e32 v46, 2, v34
	v_dot4c_i32_i8_e32 v89, v203, v49
	v_dot4c_i32_i8_e32 v97, v207, v45
	;; [unrolled: 1-line block ×16, first 2 shown]
	v_lshrrev_b32_e32 v128, 1, v34
	ds_read_b128 v[34:37], v46 offset:33280
	ds_read_b128 v[38:41], v46 offset:33296
	;; [unrolled: 1-line block ×4, first 2 shown]
	v_mov_b32_e32 v253, 0
	v_mov_b32_e32 v254, 0
	v_pk_fma_f32 v[22:23], v[134:135], v[126:127], v[22:23]
	s_waitcnt lgkmcnt(1)
	v_dot4c_i32_i8_e32 v254, v208, v42
	s_waitcnt lgkmcnt(0)
	v_dot4c_i32_i8_e32 v253, v204, v46
	v_dot4c_i32_i8_e32 v253, v205, v47
	;; [unrolled: 1-line block ×3, first 2 shown]
	v_mov_b32_e32 v202, 0
	v_dot4c_i32_i8_e32 v202, v200, v38
	v_mov_b32_e32 v200, 0
	v_dot4c_i32_i8_e32 v202, v201, v39
	v_dot4c_i32_i8_e32 v200, v198, v34
	;; [unrolled: 1-line block ×8, first 2 shown]
	ds_read_b64 v[194:195], v80 offset:43584
	ds_read_b64 v[126:127], v114 offset:43584
	ds_read_b64 v[196:197], v85 offset:43584
	ds_read_b64 v[128:129], v128 offset:43584
	v_mul_lo_u32 v114, v252, v247
	v_mul_lo_u32 v198, v202, v62
	v_mul_lo_u32 v94, v94, v246
	v_dot4c_i32_i8_e32 v253, v203, v49
	v_dot4c_i32_i8_e32 v254, v206, v44
	v_mul_lo_u32 v80, v102, v247
	v_mul_lo_u32 v102, v249, v62
	v_mad_u64_u32 v[198:199], s[20:21], v200, v247, v[198:199]
	v_mad_u64_u32 v[200:201], s[20:21], v251, v62, v[114:115]
	;; [unrolled: 1-line block ×3, first 2 shown]
	v_mov_b32_e32 v90, 0
	v_mov_b32_e32 v94, 0
	v_dot4c_i32_i8_e32 v254, v207, v45
	v_mad_u64_u32 v[202:203], s[20:21], v124, v247, v[102:103]
	v_mad_u64_u32 v[204:205], s[20:21], v98, v62, v[80:81]
	v_cvt_f32_i32_e32 v201, v200
	v_cvt_f32_i32_e32 v200, v198
	v_mul_lo_u32 v62, v97, v246
	v_mul_lo_u32 v80, v253, v245
	;; [unrolled: 1-line block ×3, first 2 shown]
	v_dot4c_i32_i8_e32 v90, v184, v38
	v_dot4c_i32_i8_e32 v94, v182, v34
	v_cvt_f32_i32_e32 v203, v204
	v_cvt_f32_i32_e32 v202, v202
	v_mad_u64_u32 v[206:207], s[20:21], v118, v246, v[98:99]
	v_mad_u64_u32 v[246:247], s[20:21], v254, v246, v[80:81]
	;; [unrolled: 1-line block ×3, first 2 shown]
	v_dot4c_i32_i8_e32 v90, v185, v39
	v_dot4c_i32_i8_e32 v94, v183, v35
	v_cvt_f32_i32_e32 v247, v252
	v_cvt_f32_i32_e32 v246, v246
	;; [unrolled: 1-line block ×4, first 2 shown]
	v_mov_b32_e32 v85, 0
	v_dot4c_i32_i8_e32 v90, v180, v40
	v_dot4c_i32_i8_e32 v94, v178, v36
	v_mul_lo_u32 v62, v78, v58
	v_mul_lo_u32 v78, v100, v57
	s_waitcnt lgkmcnt(0)
	v_mov_b32_e32 v198, v128
	v_mov_b32_e32 v199, v196
	v_dot4c_i32_i8_e32 v85, v188, v46
	v_mov_b32_e32 v89, 0
	v_dot4c_i32_i8_e32 v90, v181, v41
	v_dot4c_i32_i8_e32 v94, v179, v37
	v_mad_u64_u32 v[178:179], s[20:21], v104, v58, v[78:79]
	v_mad_u64_u32 v[180:181], s[20:21], v76, v57, v[62:63]
	v_pk_fma_f32 v[204:205], v[198:199], v[200:201], 0 op_sel_hi:[1,1,0]
	v_mov_b32_e32 v200, v126
	v_mov_b32_e32 v201, v194
	v_dot4c_i32_i8_e32 v85, v189, v47
	v_dot4c_i32_i8_e32 v89, v192, v42
	v_cvt_f32_i32_e32 v179, v180
	v_cvt_f32_i32_e32 v178, v178
	v_pk_fma_f32 v[202:203], v[200:201], v[202:203], 0 op_sel_hi:[1,1,0]
	v_mov_b32_e32 v194, v127
	v_mov_b32_e32 v196, v129
	v_dot4c_i32_i8_e32 v85, v186, v48
	v_dot4c_i32_i8_e32 v89, v193, v43
	v_pk_fma_f32 v[126:127], v[194:195], v[206:207], v[202:203]
	v_pk_fma_f32 v[128:129], v[196:197], v[246:247], v[204:205]
	v_dot4c_i32_i8_e32 v85, v187, v49
	v_dot4c_i32_i8_e32 v89, v190, v44
	v_mul_lo_u32 v80, v250, v58
	v_mul_lo_u32 v90, v90, v57
	v_pk_fma_f32 v[16:17], v[138:139], v[128:129], v[16:17]
	v_pk_fma_f32 v[14:15], v[130:131], v[126:127], v[14:15]
	v_dot4c_i32_i8_e32 v89, v191, v45
	v_mad_u64_u32 v[126:127], s[20:21], v94, v58, v[90:91]
	v_mad_u64_u32 v[128:129], s[20:21], v65, v57, v[80:81]
	v_mul_lo_u32 v58, v120, v56
	v_mul_lo_u32 v62, v85, v51
	;; [unrolled: 1-line block ×4, first 2 shown]
	v_cvt_f32_i32_e32 v127, v128
	v_cvt_f32_i32_e32 v126, v126
	v_pk_fma_f32 v[128:129], v[200:201], v[178:179], 0 op_sel_hi:[1,1,0]
	v_mad_u64_u32 v[96:97], s[20:21], v96, v56, v[76:77]
	v_mad_u64_u32 v[178:179], s[20:21], v72, v51, v[74:75]
	;; [unrolled: 1-line block ×4, first 2 shown]
	v_mov_b32_e32 v51, 0
	v_cvt_f32_i32_e32 v57, v180
	v_cvt_f32_i32_e32 v56, v56
	v_dot4c_i32_i8_e32 v51, v172, v46
	v_dot4c_i32_i8_e32 v51, v173, v47
	;; [unrolled: 1-line block ×3, first 2 shown]
	v_pk_fma_f32 v[126:127], v[198:199], v[126:127], 0 op_sel_hi:[1,1,0]
	v_dot4c_i32_i8_e32 v51, v171, v49
	v_mul_lo_u32 v62, v112, v244
	v_pk_fma_f32 v[56:57], v[196:197], v[56:57], v[126:127]
	v_mad_u64_u32 v[126:127], s[20:21], v110, v243, v[62:63]
	v_mul_lo_u32 v62, v51, v59
	v_mov_b32_e32 v51, 0
	v_mov_b32_e32 v72, 0
	v_dot4c_i32_i8_e32 v51, v160, v46
	v_mov_b32_e32 v46, 0
	v_pk_fma_f32 v[12:13], v[140:141], v[56:57], v[12:13]
	v_dot4c_i32_i8_e32 v72, v176, v42
	v_mov_b32_e32 v57, 0
	v_dot4c_i32_i8_e32 v46, v156, v42
	v_mov_b32_e32 v42, 0
	v_dot4c_i32_i8_e32 v57, v168, v38
	v_dot4c_i32_i8_e32 v42, v152, v38
	v_dot4c_i32_i8_e32 v57, v169, v39
	v_dot4c_i32_i8_e32 v42, v153, v39
	v_mov_b32_e32 v39, 0
	v_cvt_f32_i32_e32 v97, v178
	v_cvt_f32_i32_e32 v96, v96
	v_mov_b32_e32 v65, 0
	v_dot4c_i32_i8_e32 v39, v148, v34
	v_dot4c_i32_i8_e32 v65, v166, v34
	v_dot4c_i32_i8_e32 v42, v150, v40
	v_dot4c_i32_i8_e32 v39, v149, v35
	v_dot4c_i32_i8_e32 v57, v164, v40
	v_dot4c_i32_i8_e32 v65, v167, v35
	v_dot4c_i32_i8_e32 v51, v161, v47
	v_dot4c_i32_i8_e32 v42, v151, v41
	v_dot4c_i32_i8_e32 v39, v146, v36
	v_dot4c_i32_i8_e32 v72, v177, v43
	v_dot4c_i32_i8_e32 v57, v165, v41
	v_dot4c_i32_i8_e32 v65, v162, v36
	v_dot4c_i32_i8_e32 v51, v158, v48
	v_dot4c_i32_i8_e32 v46, v157, v43
	v_dot4c_i32_i8_e32 v39, v147, v37
	v_mul_lo_u32 v34, v213, v238
	v_mul_lo_u32 v36, v216, v237
	;; [unrolled: 1-line block ×4, first 2 shown]
	v_pk_fma_f32 v[96:97], v[194:195], v[96:97], v[128:129]
	v_dot4c_i32_i8_e32 v72, v174, v44
	v_dot4c_i32_i8_e32 v65, v163, v37
	v_mul_lo_u32 v56, v70, v244
	v_mul_lo_u32 v58, v86, v243
	v_mul_lo_u32 v70, v57, v243
	v_dot4c_i32_i8_e32 v51, v159, v49
	v_dot4c_i32_i8_e32 v46, v154, v44
	v_mad_u64_u32 v[40:41], s[20:21], v39, v238, v[40:41]
	v_mad_u64_u32 v[38:39], s[20:21], v241, v237, v[38:39]
	;; [unrolled: 1-line block ×4, first 2 shown]
	v_pk_fma_f32 v[10:11], v[132:133], v[96:97], v[10:11]
	v_dot4c_i32_i8_e32 v72, v175, v45
	v_mad_u64_u32 v[96:97], s[20:21], v65, v244, v[70:71]
	v_mad_u64_u32 v[128:129], s[20:21], v88, v244, v[58:59]
	;; [unrolled: 1-line block ×3, first 2 shown]
	v_mul_lo_u32 v58, v108, v60
	v_mul_lo_u32 v66, v66, v60
	;; [unrolled: 1-line block ×3, first 2 shown]
	v_dot4c_i32_i8_e32 v46, v155, v45
	v_cvt_f32_i32_e32 v35, v34
	v_cvt_f32_i32_e32 v34, v36
	;; [unrolled: 1-line block ×4, first 2 shown]
	v_mul_lo_u32 v38, v240, v236
	v_mul_lo_u32 v40, v51, v235
	;; [unrolled: 1-line block ×4, first 2 shown]
	v_cvt_f32_i32_e32 v57, v56
	v_cvt_f32_i32_e32 v56, v128
	;; [unrolled: 1-line block ×4, first 2 shown]
	v_mad_u64_u32 v[126:127], s[20:21], v84, v60, v[68:69]
	v_mad_u64_u32 v[64:65], s[20:21], v64, v59, v[66:67]
	v_mad_u64_u32 v[128:129], s[20:21], v72, v60, v[62:63]
	v_mad_u64_u32 v[58:59], s[20:21], v106, v59, v[58:59]
	v_mad_u64_u32 v[44:45], s[20:21], v215, v236, v[44:45]
	v_mad_u64_u32 v[42:43], s[20:21], v210, v235, v[42:43]
	v_mad_u64_u32 v[40:41], s[20:21], v46, v236, v[40:41]
	v_mad_u64_u32 v[38:39], s[20:21], v239, v235, v[38:39]
	v_cvt_f32_i32_e32 v59, v58
	v_cvt_f32_i32_e32 v58, v128
	;; [unrolled: 1-line block ×8, first 2 shown]
	v_pk_fma_f32 v[96:97], v[198:199], v[96:97], 0 op_sel_hi:[1,1,0]
	v_pk_fma_f32 v[56:57], v[200:201], v[56:57], 0 op_sel_hi:[1,1,0]
	;; [unrolled: 1-line block ×4, first 2 shown]
	v_pk_fma_f32 v[56:57], v[194:195], v[64:65], v[56:57]
	v_pk_fma_f32 v[58:59], v[196:197], v[58:59], v[96:97]
	v_pk_fma_f32 v[34:35], v[194:195], v[40:41], v[34:35]
	v_pk_fma_f32 v[36:37], v[196:197], v[38:39], v[36:37]
	v_pk_fma_f32 v[8:9], v[142:143], v[58:59], v[8:9]
	v_pk_fma_f32 v[6:7], v[134:135], v[56:57], v[6:7]
	v_pk_fma_f32 v[4:5], v[144:145], v[36:37], v[4:5]
	v_pk_fma_f32 v[2:3], v[136:137], v[34:35], v[2:3]
	s_mov_b32 s20, 8
	s_and_b64 vcc, exec, s[0:1]
	s_mov_b64 s[0:1], 0
	s_cbranch_vccnz .LBB136_6
; %bb.7:                                ;   in Loop: Header=BB136_5 Depth=1
	s_barrier
	scratch_load_dword v34, off, off offset:4 ; 4-byte Folded Reload
	v_add_u32_e32 v48, s18, v91
	v_add_u32_e32 v36, v48, v75
	;; [unrolled: 1-line block ×5, first 2 shown]
	v_mad_i64_i32 v[36:37], s[0:1], v36, 36, v[0:1]
	v_mad_i64_i32 v[38:39], s[0:1], v38, 36, v[0:1]
	;; [unrolled: 1-line block ×3, first 2 shown]
	v_add_u32_e32 v42, v48, v81
	v_add_u32_e32 v44, v48, v83
	;; [unrolled: 1-line block ×3, first 2 shown]
	v_mad_u64_u32 v[56:57], s[0:1], v51, 36, s[2:3]
	v_mad_i64_i32 v[42:43], s[0:1], v42, 36, v[0:1]
	v_mad_i64_i32 v[44:45], s[0:1], v44, 36, v[0:1]
	v_mad_i64_i32 v[46:47], s[0:1], v46, 36, v[0:1]
	s_waitcnt vmcnt(0)
	v_add_u32_e32 v34, v48, v34
	v_mad_i64_i32 v[34:35], s[0:1], v34, 36, v[0:1]
	v_add_u32_e32 v48, v48, v87
	v_mad_i64_i32 v[48:49], s[0:1], v48, 36, v[0:1]
	global_load_dword v51, v[56:57], off
	s_nop 0
	global_load_dword v34, v[34:35], off offset:4
	s_nop 0
	global_load_dword v35, v[36:37], off offset:4
	;; [unrolled: 2-line block ×3, first 2 shown]
	global_load_dword v37, v[40:41], off offset:4
	s_nop 0
	global_load_dword v38, v[42:43], off offset:4
	global_load_dword v39, v[44:45], off offset:4
	;; [unrolled: 1-line block ×4, first 2 shown]
	s_mov_b32 s0, 16
	s_waitcnt vmcnt(7)
	ds_write_b32 v218, v34
	s_waitcnt vmcnt(6)
	ds_write_b32 v219, v35
	;; [unrolled: 2-line block ×8, first 2 shown]
	scratch_load_dword v34, off, off        ; 4-byte Folded Reload
	v_cvt_f32_f16_e32 v42, v51
	s_waitcnt vmcnt(0)
	ds_write_b32 v34, v42
	s_waitcnt lgkmcnt(0)
	s_barrier
	ds_read_b32 v130, v73
	ds_read_b32 v132, v93 offset:128
	ds_read_b32 v134, v50 offset:256
	;; [unrolled: 1-line block ×3, first 2 shown]
	s_waitcnt lgkmcnt(3)
	v_mov_b32_e32 v131, v130
	v_mov_b32_e32 v138, v130
	v_mov_b32_e32 v139, v130
	s_waitcnt lgkmcnt(2)
	v_mov_b32_e32 v133, v132
	v_mov_b32_e32 v140, v132
	v_mov_b32_e32 v141, v132
	;; [unrolled: 4-line block ×4, first 2 shown]
.LBB136_8:                              ;   Parent Loop BB136_5 Depth=1
                                        ; =>  This Inner Loop Header: Depth=2
	s_lshl_b32 s1, s0, 1
	s_and_b32 s1, s1, 16
	v_or_b32_e32 v34, s1, v63
	s_lshl_b32 s19, s0, 3
	v_lshlrev_b32_e32 v46, 2, v34
	v_add_u32_e32 v56, s19, v117
	v_lshrrev_b32_e32 v51, 1, v34
	ds_read_b128 v[34:37], v46 offset:33280
	ds_read_b128 v[38:41], v46 offset:33296
	;; [unrolled: 1-line block ×4, first 2 shown]
	ds_read2_b32 v[196:197], v56 offset0:6 offset1:7
	ds_read2_b32 v[200:201], v56 offset0:4 offset1:5
	;; [unrolled: 1-line block ×3, first 2 shown]
	ds_read2_b32 v[198:199], v56 offset1:1
	ds_read2_b32 v[202:203], v56 offset0:14 offset1:15
	ds_read2_b32 v[204:205], v56 offset0:12 offset1:13
	;; [unrolled: 1-line block ×4, first 2 shown]
	v_add_u32_e32 v56, s19, v119
	ds_read2_b32 v[182:183], v56 offset0:6 offset1:7
	ds_read2_b32 v[184:185], v56 offset0:4 offset1:5
	;; [unrolled: 1-line block ×3, first 2 shown]
	ds_read2_b32 v[180:181], v56 offset1:1
	ds_read2_b32 v[186:187], v56 offset0:14 offset1:15
	ds_read2_b32 v[188:189], v56 offset0:12 offset1:13
	;; [unrolled: 1-line block ×4, first 2 shown]
	v_add_u32_e32 v56, s19, v121
	v_add_u32_e32 v58, s19, v125
	ds_read2_b32 v[166:167], v56 offset0:6 offset1:7
	ds_read2_b32 v[168:169], v56 offset0:4 offset1:5
	;; [unrolled: 1-line block ×3, first 2 shown]
	ds_read2_b32 v[164:165], v56 offset1:1
	ds_read2_b32 v[170:171], v56 offset0:14 offset1:15
	ds_read2_b32 v[172:173], v56 offset0:12 offset1:13
	;; [unrolled: 1-line block ×7, first 2 shown]
	ds_read2_b32 v[148:149], v58 offset1:1
	ds_read2_b32 v[158:159], v58 offset0:14 offset1:15
	ds_read2_b32 v[160:161], v58 offset0:12 offset1:13
	;; [unrolled: 1-line block ×4, first 2 shown]
	v_mov_b32_e32 v84, 0
	v_mov_b32_e32 v88, 0
	;; [unrolled: 1-line block ×16, first 2 shown]
	s_waitcnt lgkmcnt(14)
	v_dot4c_i32_i8_e32 v84, v204, v46
	v_dot4c_i32_i8_e32 v88, v208, v42
	v_dot4c_i32_i8_e32 v94, v200, v38
	v_dot4c_i32_i8_e32 v96, v198, v34
	v_dot4c_i32_i8_e32 v74, v188, v46
	v_dot4c_i32_i8_e32 v76, v192, v42
	v_dot4c_i32_i8_e32 v78, v184, v38
	v_dot4c_i32_i8_e32 v80, v180, v34
	s_waitcnt lgkmcnt(10)
	v_dot4c_i32_i8_e32 v64, v172, v46
	s_waitcnt lgkmcnt(8)
	v_dot4c_i32_i8_e32 v66, v176, v42
	v_dot4c_i32_i8_e32 v68, v168, v38
	;; [unrolled: 1-line block ×3, first 2 shown]
	s_waitcnt lgkmcnt(2)
	v_dot4c_i32_i8_e32 v57, v160, v46
	s_waitcnt lgkmcnt(0)
	v_dot4c_i32_i8_e32 v58, v156, v42
	v_dot4c_i32_i8_e32 v59, v152, v38
	;; [unrolled: 1-line block ×19, first 2 shown]
	v_or_b32_e32 v34, s1, v103
	v_dot4c_i32_i8_e32 v84, v202, v48
	v_dot4c_i32_i8_e32 v88, v206, v44
	;; [unrolled: 1-line block ×16, first 2 shown]
	v_lshlrev_b32_e32 v46, 2, v34
	v_dot4c_i32_i8_e32 v84, v203, v49
	v_dot4c_i32_i8_e32 v88, v207, v45
	;; [unrolled: 1-line block ×16, first 2 shown]
	v_lshrrev_b32_e32 v212, 1, v34
	ds_read_b128 v[34:37], v46 offset:33280
	ds_read_b128 v[38:41], v46 offset:33296
	;; [unrolled: 1-line block ×4, first 2 shown]
	v_mov_b32_e32 v235, 0
	v_mov_b32_e32 v237, 0
	;; [unrolled: 1-line block ×16, first 2 shown]
	s_waitcnt lgkmcnt(0)
	v_dot4c_i32_i8_e32 v235, v204, v46
	v_dot4c_i32_i8_e32 v237, v208, v42
	;; [unrolled: 1-line block ×32, first 2 shown]
	v_or_b32_e32 v34, s1, v105
	v_dot4c_i32_i8_e32 v235, v202, v48
	v_dot4c_i32_i8_e32 v237, v206, v44
	;; [unrolled: 1-line block ×16, first 2 shown]
	v_lshlrev_b32_e32 v46, 2, v34
	v_dot4c_i32_i8_e32 v235, v203, v49
	v_dot4c_i32_i8_e32 v237, v207, v45
	;; [unrolled: 1-line block ×16, first 2 shown]
	v_lshrrev_b32_e32 v85, 1, v34
	ds_read_b128 v[34:37], v46 offset:33280
	ds_read_b128 v[38:41], v46 offset:33296
	;; [unrolled: 1-line block ×4, first 2 shown]
	v_mov_b32_e32 v89, 0
	v_mov_b32_e32 v240, 0
	;; [unrolled: 1-line block ×16, first 2 shown]
	s_lshr_b32 s18, s0, 1
	s_waitcnt lgkmcnt(0)
	v_dot4c_i32_i8_e32 v89, v204, v46
	v_dot4c_i32_i8_e32 v240, v208, v42
	;; [unrolled: 1-line block ×16, first 2 shown]
	s_add_i32 s18, s18, 0xa200
	v_dot4c_i32_i8_e32 v89, v205, v47
	v_dot4c_i32_i8_e32 v240, v209, v43
	v_dot4c_i32_i8_e32 v97, v201, v39
	v_dot4c_i32_i8_e32 v214, v199, v35
	v_dot4c_i32_i8_e32 v242, v189, v47
	v_dot4c_i32_i8_e32 v243, v193, v43
	v_dot4c_i32_i8_e32 v244, v185, v39
	v_dot4c_i32_i8_e32 v245, v181, v35
	v_dot4c_i32_i8_e32 v236, v173, v47
	v_dot4c_i32_i8_e32 v118, v177, v43
	v_dot4c_i32_i8_e32 v120, v169, v39
	v_dot4c_i32_i8_e32 v250, v165, v35
	v_dot4c_i32_i8_e32 v110, v161, v47
	v_dot4c_i32_i8_e32 v114, v157, v43
	v_dot4c_i32_i8_e32 v248, v153, v39
	v_dot4c_i32_i8_e32 v249, v149, v35
	v_or_b32_e32 v34, s1, v107
	v_add3_u32 v98, s18, v229, v230
	v_dot4c_i32_i8_e32 v89, v202, v48
	v_dot4c_i32_i8_e32 v240, v206, v44
	;; [unrolled: 1-line block ×16, first 2 shown]
	v_lshlrev_b32_e32 v46, 2, v34
	v_dot4c_i32_i8_e32 v89, v203, v49
	v_dot4c_i32_i8_e32 v240, v207, v45
	v_dot4c_i32_i8_e32 v97, v197, v41
	v_dot4c_i32_i8_e32 v214, v195, v37
	v_dot4c_i32_i8_e32 v242, v187, v49
	v_dot4c_i32_i8_e32 v243, v191, v45
	v_dot4c_i32_i8_e32 v244, v183, v41
	v_dot4c_i32_i8_e32 v245, v179, v37
	v_dot4c_i32_i8_e32 v236, v171, v49
	v_dot4c_i32_i8_e32 v118, v175, v45
	v_dot4c_i32_i8_e32 v120, v167, v41
	v_dot4c_i32_i8_e32 v250, v163, v37
	v_dot4c_i32_i8_e32 v110, v159, v49
	v_dot4c_i32_i8_e32 v114, v155, v45
	v_dot4c_i32_i8_e32 v248, v151, v41
	v_dot4c_i32_i8_e32 v249, v147, v37
	v_lshrrev_b32_e32 v128, 1, v34
	ds_read_b128 v[34:37], v46 offset:33280
	ds_read_b128 v[38:41], v46 offset:33296
	;; [unrolled: 1-line block ×4, first 2 shown]
	ds_read_b64 v[210:211], v51 offset:43584
	ds_read_b32 v98, v98
	v_mov_b32_e32 v215, 0
	s_waitcnt lgkmcnt(4)
	v_dot4c_i32_i8_e32 v215, v200, v38
	v_dot4c_i32_i8_e32 v215, v201, v39
	;; [unrolled: 1-line block ×3, first 2 shown]
	s_waitcnt lgkmcnt(0)
	v_bfe_i32 v255, v98, 8, 8
	v_bfe_i32 v51, v98, 0, 8
	v_dot4c_i32_i8_e32 v215, v197, v41
	v_ashrrev_i32_e32 v246, 24, v98
	v_bfe_i32 v247, v98, 16, 8
	ds_read_b64 v[126:127], v212 offset:43584
	ds_read_b64 v[212:213], v85 offset:43584
	;; [unrolled: 1-line block ×3, first 2 shown]
	v_mov_b32_e32 v85, 0
	v_mul_lo_u32 v98, v124, v255
	v_mul_lo_u32 v124, v214, v51
	;; [unrolled: 1-line block ×3, first 2 shown]
	v_mov_b32_e32 v215, 0
	v_dot4c_i32_i8_e32 v85, v204, v46
	v_mov_b32_e32 v251, 0
	v_dot4c_i32_i8_e32 v215, v198, v34
	v_dot4c_i32_i8_e32 v85, v205, v47
	v_dot4c_i32_i8_e32 v251, v208, v42
	v_dot4c_i32_i8_e32 v215, v199, v35
	v_dot4c_i32_i8_e32 v85, v202, v48
	v_dot4c_i32_i8_e32 v251, v209, v43
	v_dot4c_i32_i8_e32 v215, v194, v36
	v_dot4c_i32_i8_e32 v85, v203, v49
	v_dot4c_i32_i8_e32 v251, v206, v44
	v_mul_lo_u32 v96, v96, v51
	v_dot4c_i32_i8_e32 v215, v195, v37
	v_add3_u32 v72, s18, v231, v226
	v_add3_u32 v62, s18, v232, v227
	;; [unrolled: 1-line block ×3, first 2 shown]
	v_dot4c_i32_i8_e32 v251, v207, v45
	v_mad_u64_u32 v[214:215], s[18:19], v215, v51, v[214:215]
	v_mad_u64_u32 v[216:217], s[18:19], v97, v255, v[124:125]
	;; [unrolled: 1-line block ×4, first 2 shown]
	v_mul_lo_u32 v94, v240, v247
	v_mul_lo_u32 v98, v85, v246
	;; [unrolled: 1-line block ×3, first 2 shown]
	v_cvt_f32_i32_e32 v217, v216
	v_cvt_f32_i32_e32 v216, v214
	v_mul_lo_u32 v124, v235, v246
	v_mad_u64_u32 v[252:253], s[18:19], v84, v246, v[88:89]
	v_mad_u64_u32 v[84:85], s[18:19], v251, v247, v[98:99]
	;; [unrolled: 1-line block ×3, first 2 shown]
	v_cvt_f32_i32_e32 v97, v96
	v_cvt_f32_i32_e32 v96, v238
	v_mad_u64_u32 v[240:241], s[18:19], v237, v247, v[124:125]
	v_cvt_f32_i32_e32 v85, v88
	v_cvt_f32_i32_e32 v84, v84
	;; [unrolled: 1-line block ×4, first 2 shown]
	s_waitcnt lgkmcnt(0)
	v_mov_b32_e32 v214, v128
	v_mov_b32_e32 v215, v212
	v_pk_fma_f32 v[238:239], v[214:215], v[216:217], 0 op_sel_hi:[1,1,0]
	v_mov_b32_e32 v216, v126
	v_mov_b32_e32 v217, v210
	;; [unrolled: 1-line block ×3, first 2 shown]
	ds_read_b32 v72, v72
	ds_read_b32 v62, v62
	v_pk_fma_f32 v[96:97], v[216:217], v[96:97], 0 op_sel_hi:[1,1,0]
	v_mov_b32_e32 v210, v127
	v_pk_fma_f32 v[84:85], v[212:213], v[84:85], v[238:239]
	v_pk_fma_f32 v[88:89], v[210:211], v[88:89], v[96:97]
	;; [unrolled: 1-line block ×3, first 2 shown]
	v_mov_b32_e32 v85, 0
	v_pk_fma_f32 v[26:27], v[130:131], v[88:89], v[26:27]
	v_mov_b32_e32 v65, 0
	v_dot4c_i32_i8_e32 v85, v184, v38
	v_mov_b32_e32 v89, 0
	v_dot4c_i32_i8_e32 v65, v188, v46
	;; [unrolled: 2-line block ×3, first 2 shown]
	v_dot4c_i32_i8_e32 v89, v180, v34
	v_dot4c_i32_i8_e32 v65, v189, v47
	;; [unrolled: 1-line block ×5, first 2 shown]
	s_waitcnt lgkmcnt(1)
	v_bfe_i32 v240, v72, 8, 8
	v_bfe_i32 v241, v72, 0, 8
	v_dot4c_i32_i8_e32 v65, v186, v48
	v_dot4c_i32_i8_e32 v94, v193, v43
	;; [unrolled: 1-line block ×4, first 2 shown]
	v_ashrrev_i32_e32 v238, 24, v72
	v_bfe_i32 v239, v72, 16, 8
	v_mul_lo_u32 v72, v80, v241
	v_mul_lo_u32 v80, v116, v240
	v_dot4c_i32_i8_e32 v65, v187, v49
	v_dot4c_i32_i8_e32 v94, v190, v44
	v_dot4c_i32_i8_e32 v89, v179, v37
	v_mul_lo_u32 v84, v245, v241
	v_mul_lo_u32 v88, v85, v240
	v_mad_u64_u32 v[96:97], s[18:19], v234, v241, v[80:81]
	v_mad_u64_u32 v[126:127], s[18:19], v78, v240, v[72:73]
	v_dot4c_i32_i8_e32 v94, v191, v45
	v_mad_u64_u32 v[88:89], s[18:19], v89, v241, v[88:89]
	v_mad_u64_u32 v[84:85], s[18:19], v244, v240, v[84:85]
	v_cvt_f32_i32_e32 v97, v126
	v_cvt_f32_i32_e32 v96, v96
	v_mul_lo_u32 v72, v243, v239
	v_mul_lo_u32 v78, v65, v238
	v_cvt_f32_i32_e32 v85, v84
	v_cvt_f32_i32_e32 v84, v88
	v_mad_u64_u32 v[128:129], s[18:19], v94, v239, v[78:79]
	v_mad_u64_u32 v[234:235], s[18:19], v242, v238, v[72:73]
	v_cvt_f32_i32_e32 v129, v234
	v_cvt_f32_i32_e32 v128, v128
	v_mul_lo_u32 v76, v76, v239
	v_mul_lo_u32 v80, v108, v238
	s_waitcnt lgkmcnt(0)
	v_bfe_i32 v245, v62, 0, 8
	v_pk_fma_f32 v[88:89], v[216:217], v[96:97], 0 op_sel_hi:[1,1,0]
	v_mad_u64_u32 v[96:97], s[18:19], v112, v239, v[80:81]
	v_mad_u64_u32 v[126:127], s[18:19], v74, v238, v[76:77]
	v_bfe_i32 v244, v62, 8, 8
	v_ashrrev_i32_e32 v242, 24, v62
	v_bfe_i32 v243, v62, 16, 8
	v_mul_lo_u32 v62, v70, v245
	v_pk_fma_f32 v[84:85], v[214:215], v[84:85], 0 op_sel_hi:[1,1,0]
	v_cvt_f32_i32_e32 v97, v126
	v_mad_u64_u32 v[126:127], s[18:19], v68, v244, v[62:63]
	v_mul_lo_u32 v62, v118, v243
	v_pk_fma_f32 v[84:85], v[212:213], v[128:129], v[84:85]
	v_mov_b32_e32 v65, 0
	v_mad_u64_u32 v[128:129], s[18:19], v236, v242, v[62:63]
	v_mov_b32_e32 v62, 0
	v_dot4c_i32_i8_e32 v65, v172, v46
	v_mov_b32_e32 v76, 0
	v_dot4c_i32_i8_e32 v62, v160, v46
	;; [unrolled: 2-line block ×5, first 2 shown]
	v_dot4c_i32_i8_e32 v42, v152, v38
	v_dot4c_i32_i8_e32 v74, v169, v39
	v_mov_b32_e32 v78, 0
	v_dot4c_i32_i8_e32 v42, v153, v39
	v_mov_b32_e32 v39, 0
	v_dot4c_i32_i8_e32 v78, v164, v34
	v_dot4c_i32_i8_e32 v39, v148, v34
	ds_read_b32 v34, v56
	v_dot4c_i32_i8_e32 v42, v150, v40
	v_dot4c_i32_i8_e32 v39, v149, v35
	;; [unrolled: 1-line block ×6, first 2 shown]
	s_waitcnt lgkmcnt(0)
	v_bfe_i32 v236, v34, 8, 8
	v_bfe_i32 v237, v34, 0, 8
	v_dot4c_i32_i8_e32 v74, v166, v40
	v_dot4c_i32_i8_e32 v78, v162, v36
	;; [unrolled: 1-line block ×5, first 2 shown]
	v_ashrrev_i32_e32 v234, 24, v34
	v_bfe_i32 v235, v34, 16, 8
	v_mul_lo_u32 v34, v60, v237
	v_mul_lo_u32 v36, v90, v236
	;; [unrolled: 1-line block ×4, first 2 shown]
	v_cvt_f32_i32_e32 v96, v96
	v_dot4c_i32_i8_e32 v76, v177, v43
	v_dot4c_i32_i8_e32 v74, v167, v41
	;; [unrolled: 1-line block ×5, first 2 shown]
	v_mad_u64_u32 v[40:41], s[18:19], v39, v237, v[40:41]
	v_mad_u64_u32 v[38:39], s[18:19], v248, v236, v[38:39]
	v_mad_u64_u32 v[36:37], s[18:19], v92, v237, v[36:37]
	v_mad_u64_u32 v[34:35], s[18:19], v59, v236, v[34:35]
	v_dot4c_i32_i8_e32 v76, v174, v44
	v_dot4c_i32_i8_e32 v46, v155, v45
	v_cvt_f32_i32_e32 v35, v34
	v_cvt_f32_i32_e32 v34, v36
	v_cvt_f32_i32_e32 v37, v38
	v_cvt_f32_i32_e32 v36, v40
	v_mul_lo_u32 v38, v114, v235
	v_mul_lo_u32 v40, v62, v234
	;; [unrolled: 1-line block ×4, first 2 shown]
	v_dot4c_i32_i8_e32 v76, v175, v45
	v_mad_u64_u32 v[44:45], s[18:19], v86, v235, v[44:45]
	v_mad_u64_u32 v[42:43], s[18:19], v57, v234, v[42:43]
	;; [unrolled: 1-line block ×4, first 2 shown]
	v_mul_lo_u32 v70, v104, v244
	v_cvt_f32_i32_e32 v39, v38
	v_cvt_f32_i32_e32 v38, v40
	;; [unrolled: 1-line block ×4, first 2 shown]
	v_pk_fma_f32 v[88:89], v[210:211], v[96:97], v[88:89]
	v_mad_u64_u32 v[96:97], s[18:19], v106, v245, v[70:71]
	v_dot4c_i32_i8_e32 v65, v173, v47
	v_cvt_f32_i32_e32 v97, v126
	v_cvt_f32_i32_e32 v96, v96
	v_dot4c_i32_i8_e32 v65, v170, v48
	v_pk_fma_f32 v[34:35], v[216:217], v[34:35], 0 op_sel_hi:[1,1,0]
	v_dot4c_i32_i8_e32 v65, v171, v49
	v_mul_lo_u32 v72, v250, v245
	v_mul_lo_u32 v74, v74, v244
	v_pk_fma_f32 v[34:35], v[210:211], v[40:41], v[34:35]
	v_pk_fma_f32 v[32:33], v[140:141], v[84:85], v[32:33]
	;; [unrolled: 1-line block ×3, first 2 shown]
	v_mad_u64_u32 v[84:85], s[18:19], v78, v245, v[74:75]
	v_mad_u64_u32 v[88:89], s[18:19], v120, v244, v[72:73]
	v_mul_lo_u32 v68, v65, v242
	v_mul_lo_u32 v66, v66, v243
	;; [unrolled: 1-line block ×3, first 2 shown]
	v_pk_fma_f32 v[36:37], v[214:215], v[36:37], 0 op_sel_hi:[1,1,0]
	v_pk_fma_f32 v[18:19], v[136:137], v[34:35], v[18:19]
	v_or_b32_e32 v34, s1, v109
	v_cvt_f32_i32_e32 v85, v88
	v_cvt_f32_i32_e32 v84, v84
	v_pk_fma_f32 v[88:89], v[216:217], v[96:97], 0 op_sel_hi:[1,1,0]
	v_mad_u64_u32 v[96:97], s[18:19], v102, v243, v[70:71]
	v_mad_u64_u32 v[64:65], s[18:19], v64, v242, v[66:67]
	;; [unrolled: 1-line block ×3, first 2 shown]
	v_pk_fma_f32 v[36:37], v[212:213], v[38:39], v[36:37]
	v_lshlrev_b32_e32 v46, 2, v34
	v_cvt_f32_i32_e32 v127, v128
	v_cvt_f32_i32_e32 v126, v126
	;; [unrolled: 1-line block ×4, first 2 shown]
	v_pk_fma_f32 v[20:21], v[144:145], v[36:37], v[20:21]
	v_lshrrev_b32_e32 v108, 1, v34
	ds_read_b128 v[34:37], v46 offset:33280
	ds_read_b128 v[38:41], v46 offset:33296
	;; [unrolled: 1-line block ×4, first 2 shown]
	v_pk_fma_f32 v[84:85], v[214:215], v[84:85], 0 op_sel_hi:[1,1,0]
	v_pk_fma_f32 v[64:65], v[210:211], v[64:65], v[88:89]
	v_pk_fma_f32 v[84:85], v[212:213], v[126:127], v[84:85]
	v_mov_b32_e32 v94, 0
	v_mov_b32_e32 v96, 0
	;; [unrolled: 1-line block ×16, first 2 shown]
	s_waitcnt lgkmcnt(0)
	v_dot4c_i32_i8_e32 v94, v204, v46
	v_dot4c_i32_i8_e32 v96, v208, v42
	v_dot4c_i32_i8_e32 v98, v200, v38
	v_dot4c_i32_i8_e32 v100, v198, v34
	v_dot4c_i32_i8_e32 v57, v188, v46
	v_dot4c_i32_i8_e32 v56, v192, v42
	v_dot4c_i32_i8_e32 v58, v184, v38
	v_dot4c_i32_i8_e32 v60, v180, v34
	v_dot4c_i32_i8_e32 v252, v172, v46
	v_dot4c_i32_i8_e32 v253, v176, v42
	v_dot4c_i32_i8_e32 v254, v168, v38
	v_dot4c_i32_i8_e32 v59, v164, v34
	v_dot4c_i32_i8_e32 v210, v160, v46
	v_dot4c_i32_i8_e32 v211, v156, v42
	v_dot4c_i32_i8_e32 v212, v152, v38
	v_dot4c_i32_i8_e32 v213, v148, v34
	v_dot4c_i32_i8_e32 v94, v205, v47
	v_dot4c_i32_i8_e32 v96, v209, v43
	v_dot4c_i32_i8_e32 v98, v201, v39
	v_dot4c_i32_i8_e32 v100, v199, v35
	v_dot4c_i32_i8_e32 v57, v189, v47
	v_dot4c_i32_i8_e32 v56, v193, v43
	v_dot4c_i32_i8_e32 v58, v185, v39
	v_dot4c_i32_i8_e32 v60, v181, v35
	v_dot4c_i32_i8_e32 v252, v173, v47
	v_dot4c_i32_i8_e32 v253, v177, v43
	v_dot4c_i32_i8_e32 v254, v169, v39
	v_dot4c_i32_i8_e32 v59, v165, v35
	v_dot4c_i32_i8_e32 v210, v161, v47
	v_dot4c_i32_i8_e32 v211, v157, v43
	v_dot4c_i32_i8_e32 v212, v153, v39
	v_dot4c_i32_i8_e32 v213, v149, v35
	v_or_b32_e32 v34, s1, v111
	v_dot4c_i32_i8_e32 v94, v202, v48
	v_dot4c_i32_i8_e32 v96, v206, v44
	;; [unrolled: 1-line block ×16, first 2 shown]
	v_lshlrev_b32_e32 v46, 2, v34
	v_dot4c_i32_i8_e32 v94, v203, v49
	v_dot4c_i32_i8_e32 v96, v207, v45
	;; [unrolled: 1-line block ×16, first 2 shown]
	v_lshrrev_b32_e32 v106, 1, v34
	ds_read_b128 v[34:37], v46 offset:33280
	ds_read_b128 v[38:41], v46 offset:33296
	;; [unrolled: 1-line block ×4, first 2 shown]
	v_pk_fma_f32 v[22:23], v[134:135], v[64:65], v[22:23]
	v_mov_b32_e32 v102, 0
	v_mov_b32_e32 v104, 0
	;; [unrolled: 1-line block ×16, first 2 shown]
	s_waitcnt lgkmcnt(0)
	v_dot4c_i32_i8_e32 v102, v204, v46
	v_dot4c_i32_i8_e32 v104, v208, v42
	;; [unrolled: 1-line block ×32, first 2 shown]
	v_or_b32_e32 v34, s1, v113
	v_dot4c_i32_i8_e32 v102, v202, v48
	v_dot4c_i32_i8_e32 v104, v206, v44
	;; [unrolled: 1-line block ×16, first 2 shown]
	v_lshlrev_b32_e32 v46, 2, v34
	v_dot4c_i32_i8_e32 v102, v203, v49
	v_dot4c_i32_i8_e32 v104, v207, v45
	;; [unrolled: 1-line block ×16, first 2 shown]
	v_lshrrev_b32_e32 v118, 1, v34
	ds_read_b128 v[34:37], v46 offset:33280
	ds_read_b128 v[38:41], v46 offset:33296
	ds_read_b128 v[42:45], v46 offset:33312
	ds_read_b128 v[46:49], v46 offset:33328
	v_pk_fma_f32 v[24:25], v[142:143], v[84:85], v[24:25]
	v_mov_b32_e32 v114, 0
	v_mov_b32_e32 v116, 0
	;; [unrolled: 1-line block ×16, first 2 shown]
	s_waitcnt lgkmcnt(0)
	v_dot4c_i32_i8_e32 v114, v204, v46
	v_dot4c_i32_i8_e32 v116, v208, v42
	;; [unrolled: 1-line block ×32, first 2 shown]
	v_or_b32_e32 v34, s1, v115
	v_dot4c_i32_i8_e32 v114, v202, v48
	v_dot4c_i32_i8_e32 v116, v206, v44
	;; [unrolled: 1-line block ×16, first 2 shown]
	v_lshlrev_b32_e32 v46, 2, v34
	v_dot4c_i32_i8_e32 v114, v203, v49
	v_dot4c_i32_i8_e32 v116, v207, v45
	;; [unrolled: 1-line block ×16, first 2 shown]
	v_lshrrev_b32_e32 v126, 1, v34
	ds_read_b128 v[34:37], v46 offset:33280
	ds_read_b128 v[38:41], v46 offset:33296
	;; [unrolled: 1-line block ×4, first 2 shown]
	v_mov_b32_e32 v124, 0
	v_mul_lo_u32 v100, v100, v51
	v_mul_lo_u32 v96, v96, v247
	;; [unrolled: 1-line block ×3, first 2 shown]
	s_waitcnt lgkmcnt(0)
	v_dot4c_i32_i8_e32 v124, v204, v46
	v_dot4c_i32_i8_e32 v124, v205, v47
	;; [unrolled: 1-line block ×4, first 2 shown]
	v_mov_b32_e32 v203, 0
	v_dot4c_i32_i8_e32 v203, v200, v38
	v_mov_b32_e32 v200, 0
	v_dot4c_i32_i8_e32 v203, v201, v39
	v_dot4c_i32_i8_e32 v200, v198, v34
	v_mov_b32_e32 v202, 0
	v_dot4c_i32_i8_e32 v203, v196, v40
	v_dot4c_i32_i8_e32 v200, v199, v35
	;; [unrolled: 1-line block ×7, first 2 shown]
	ds_read_b64 v[194:195], v108 offset:43584
	ds_read_b64 v[128:129], v106 offset:43584
	;; [unrolled: 1-line block ×4, first 2 shown]
	v_mul_lo_u32 v106, v110, v255
	v_mul_lo_u32 v108, v65, v51
	;; [unrolled: 1-line block ×3, first 2 shown]
	v_dot4c_i32_i8_e32 v202, v206, v44
	v_mad_u64_u32 v[198:199], s[18:19], v200, v51, v[110:111]
	v_mad_u64_u32 v[200:201], s[18:19], v120, v255, v[108:109]
	v_dot4c_i32_i8_e32 v202, v207, v45
	v_mad_u64_u32 v[204:205], s[18:19], v112, v51, v[106:107]
	v_mad_u64_u32 v[206:207], s[18:19], v98, v255, v[100:101]
	v_cvt_f32_i32_e32 v201, v200
	v_cvt_f32_i32_e32 v200, v198
	;; [unrolled: 1-line block ×4, first 2 shown]
	v_mad_u64_u32 v[208:209], s[18:19], v104, v247, v[102:103]
	v_mad_u64_u32 v[96:97], s[18:19], v94, v246, v[96:97]
	v_mov_b32_e32 v85, 0
	v_cvt_f32_i32_e32 v97, v96
	v_cvt_f32_i32_e32 v96, v208
	v_dot4c_i32_i8_e32 v85, v184, v38
	v_mov_b32_e32 v89, 0
	s_waitcnt lgkmcnt(0)
	v_mov_b32_e32 v198, v126
	v_mov_b32_e32 v199, v196
	v_mul_lo_u32 v98, v116, v247
	v_mul_lo_u32 v100, v124, v246
	v_dot4c_i32_i8_e32 v85, v185, v39
	v_dot4c_i32_i8_e32 v89, v180, v34
	v_pk_fma_f32 v[206:207], v[198:199], v[200:201], 0 op_sel_hi:[1,1,0]
	v_mov_b32_e32 v200, v128
	v_mov_b32_e32 v201, v194
	v_mad_u64_u32 v[202:203], s[18:19], v202, v247, v[100:101]
	v_mad_u64_u32 v[246:247], s[18:19], v114, v246, v[98:99]
	v_dot4c_i32_i8_e32 v85, v182, v40
	v_dot4c_i32_i8_e32 v89, v181, v35
	v_pk_fma_f32 v[204:205], v[200:201], v[204:205], 0 op_sel_hi:[1,1,0]
	v_cvt_f32_i32_e32 v203, v246
	v_cvt_f32_i32_e32 v202, v202
	v_mov_b32_e32 v194, v129
	v_dot4c_i32_i8_e32 v85, v183, v41
	v_dot4c_i32_i8_e32 v89, v178, v36
	v_mul_lo_u32 v60, v60, v241
	v_mul_lo_u32 v74, v74, v240
	v_pk_fma_f32 v[96:97], v[194:195], v[96:97], v[204:205]
	v_dot4c_i32_i8_e32 v89, v179, v37
	v_mul_lo_u32 v94, v85, v240
	v_mad_u64_u32 v[128:129], s[18:19], v76, v241, v[74:75]
	v_mad_u64_u32 v[178:179], s[18:19], v58, v240, v[60:61]
	v_mul_lo_u32 v56, v56, v239
	v_mul_lo_u32 v70, v70, v238
	v_pk_fma_f32 v[14:15], v[130:131], v[96:97], v[14:15]
	v_mad_u64_u32 v[96:97], s[18:19], v89, v241, v[94:95]
	v_cvt_f32_i32_e32 v129, v178
	v_cvt_f32_i32_e32 v128, v128
	v_mul_lo_u32 v58, v88, v239
	v_mad_u64_u32 v[88:89], s[18:19], v72, v239, v[70:71]
	v_mad_u64_u32 v[56:57], s[18:19], v57, v238, v[56:57]
	v_mov_b32_e32 v196, v127
	v_mov_b32_e32 v51, 0
	v_cvt_f32_i32_e32 v57, v56
	v_cvt_f32_i32_e32 v56, v88
	v_pk_fma_f32 v[126:127], v[196:197], v[202:203], v[206:207]
	v_dot4c_i32_i8_e32 v51, v188, v46
	v_mov_b32_e32 v65, 0
	v_mul_lo_u32 v92, v92, v241
	v_pk_fma_f32 v[16:17], v[138:139], v[126:127], v[16:17]
	v_dot4c_i32_i8_e32 v51, v189, v47
	v_dot4c_i32_i8_e32 v65, v192, v42
	v_mad_u64_u32 v[126:127], s[18:19], v90, v240, v[92:93]
	v_dot4c_i32_i8_e32 v51, v186, v48
	v_dot4c_i32_i8_e32 v65, v193, v43
	v_cvt_f32_i32_e32 v97, v126
	v_pk_fma_f32 v[126:127], v[200:201], v[128:129], 0 op_sel_hi:[1,1,0]
	v_dot4c_i32_i8_e32 v51, v187, v49
	v_dot4c_i32_i8_e32 v65, v190, v44
	v_pk_fma_f32 v[56:57], v[194:195], v[56:57], v[126:127]
	v_dot4c_i32_i8_e32 v65, v191, v45
	v_mul_lo_u32 v60, v51, v238
	v_pk_fma_f32 v[10:11], v[132:133], v[56:57], v[10:11]
	v_mov_b32_e32 v57, 0
	v_mad_u64_u32 v[128:129], s[18:19], v65, v239, v[60:61]
	v_mov_b32_e32 v51, 0
	v_dot4c_i32_i8_e32 v57, v168, v38
	v_mov_b32_e32 v65, 0
	v_dot4c_i32_i8_e32 v51, v172, v46
	v_dot4c_i32_i8_e32 v57, v169, v39
	;; [unrolled: 1-line block ×9, first 2 shown]
	v_mad_u64_u32 v[178:179], s[18:19], v86, v238, v[58:59]
	v_dot4c_i32_i8_e32 v51, v171, v49
	v_dot4c_i32_i8_e32 v65, v163, v37
	v_mul_lo_u32 v58, v66, v244
	v_mul_lo_u32 v66, v57, v244
	;; [unrolled: 1-line block ×3, first 2 shown]
	v_mad_u64_u32 v[84:85], s[18:19], v65, v245, v[66:67]
	v_mul_lo_u32 v66, v51, v242
	v_mov_b32_e32 v51, 0
	v_mov_b32_e32 v70, 0
	v_dot4c_i32_i8_e32 v51, v160, v46
	v_mov_b32_e32 v46, 0
	v_dot4c_i32_i8_e32 v70, v176, v42
	v_dot4c_i32_i8_e32 v46, v156, v42
	v_mov_b32_e32 v42, 0
	v_dot4c_i32_i8_e32 v42, v152, v38
	v_cvt_f32_i32_e32 v96, v96
	v_dot4c_i32_i8_e32 v42, v153, v39
	v_mov_b32_e32 v39, 0
	v_cvt_f32_i32_e32 v129, v178
	v_cvt_f32_i32_e32 v128, v128
	v_dot4c_i32_i8_e32 v39, v148, v34
	v_dot4c_i32_i8_e32 v42, v150, v40
	;; [unrolled: 1-line block ×6, first 2 shown]
	v_pk_fma_f32 v[96:97], v[198:199], v[96:97], 0 op_sel_hi:[1,1,0]
	v_dot4c_i32_i8_e32 v70, v177, v43
	v_dot4c_i32_i8_e32 v51, v158, v48
	;; [unrolled: 1-line block ×4, first 2 shown]
	v_mul_lo_u32 v34, v213, v237
	v_mul_lo_u32 v36, v216, v236
	;; [unrolled: 1-line block ×4, first 2 shown]
	v_pk_fma_f32 v[88:89], v[196:197], v[128:129], v[96:97]
	v_dot4c_i32_i8_e32 v70, v174, v44
	v_mul_lo_u32 v56, v59, v245
	v_dot4c_i32_i8_e32 v51, v159, v49
	v_dot4c_i32_i8_e32 v46, v154, v44
	v_mad_u64_u32 v[40:41], s[18:19], v39, v237, v[40:41]
	v_mad_u64_u32 v[38:39], s[18:19], v250, v236, v[38:39]
	;; [unrolled: 1-line block ×4, first 2 shown]
	v_pk_fma_f32 v[12:13], v[140:141], v[88:89], v[12:13]
	v_dot4c_i32_i8_e32 v70, v175, v45
	v_mad_u64_u32 v[88:89], s[18:19], v82, v244, v[60:61]
	v_mad_u64_u32 v[58:59], s[18:19], v68, v245, v[58:59]
	;; [unrolled: 1-line block ×3, first 2 shown]
	v_mul_lo_u32 v60, v80, v243
	v_mul_lo_u32 v68, v253, v243
	;; [unrolled: 1-line block ×3, first 2 shown]
	v_dot4c_i32_i8_e32 v46, v155, v45
	v_cvt_f32_i32_e32 v35, v34
	v_cvt_f32_i32_e32 v34, v36
	;; [unrolled: 1-line block ×4, first 2 shown]
	v_mul_lo_u32 v38, v249, v235
	v_mul_lo_u32 v40, v51, v234
	;; [unrolled: 1-line block ×4, first 2 shown]
	v_cvt_f32_i32_e32 v57, v56
	v_cvt_f32_i32_e32 v56, v58
	;; [unrolled: 1-line block ×4, first 2 shown]
	v_mad_u64_u32 v[64:65], s[18:19], v64, v243, v[62:63]
	v_mad_u64_u32 v[84:85], s[18:19], v252, v242, v[68:69]
	;; [unrolled: 1-line block ×8, first 2 shown]
	v_cvt_f32_i32_e32 v89, v96
	v_cvt_f32_i32_e32 v88, v88
	;; [unrolled: 1-line block ×8, first 2 shown]
	v_pk_fma_f32 v[58:59], v[198:199], v[58:59], 0 op_sel_hi:[1,1,0]
	v_pk_fma_f32 v[56:57], v[200:201], v[56:57], 0 op_sel_hi:[1,1,0]
	v_pk_fma_f32 v[36:37], v[198:199], v[36:37], 0 op_sel_hi:[1,1,0]
	v_pk_fma_f32 v[34:35], v[200:201], v[34:35], 0 op_sel_hi:[1,1,0]
	v_pk_fma_f32 v[56:57], v[194:195], v[64:65], v[56:57]
	v_pk_fma_f32 v[58:59], v[196:197], v[88:89], v[58:59]
	v_pk_fma_f32 v[34:35], v[194:195], v[40:41], v[34:35]
	v_pk_fma_f32 v[36:37], v[196:197], v[38:39], v[36:37]
	s_add_i32 s1, s0, 8
	v_pk_fma_f32 v[8:9], v[142:143], v[58:59], v[8:9]
	v_pk_fma_f32 v[6:7], v[134:135], v[56:57], v[6:7]
	;; [unrolled: 1-line block ×4, first 2 shown]
	s_cmp_lt_u32 s0, 24
	s_mov_b32 s0, s1
	s_cbranch_scc1 .LBB136_8
; %bb.9:                                ;   in Loop: Header=BB136_5 Depth=1
	s_add_i32 s9, s9, 1
	s_cmp_eq_u32 s9, s4
	s_barrier
	s_cbranch_scc0 .LBB136_5
; %bb.10:
	scratch_load_dword v1, off, off offset:320 ; 4-byte Folded Reload
	scratch_load_dword v34, off, off offset:316 ; 4-byte Folded Reload
	;; [unrolled: 1-line block ×3, first 2 shown]
.LBB136_11:
	s_waitcnt vmcnt(0)
	v_cmp_gt_u32_e32 vcc, s10, v36
	s_and_saveexec_b64 s[0:1], vcc
	s_cbranch_execz .LBB136_62
; %bb.12:
	v_add_u32_e32 v0, s6, v34
	v_mul_lo_u32 v34, v36, s14
	v_cmp_gt_u32_e32 vcc, s14, v0
	s_and_saveexec_b64 s[0:1], vcc
	s_cbranch_execz .LBB136_14
; %bb.13:
	v_add_u32_e32 v36, v0, v34
	v_mov_b32_e32 v37, 0
	s_waitcnt lgkmcnt(0)
	v_lshl_add_u64 v[36:37], v[36:37], 2, s[12:13]
	global_store_dword v[36:37], v27, off
.LBB136_14:
	s_or_b64 exec, exec, s[0:1]
	v_add_u32_e32 v27, 32, v0
	v_cmp_gt_u32_e64 s[0:1], s14, v27
	s_and_saveexec_b64 s[2:3], s[0:1]
	s_cbranch_execz .LBB136_16
; %bb.15:
	v_add_u32_e32 v36, v27, v34
	v_mov_b32_e32 v37, 0
	s_waitcnt lgkmcnt(0)
	v_lshl_add_u64 v[36:37], v[36:37], 2, s[12:13]
	global_store_dword v[36:37], v31, off
.LBB136_16:
	s_or_b64 exec, exec, s[2:3]
	v_add_u32_e32 v31, 64, v0
	v_cmp_gt_u32_e64 s[2:3], s14, v31
	s_and_saveexec_b64 s[4:5], s[2:3]
	;; [unrolled: 12-line block ×3, first 2 shown]
	s_cbranch_execz .LBB136_20
; %bb.19:
	v_add_u32_e32 v34, v23, v34
	v_mov_b32_e32 v35, 0
	s_waitcnt lgkmcnt(0)
	v_lshl_add_u64 v[34:35], v[34:35], 2, s[12:13]
	global_store_dword v[34:35], v19, off
.LBB136_20:
	s_or_b64 exec, exec, s[6:7]
	v_add3_u32 v19, v1, s15, 8
	v_cmp_gt_u32_e64 s[6:7], s10, v19
	s_and_b64 exec, exec, s[6:7]
	s_cbranch_execz .LBB136_62
; %bb.21:
	v_mul_lo_u32 v19, v19, s14
	s_and_saveexec_b64 s[6:7], vcc
	s_cbranch_execnz .LBB136_63
; %bb.22:
	s_or_b64 exec, exec, s[6:7]
	s_and_saveexec_b64 s[6:7], s[0:1]
	s_cbranch_execnz .LBB136_64
.LBB136_23:
	s_or_b64 exec, exec, s[6:7]
	s_and_saveexec_b64 s[6:7], s[2:3]
	s_cbranch_execnz .LBB136_65
.LBB136_24:
	s_or_b64 exec, exec, s[6:7]
	s_and_saveexec_b64 s[6:7], s[4:5]
	s_cbranch_execz .LBB136_26
.LBB136_25:
	v_add_u32_e32 v34, v19, v23
	v_mov_b32_e32 v35, 0
	s_waitcnt lgkmcnt(0)
	v_lshl_add_u64 v[34:35], v[34:35], 2, s[12:13]
	global_store_dword v[34:35], v18, off
.LBB136_26:
	s_or_b64 exec, exec, s[6:7]
	v_add3_u32 v18, v1, s15, 16
	v_cmp_gt_u32_e64 s[6:7], s10, v18
	s_and_b64 exec, exec, s[6:7]
	s_cbranch_execz .LBB136_62
; %bb.27:
	v_mul_lo_u32 v18, v18, s14
	s_and_saveexec_b64 s[6:7], vcc
	s_cbranch_execnz .LBB136_66
; %bb.28:
	s_or_b64 exec, exec, s[6:7]
	s_and_saveexec_b64 s[6:7], s[0:1]
	s_cbranch_execnz .LBB136_67
.LBB136_29:
	s_or_b64 exec, exec, s[6:7]
	s_and_saveexec_b64 s[6:7], s[2:3]
	s_cbranch_execnz .LBB136_68
.LBB136_30:
	s_or_b64 exec, exec, s[6:7]
	s_and_saveexec_b64 s[6:7], s[4:5]
	s_cbranch_execz .LBB136_32
.LBB136_31:
	v_add_u32_e32 v18, v18, v23
	v_mov_b32_e32 v19, 0
	s_waitcnt lgkmcnt(0)
	v_lshl_add_u64 v[18:19], v[18:19], 2, s[12:13]
	global_store_dword v[18:19], v21, off
.LBB136_32:
	s_or_b64 exec, exec, s[6:7]
	v_add3_u32 v18, v1, s15, 24
	v_cmp_gt_u32_e64 s[6:7], s10, v18
	s_and_b64 exec, exec, s[6:7]
	s_cbranch_execz .LBB136_62
; %bb.33:
	v_mul_lo_u32 v18, v18, s14
	s_and_saveexec_b64 s[6:7], vcc
	s_cbranch_execnz .LBB136_69
; %bb.34:
	s_or_b64 exec, exec, s[6:7]
	s_and_saveexec_b64 s[6:7], s[0:1]
	s_cbranch_execnz .LBB136_70
.LBB136_35:
	s_or_b64 exec, exec, s[6:7]
	s_and_saveexec_b64 s[6:7], s[2:3]
	s_cbranch_execnz .LBB136_71
.LBB136_36:
	s_or_b64 exec, exec, s[6:7]
	s_and_saveexec_b64 s[6:7], s[4:5]
	s_cbranch_execz .LBB136_38
.LBB136_37:
	v_add_u32_e32 v18, v18, v23
	v_mov_b32_e32 v19, 0
	s_waitcnt lgkmcnt(0)
	v_lshl_add_u64 v[18:19], v[18:19], 2, s[12:13]
	global_store_dword v[18:19], v20, off
.LBB136_38:
	s_or_b64 exec, exec, s[6:7]
	v_add3_u32 v18, v1, s15, 32
	v_cmp_gt_u32_e64 s[6:7], s10, v18
	s_and_b64 exec, exec, s[6:7]
	s_cbranch_execz .LBB136_62
; %bb.39:
	v_mul_lo_u32 v18, v18, s14
	s_and_saveexec_b64 s[6:7], vcc
	s_cbranch_execnz .LBB136_72
; %bb.40:
	s_or_b64 exec, exec, s[6:7]
	s_and_saveexec_b64 s[6:7], s[0:1]
	s_cbranch_execnz .LBB136_73
.LBB136_41:
	s_or_b64 exec, exec, s[6:7]
	s_and_saveexec_b64 s[6:7], s[2:3]
	s_cbranch_execnz .LBB136_74
.LBB136_42:
	s_or_b64 exec, exec, s[6:7]
	s_and_saveexec_b64 s[6:7], s[4:5]
	s_cbranch_execz .LBB136_44
.LBB136_43:
	v_add_u32_e32 v18, v18, v23
	v_mov_b32_e32 v19, 0
	s_waitcnt lgkmcnt(0)
	v_lshl_add_u64 v[18:19], v[18:19], 2, s[12:13]
	global_store_dword v[18:19], v3, off
.LBB136_44:
	s_or_b64 exec, exec, s[6:7]
	v_add3_u32 v3, v1, s15, 40
	v_cmp_gt_u32_e64 s[6:7], s10, v3
	s_and_b64 exec, exec, s[6:7]
	s_cbranch_execz .LBB136_62
; %bb.45:
	v_mul_lo_u32 v3, v3, s14
	s_and_saveexec_b64 s[6:7], vcc
	s_cbranch_execnz .LBB136_75
; %bb.46:
	s_or_b64 exec, exec, s[6:7]
	s_and_saveexec_b64 s[6:7], s[0:1]
	s_cbranch_execnz .LBB136_76
.LBB136_47:
	s_or_b64 exec, exec, s[6:7]
	s_and_saveexec_b64 s[6:7], s[2:3]
	s_cbranch_execnz .LBB136_77
.LBB136_48:
	s_or_b64 exec, exec, s[6:7]
	s_and_saveexec_b64 s[6:7], s[4:5]
	s_cbranch_execz .LBB136_50
.LBB136_49:
	v_add_u32_e32 v6, v3, v23
	v_mov_b32_e32 v7, 0
	s_waitcnt lgkmcnt(0)
	v_lshl_add_u64 v[6:7], v[6:7], 2, s[12:13]
	global_store_dword v[6:7], v2, off
.LBB136_50:
	s_or_b64 exec, exec, s[6:7]
	v_add3_u32 v2, v1, s15, 48
	v_cmp_gt_u32_e64 s[6:7], s10, v2
	s_and_b64 exec, exec, s[6:7]
	s_cbranch_execz .LBB136_62
; %bb.51:
	v_mul_lo_u32 v2, v2, s14
	s_and_saveexec_b64 s[6:7], vcc
	s_cbranch_execnz .LBB136_78
; %bb.52:
	s_or_b64 exec, exec, s[6:7]
	s_and_saveexec_b64 s[6:7], s[0:1]
	s_cbranch_execnz .LBB136_79
.LBB136_53:
	s_or_b64 exec, exec, s[6:7]
	s_and_saveexec_b64 s[6:7], s[2:3]
	s_cbranch_execnz .LBB136_80
.LBB136_54:
	s_or_b64 exec, exec, s[6:7]
	s_and_saveexec_b64 s[6:7], s[4:5]
	s_cbranch_execz .LBB136_56
.LBB136_55:
	v_add_u32_e32 v2, v2, v23
	v_mov_b32_e32 v3, 0
	s_waitcnt lgkmcnt(0)
	v_lshl_add_u64 v[2:3], v[2:3], 2, s[12:13]
	global_store_dword v[2:3], v5, off
.LBB136_56:
	s_or_b64 exec, exec, s[6:7]
	v_add3_u32 v1, v1, s15, 56
	v_cmp_gt_u32_e64 s[6:7], s10, v1
	s_and_b64 exec, exec, s[6:7]
	s_cbranch_execz .LBB136_62
; %bb.57:
	v_mul_lo_u32 v1, v1, s14
	s_and_saveexec_b64 s[6:7], vcc
	s_cbranch_execnz .LBB136_81
; %bb.58:
	s_or_b64 exec, exec, s[6:7]
	s_and_saveexec_b64 s[6:7], s[0:1]
	s_cbranch_execnz .LBB136_82
.LBB136_59:
	s_or_b64 exec, exec, s[6:7]
	s_and_saveexec_b64 s[0:1], s[2:3]
	s_cbranch_execnz .LBB136_83
.LBB136_60:
	s_or_b64 exec, exec, s[0:1]
	s_and_b64 exec, exec, s[4:5]
	s_cbranch_execz .LBB136_62
.LBB136_61:
	v_add_u32_e32 v0, v1, v23
	v_mov_b32_e32 v1, 0
	s_waitcnt lgkmcnt(0)
	v_lshl_add_u64 v[0:1], v[0:1], 2, s[12:13]
	global_store_dword v[0:1], v4, off
.LBB136_62:
	s_endpgm
.LBB136_63:
	v_add_u32_e32 v34, v19, v0
	v_mov_b32_e32 v35, 0
	s_waitcnt lgkmcnt(0)
	v_lshl_add_u64 v[34:35], v[34:35], 2, s[12:13]
	global_store_dword v[34:35], v26, off
	s_or_b64 exec, exec, s[6:7]
	s_and_saveexec_b64 s[6:7], s[0:1]
	s_cbranch_execz .LBB136_23
.LBB136_64:
	v_add_u32_e32 v34, v19, v27
	v_mov_b32_e32 v35, 0
	s_waitcnt lgkmcnt(0)
	v_lshl_add_u64 v[34:35], v[34:35], 2, s[12:13]
	global_store_dword v[34:35], v30, off
	s_or_b64 exec, exec, s[6:7]
	s_and_saveexec_b64 s[6:7], s[2:3]
	s_cbranch_execz .LBB136_24
.LBB136_65:
	v_add_u32_e32 v34, v19, v31
	v_mov_b32_e32 v35, 0
	s_waitcnt lgkmcnt(0)
	v_lshl_add_u64 v[34:35], v[34:35], 2, s[12:13]
	global_store_dword v[34:35], v22, off
	s_or_b64 exec, exec, s[6:7]
	s_and_saveexec_b64 s[6:7], s[4:5]
	s_cbranch_execnz .LBB136_25
	s_branch .LBB136_26
.LBB136_66:
	v_add_u32_e32 v34, v18, v0
	v_mov_b32_e32 v35, 0
	s_waitcnt lgkmcnt(0)
	v_lshl_add_u64 v[34:35], v[34:35], 2, s[12:13]
	global_store_dword v[34:35], v29, off
	s_or_b64 exec, exec, s[6:7]
	s_and_saveexec_b64 s[6:7], s[0:1]
	s_cbranch_execz .LBB136_29
.LBB136_67:
	v_add_u32_e32 v34, v18, v27
	v_mov_b32_e32 v35, 0
	s_waitcnt lgkmcnt(0)
	v_lshl_add_u64 v[34:35], v[34:35], 2, s[12:13]
	global_store_dword v[34:35], v33, off
	s_or_b64 exec, exec, s[6:7]
	s_and_saveexec_b64 s[6:7], s[2:3]
	s_cbranch_execz .LBB136_30
.LBB136_68:
	v_add_u32_e32 v34, v18, v31
	v_mov_b32_e32 v35, 0
	s_waitcnt lgkmcnt(0)
	v_lshl_add_u64 v[34:35], v[34:35], 2, s[12:13]
	global_store_dword v[34:35], v25, off
	s_or_b64 exec, exec, s[6:7]
	s_and_saveexec_b64 s[6:7], s[4:5]
	s_cbranch_execnz .LBB136_31
	s_branch .LBB136_32
.LBB136_69:
	v_add_u32_e32 v34, v18, v0
	v_mov_b32_e32 v35, 0
	s_waitcnt lgkmcnt(0)
	v_lshl_add_u64 v[34:35], v[34:35], 2, s[12:13]
	global_store_dword v[34:35], v28, off
	s_or_b64 exec, exec, s[6:7]
	s_and_saveexec_b64 s[6:7], s[0:1]
	s_cbranch_execz .LBB136_35
.LBB136_70:
	v_add_u32_e32 v28, v18, v27
	v_mov_b32_e32 v29, 0
	s_waitcnt lgkmcnt(0)
	v_lshl_add_u64 v[28:29], v[28:29], 2, s[12:13]
	global_store_dword v[28:29], v32, off
	s_or_b64 exec, exec, s[6:7]
	s_and_saveexec_b64 s[6:7], s[2:3]
	s_cbranch_execz .LBB136_36
.LBB136_71:
	v_add_u32_e32 v28, v18, v31
	v_mov_b32_e32 v29, 0
	s_waitcnt lgkmcnt(0)
	v_lshl_add_u64 v[28:29], v[28:29], 2, s[12:13]
	global_store_dword v[28:29], v24, off
	s_or_b64 exec, exec, s[6:7]
	s_and_saveexec_b64 s[6:7], s[4:5]
	s_cbranch_execnz .LBB136_37
	s_branch .LBB136_38
.LBB136_72:
	v_add_u32_e32 v20, v18, v0
	v_mov_b32_e32 v21, 0
	s_waitcnt lgkmcnt(0)
	v_lshl_add_u64 v[20:21], v[20:21], 2, s[12:13]
	global_store_dword v[20:21], v15, off
	s_or_b64 exec, exec, s[6:7]
	s_and_saveexec_b64 s[6:7], s[0:1]
	s_cbranch_execz .LBB136_41
.LBB136_73:
	v_add_u32_e32 v20, v18, v27
	v_mov_b32_e32 v21, 0
	s_waitcnt lgkmcnt(0)
	v_lshl_add_u64 v[20:21], v[20:21], 2, s[12:13]
	global_store_dword v[20:21], v11, off
	s_or_b64 exec, exec, s[6:7]
	s_and_saveexec_b64 s[6:7], s[2:3]
	s_cbranch_execz .LBB136_42
.LBB136_74:
	v_add_u32_e32 v20, v18, v31
	v_mov_b32_e32 v21, 0
	s_waitcnt lgkmcnt(0)
	v_lshl_add_u64 v[20:21], v[20:21], 2, s[12:13]
	global_store_dword v[20:21], v7, off
	s_or_b64 exec, exec, s[6:7]
	s_and_saveexec_b64 s[6:7], s[4:5]
	s_cbranch_execnz .LBB136_43
	s_branch .LBB136_44
.LBB136_75:
	v_add_u32_e32 v18, v3, v0
	v_mov_b32_e32 v19, 0
	s_waitcnt lgkmcnt(0)
	v_lshl_add_u64 v[18:19], v[18:19], 2, s[12:13]
	global_store_dword v[18:19], v14, off
	s_or_b64 exec, exec, s[6:7]
	s_and_saveexec_b64 s[6:7], s[0:1]
	s_cbranch_execz .LBB136_47
.LBB136_76:
	v_add_u32_e32 v14, v3, v27
	v_mov_b32_e32 v15, 0
	s_waitcnt lgkmcnt(0)
	v_lshl_add_u64 v[14:15], v[14:15], 2, s[12:13]
	global_store_dword v[14:15], v10, off
	s_or_b64 exec, exec, s[6:7]
	s_and_saveexec_b64 s[6:7], s[2:3]
	s_cbranch_execz .LBB136_48
.LBB136_77:
	v_add_u32_e32 v10, v3, v31
	v_mov_b32_e32 v11, 0
	s_waitcnt lgkmcnt(0)
	v_lshl_add_u64 v[10:11], v[10:11], 2, s[12:13]
	global_store_dword v[10:11], v6, off
	s_or_b64 exec, exec, s[6:7]
	s_and_saveexec_b64 s[6:7], s[4:5]
	s_cbranch_execnz .LBB136_49
	s_branch .LBB136_50
.LBB136_78:
	v_add_u32_e32 v6, v2, v0
	v_mov_b32_e32 v7, 0
	s_waitcnt lgkmcnt(0)
	v_lshl_add_u64 v[6:7], v[6:7], 2, s[12:13]
	global_store_dword v[6:7], v17, off
	s_or_b64 exec, exec, s[6:7]
	s_and_saveexec_b64 s[6:7], s[0:1]
	s_cbranch_execz .LBB136_53
.LBB136_79:
	v_add_u32_e32 v6, v2, v27
	v_mov_b32_e32 v7, 0
	s_waitcnt lgkmcnt(0)
	v_lshl_add_u64 v[6:7], v[6:7], 2, s[12:13]
	global_store_dword v[6:7], v13, off
	s_or_b64 exec, exec, s[6:7]
	s_and_saveexec_b64 s[6:7], s[2:3]
	s_cbranch_execz .LBB136_54
.LBB136_80:
	v_add_u32_e32 v6, v2, v31
	v_mov_b32_e32 v7, 0
	s_waitcnt lgkmcnt(0)
	v_lshl_add_u64 v[6:7], v[6:7], 2, s[12:13]
	global_store_dword v[6:7], v9, off
	s_or_b64 exec, exec, s[6:7]
	s_and_saveexec_b64 s[6:7], s[4:5]
	s_cbranch_execnz .LBB136_55
	s_branch .LBB136_56
.LBB136_81:
	v_add_u32_e32 v2, v1, v0
	v_mov_b32_e32 v3, 0
	s_waitcnt lgkmcnt(0)
	v_lshl_add_u64 v[2:3], v[2:3], 2, s[12:13]
	global_store_dword v[2:3], v16, off
	s_or_b64 exec, exec, s[6:7]
	s_and_saveexec_b64 s[6:7], s[0:1]
	s_cbranch_execz .LBB136_59
.LBB136_82:
	v_add_u32_e32 v2, v1, v27
	v_mov_b32_e32 v3, 0
	s_waitcnt lgkmcnt(0)
	v_lshl_add_u64 v[2:3], v[2:3], 2, s[12:13]
	global_store_dword v[2:3], v12, off
	s_or_b64 exec, exec, s[6:7]
	s_and_saveexec_b64 s[0:1], s[2:3]
	s_cbranch_execz .LBB136_60
.LBB136_83:
	v_add_u32_e32 v2, v1, v31
	v_mov_b32_e32 v3, 0
	s_waitcnt lgkmcnt(0)
	v_lshl_add_u64 v[2:3], v[2:3], 2, s[12:13]
	global_store_dword v[2:3], v8, off
	s_or_b64 exec, exec, s[0:1]
	s_and_b64 exec, exec, s[4:5]
	s_cbranch_execnz .LBB136_61
	s_branch .LBB136_62
	.section	.rodata,"a",@progbits
	.p2align	6, 0x0
	.amdhsa_kernel _ZL12mul_mat_q6_KIfLb1EEvPKvS1_PT_iiiii
		.amdhsa_group_segment_fixed_size 45136
		.amdhsa_private_segment_fixed_size 332
		.amdhsa_kernarg_size 44
		.amdhsa_user_sgpr_count 2
		.amdhsa_user_sgpr_dispatch_ptr 0
		.amdhsa_user_sgpr_queue_ptr 0
		.amdhsa_user_sgpr_kernarg_segment_ptr 1
		.amdhsa_user_sgpr_dispatch_id 0
		.amdhsa_user_sgpr_kernarg_preload_length 0
		.amdhsa_user_sgpr_kernarg_preload_offset 0
		.amdhsa_user_sgpr_private_segment_size 0
		.amdhsa_uses_dynamic_stack 0
		.amdhsa_enable_private_segment 1
		.amdhsa_system_sgpr_workgroup_id_x 1
		.amdhsa_system_sgpr_workgroup_id_y 1
		.amdhsa_system_sgpr_workgroup_id_z 0
		.amdhsa_system_sgpr_workgroup_info 0
		.amdhsa_system_vgpr_workitem_id 1
		.amdhsa_next_free_vgpr 256
		.amdhsa_next_free_sgpr 96
		.amdhsa_accum_offset 256
		.amdhsa_reserve_vcc 1
		.amdhsa_float_round_mode_32 0
		.amdhsa_float_round_mode_16_64 0
		.amdhsa_float_denorm_mode_32 3
		.amdhsa_float_denorm_mode_16_64 3
		.amdhsa_dx10_clamp 1
		.amdhsa_ieee_mode 1
		.amdhsa_fp16_overflow 0
		.amdhsa_tg_split 0
		.amdhsa_exception_fp_ieee_invalid_op 0
		.amdhsa_exception_fp_denorm_src 0
		.amdhsa_exception_fp_ieee_div_zero 0
		.amdhsa_exception_fp_ieee_overflow 0
		.amdhsa_exception_fp_ieee_underflow 0
		.amdhsa_exception_fp_ieee_inexact 0
		.amdhsa_exception_int_div_zero 0
	.end_amdhsa_kernel
	.section	.text._ZL12mul_mat_q6_KIfLb1EEvPKvS1_PT_iiiii,"axG",@progbits,_ZL12mul_mat_q6_KIfLb1EEvPKvS1_PT_iiiii,comdat
.Lfunc_end136:
	.size	_ZL12mul_mat_q6_KIfLb1EEvPKvS1_PT_iiiii, .Lfunc_end136-_ZL12mul_mat_q6_KIfLb1EEvPKvS1_PT_iiiii
                                        ; -- End function
	.set _ZL12mul_mat_q6_KIfLb1EEvPKvS1_PT_iiiii.num_vgpr, 256
	.set _ZL12mul_mat_q6_KIfLb1EEvPKvS1_PT_iiiii.num_agpr, 0
	.set _ZL12mul_mat_q6_KIfLb1EEvPKvS1_PT_iiiii.numbered_sgpr, 22
	.set _ZL12mul_mat_q6_KIfLb1EEvPKvS1_PT_iiiii.num_named_barrier, 0
	.set _ZL12mul_mat_q6_KIfLb1EEvPKvS1_PT_iiiii.private_seg_size, 332
	.set _ZL12mul_mat_q6_KIfLb1EEvPKvS1_PT_iiiii.uses_vcc, 1
	.set _ZL12mul_mat_q6_KIfLb1EEvPKvS1_PT_iiiii.uses_flat_scratch, 0
	.set _ZL12mul_mat_q6_KIfLb1EEvPKvS1_PT_iiiii.has_dyn_sized_stack, 0
	.set _ZL12mul_mat_q6_KIfLb1EEvPKvS1_PT_iiiii.has_recursion, 0
	.set _ZL12mul_mat_q6_KIfLb1EEvPKvS1_PT_iiiii.has_indirect_call, 0
	.section	.AMDGPU.csdata,"",@progbits
; Kernel info:
; codeLenInByte = 19792
; TotalNumSgprs: 28
; NumVgprs: 256
; NumAgprs: 0
; TotalNumVgprs: 256
; ScratchSize: 332
; MemoryBound: 0
; FloatMode: 240
; IeeeMode: 1
; LDSByteSize: 45136 bytes/workgroup (compile time only)
; SGPRBlocks: 12
; VGPRBlocks: 31
; NumSGPRsForWavesPerEU: 102
; NumVGPRsForWavesPerEU: 256
; AccumOffset: 256
; Occupancy: 2
; WaveLimiterHint : 0
; COMPUTE_PGM_RSRC2:SCRATCH_EN: 1
; COMPUTE_PGM_RSRC2:USER_SGPR: 2
; COMPUTE_PGM_RSRC2:TRAP_HANDLER: 0
; COMPUTE_PGM_RSRC2:TGID_X_EN: 1
; COMPUTE_PGM_RSRC2:TGID_Y_EN: 1
; COMPUTE_PGM_RSRC2:TGID_Z_EN: 0
; COMPUTE_PGM_RSRC2:TIDIG_COMP_CNT: 1
; COMPUTE_PGM_RSRC3_GFX90A:ACCUM_OFFSET: 63
; COMPUTE_PGM_RSRC3_GFX90A:TG_SPLIT: 0
	.section	.text._ZL12mul_mat_q4_0IN3c104HalfELb0EEvPKvS3_PT_iiiii,"axG",@progbits,_ZL12mul_mat_q4_0IN3c104HalfELb0EEvPKvS3_PT_iiiii,comdat
	.globl	_ZL12mul_mat_q4_0IN3c104HalfELb0EEvPKvS3_PT_iiiii ; -- Begin function _ZL12mul_mat_q4_0IN3c104HalfELb0EEvPKvS3_PT_iiiii
	.p2align	8
	.type	_ZL12mul_mat_q4_0IN3c104HalfELb0EEvPKvS3_PT_iiiii,@function
_ZL12mul_mat_q4_0IN3c104HalfELb0EEvPKvS3_PT_iiiii: ; @_ZL12mul_mat_q4_0IN3c104HalfELb0EEvPKvS3_PT_iiiii
; %bb.0:
	s_load_dword s7, s[0:1], 0x18
	s_load_dwordx4 s[8:11], s[0:1], 0x20
	s_waitcnt lgkmcnt(0)
	s_lshl_b32 s11, s3, 6
	v_bfe_u32 v57, v0, 10, 10
	s_cmp_gt_i32 s7, 31
	s_cbranch_scc1 .LBB137_4
; %bb.1:
	v_bfe_u32 v4, v0, 10, 10
	v_and_b32_e32 v53, 0x3ff, v0
	v_add_u32_e32 v59, s11, v4
	s_load_dwordx2 s[12:13], s[0:1], 0x10
	s_lshl_b32 s6, s2, 7
	s_cbranch_execz .LBB137_5
; %bb.2:
	v_mov_b32_e32 v0, 0
	v_mov_b32_e32 v9, 0
	;; [unrolled: 1-line block ×16, first 2 shown]
	v_cmp_gt_u32_e32 vcc, s8, v59
	s_and_saveexec_b64 s[0:1], vcc
	s_cbranch_execnz .LBB137_15
.LBB137_3:
	s_endpgm
.LBB137_4:
                                        ; implicit-def: $vgpr4
                                        ; implicit-def: $vgpr53
                                        ; implicit-def: $vgpr59
	s_load_dwordx2 s[12:13], s[0:1], 0x10
	s_lshl_b32 s6, s2, 7
.LBB137_5:
	s_ashr_i32 s4, s7, 31
	s_load_dwordx4 s[0:3], s[0:1], 0x0
	s_lshr_b32 s4, s4, 27
	s_ashr_i32 s5, s9, 31
	s_add_i32 s4, s7, s4
	s_lshr_b32 s5, s5, 27
	s_ashr_i32 s7, s4, 5
	s_add_i32 s5, s9, s5
	s_ashr_i32 s15, s5, 5
	s_mul_i32 s5, s7, s6
	v_bfe_u32 v105, v0, 3, 7
	s_mul_hi_i32 s14, s5, 18
	s_mul_i32 s5, s5, 18
	v_and_b32_e32 v80, 7, v0
	v_lshl_add_u32 v2, v57, 2, v105
	s_waitcnt lgkmcnt(0)
	s_add_u32 s9, s0, s5
	v_and_b32_e32 v3, 0x7fc, v2
	v_lshlrev_b32_e32 v4, 2, v80
	s_movk_i32 s5, 0x6200
	v_add3_u32 v8, v3, v4, s5
	v_add_u32_e32 v3, 32, v2
	v_and_b32_e32 v53, 0x3ff, v0
	v_mul_lo_u32 v82, s7, v2
	v_lshlrev_b32_e32 v9, 5, v2
	v_and_b32_e32 v5, 0xffc, v3
	v_lshlrev_b32_e32 v11, 5, v3
	v_add_u32_e32 v3, 64, v2
	v_add_u32_e32 v2, 0x60, v2
	v_lshlrev_b32_e32 v1, 2, v53
	s_movk_i32 s0, 0x84
	v_add3_u32 v10, v5, v4, s5
	v_and_b32_e32 v5, 0xffc, v3
	v_lshlrev_b32_e32 v13, 5, v3
	v_and_b32_e32 v3, 0xffc, v2
	v_bfe_u32 v52, v0, 2, 8
	v_and_b32_e32 v54, 12, v1
	v_mad_u32_u24 v61, v57, s0, v1
	v_add3_u32 v12, v5, v4, s5
	v_add3_u32 v14, v3, v4, s5
	v_and_b32_e32 v6, 31, v0
	v_and_b32_e32 v4, 28, v1
	v_mov_b32_e32 v1, 0x4200
	v_lshl_or_b32 v1, v6, 2, v1
	v_lshl_add_u32 v6, v57, 3, v52
	v_and_b32_e32 v7, 63, v6
	s_addc_u32 s1, s1, s14
	s_and_b32 s17, s4, 0xffffffe0
	s_add_i32 s4, s8, -1
	v_or_b32_e32 v16, s11, v7
	v_and_b32_e32 v6, 3, v0
	v_min_i32_e32 v16, s4, v16
	v_lshlrev_b32_e32 v15, 5, v2
	v_cvt_f64_i32_e32 v[2:3], s4
	v_mad_u64_u32 v[84:85], s[4:5], v16, s15, v[6:7]
	v_lshlrev_b32_e32 v6, 2, v6
	v_add_u32_e32 v59, s11, v57
	v_lshl_or_b32 v6, v7, 4, v6
	v_add_u32_e32 v85, 0x7280, v6
	v_cvt_f64_u32_e32 v[6:7], v59
	v_min_f64 v[6:7], v[6:7], v[2:3]
	v_cvt_i32_f64_e32 v6, v[6:7]
	v_mul_lo_u32 v107, s15, v6
	v_add_u32_e32 v6, 8, v59
	v_cvt_f64_u32_e32 v[6:7], v6
	v_min_f64 v[6:7], v[6:7], v[2:3]
	v_cvt_i32_f64_e32 v6, v[6:7]
	v_mul_lo_u32 v109, s15, v6
	;; [unrolled: 5-line block ×4, first 2 shown]
	v_add_u32_e32 v6, 32, v59
	v_cvt_f64_u32_e32 v[6:7], v6
	v_min_f64 v[6:7], v[6:7], v[2:3]
	v_mul_lo_u32 v56, s7, v57
	s_lshl_b32 s16, s7, 3
	v_cvt_i32_f64_e32 v6, v[6:7]
	v_add_u32_e32 v58, s16, v56
	v_mul_lo_u32 v152, s15, v6
	v_add_u32_e32 v6, 40, v59
	v_add_u32_e32 v60, s16, v58
	v_cvt_f64_u32_e32 v[6:7], v6
	v_add_u32_e32 v62, s16, v60
	v_min_f64 v[6:7], v[6:7], v[2:3]
	v_add_u32_e32 v64, s16, v62
	v_cvt_i32_f64_e32 v6, v[6:7]
	v_add_u32_e32 v66, s16, v64
	v_mul_lo_u32 v153, s15, v6
	v_add_u32_e32 v6, 48, v59
	v_add_u32_e32 v68, s16, v66
	v_cvt_f64_u32_e32 v[6:7], v6
	v_add_u32_e32 v70, s16, v68
	v_min_f64 v[6:7], v[6:7], v[2:3]
	v_add_u32_e32 v72, s16, v70
	v_cvt_i32_f64_e32 v6, v[6:7]
	v_add_u32_e32 v74, s16, v72
	v_mul_lo_u32 v154, s15, v6
	v_add_u32_e32 v6, 56, v59
	v_add_u32_e32 v76, s16, v74
	v_cvt_f64_u32_e32 v[6:7], v6
	v_mov_b32_e32 v55, 0
	v_add_u32_e32 v78, s16, v76
	v_min_f64 v[2:3], v[6:7], v[2:3]
	v_mov_b32_e32 v5, v55
	v_cvt_i32_f64_e32 v2, v[2:3]
	v_add_u32_e32 v3, 32, v53
	v_add_u32_e32 v6, 64, v53
	;; [unrolled: 1-line block ×4, first 2 shown]
	v_lshlrev_b32_e32 v16, 7, v57
	v_lshrrev_b32_e32 v157, 3, v3
	v_lshl_add_u64 v[86:87], s[2:3], 0, v[4:5]
	v_lshlrev_b32_e32 v4, 5, v53
	v_and_b32_e32 v5, 0x1fc, v7
	v_and_b32_e32 v6, 0x1fc, v6
	;; [unrolled: 1-line block ×4, first 2 shown]
	v_add_u32_e32 v94, s16, v90
	v_add_u32_e32 v104, s17, v82
	;; [unrolled: 1-line block ×8, first 2 shown]
	v_mul_lo_u32 v155, s15, v2
	v_add_u32_e32 v2, 0x1c00, v16
	v_add_u32_e32 v5, v4, v5
	;; [unrolled: 1-line block ×5, first 2 shown]
	v_mov_b32_e32 v4, 0x7280
	v_mov_b32_e32 v88, v55
	;; [unrolled: 1-line block ×3, first 2 shown]
	v_add_u32_e32 v96, s16, v94
	v_add_u32_e32 v106, s17, v104
	;; [unrolled: 1-line block ×17, first 2 shown]
	s_add_i32 s14, s7, 3
	v_mul_u32_u24_e32 v156, 0x84, v53
	v_add_u32_e32 v158, 0x6e00, v5
	v_add_u32_e32 v159, 0x6a00, v6
	;; [unrolled: 1-line block ×5, first 2 shown]
	v_lshl_add_u32 v163, v57, 4, v4
	v_add_u32_e32 v164, v10, v11
	v_add_u32_e32 v165, 0x4200, v16
	;; [unrolled: 1-line block ×3, first 2 shown]
	v_mad_u32_u24 v167, v53, s0, 64
	v_add_u32_e32 v168, 0x6e10, v5
	v_add_u32_e32 v169, 0x6a10, v6
	;; [unrolled: 1-line block ×4, first 2 shown]
	s_mov_b32 s15, 0
	v_add_u32_e32 v172, v14, v15
	v_add_u32_e32 v173, v1, v16
	;; [unrolled: 1-line block ×9, first 2 shown]
	s_mov_b32 s0, 0x41000000
	v_add_u32_e32 v98, s16, v96
	v_add_u32_e32 v108, s17, v106
	v_mov_b64_e32 v[110:111], v[88:89]
	v_mov_b64_e32 v[100:101], v[88:89]
	;; [unrolled: 1-line block ×15, first 2 shown]
	s_branch .LBB137_7
.LBB137_6:                              ;   in Loop: Header=BB137_7 Depth=1
	s_add_i32 s15, s15, 8
	s_add_i32 s14, s14, -8
	s_cmp_ge_i32 s15, s7
	s_cbranch_scc1 .LBB137_14
.LBB137_7:                              ; =>This Loop Header: Depth=1
                                        ;     Child Loop BB137_9 Depth 2
                                        ;     Child Loop BB137_12 Depth 2
	s_mul_i32 s4, s15, 18
	s_mul_hi_u32 s5, s15, 18
	s_add_u32 s4, s9, s4
	s_addc_u32 s5, s1, s5
	v_mad_u64_u32 v[0:1], s[16:17], v52, 18, s[4:5]
	v_mad_u64_u32 v[2:3], s[16:17], v56, 18, v[0:1]
	v_lshl_add_u64 v[2:3], v[2:3], 0, v[54:55]
	global_load_dword v2, v[2:3], off offset:2
	s_cmp_gt_u32 s14, 3
	s_waitcnt vmcnt(0)
	ds_write_b32 v61, v2
	v_mad_u64_u32 v[2:3], s[16:17], v58, 18, v[0:1]
	v_lshl_add_u64 v[2:3], v[2:3], 0, v[54:55]
	global_load_dword v2, v[2:3], off offset:2
	s_waitcnt vmcnt(0)
	ds_write_b32 v63, v2
	v_mad_u64_u32 v[2:3], s[16:17], v60, 18, v[0:1]
	v_lshl_add_u64 v[2:3], v[2:3], 0, v[54:55]
	global_load_dword v2, v[2:3], off offset:2
	;; [unrolled: 5-line block ×13, first 2 shown]
	s_waitcnt vmcnt(0)
	ds_write_b32 v95, v2
	v_mad_u64_u32 v[2:3], s[16:17], v96, 18, v[0:1]
	v_mad_u64_u32 v[0:1], s[16:17], v98, 18, v[0:1]
	v_lshl_add_u64 v[2:3], v[2:3], 0, v[54:55]
	v_lshl_add_u64 v[0:1], v[0:1], 0, v[54:55]
	global_load_dword v2, v[2:3], off offset:2
	s_nop 0
	global_load_dword v0, v[0:1], off offset:2
	s_waitcnt vmcnt(1)
	ds_write_b32 v97, v2
	s_waitcnt vmcnt(0)
	ds_write_b32 v99, v0
	v_mad_u64_u32 v[0:1], s[4:5], v80, 18, s[4:5]
	v_mad_u64_u32 v[2:3], s[4:5], v82, 18, v[0:1]
	global_load_ushort v2, v[2:3], off
	s_waitcnt vmcnt(0)
	v_cvt_f32_f16_e32 v2, v2
	ds_write_b32 v162, v2
	v_mad_u64_u32 v[2:3], s[4:5], v104, 18, v[0:1]
	global_load_ushort v2, v[2:3], off
	s_waitcnt vmcnt(0)
	v_cvt_f32_f16_e32 v2, v2
	ds_write_b32 v164, v2
	v_mad_u64_u32 v[2:3], s[4:5], v106, 18, v[0:1]
	v_mad_u64_u32 v[0:1], s[4:5], v108, 18, v[0:1]
	global_load_ushort v2, v[2:3], off
	s_nop 0
	global_load_ushort v0, v[0:1], off
	s_waitcnt vmcnt(1)
	v_cvt_f32_f16_e32 v2, v2
	s_waitcnt vmcnt(0)
	v_cvt_f32_f16_e32 v0, v0
	ds_write_b32 v166, v2
	ds_write_b32 v172, v0
	s_cbranch_scc0 .LBB137_6
; %bb.8:                                ;   in Loop: Header=BB137_7 Depth=1
	v_add_u32_e32 v2, s15, v105
	v_add_u32_e32 v0, v2, v107
	v_mad_i64_i32 v[0:1], s[4:5], v0, 36, v[86:87]
	global_load_dword v0, v[0:1], off offset:4
	v_add_u32_e32 v181, s15, v84
	v_mov_b32_e32 v182, v165
	v_mov_b32_e32 v183, v163
	;; [unrolled: 1-line block ×7, first 2 shown]
	s_waitcnt vmcnt(0)
	ds_write_b32 v173, v0
	v_add_u32_e32 v0, v2, v109
	v_mad_i64_i32 v[0:1], s[4:5], v0, 36, v[86:87]
	global_load_dword v0, v[0:1], off offset:4
	s_waitcnt vmcnt(0)
	ds_write_b32 v174, v0
	v_add_u32_e32 v0, v2, v150
	v_mad_i64_i32 v[0:1], s[4:5], v0, 36, v[86:87]
	global_load_dword v0, v[0:1], off offset:4
	;; [unrolled: 5-line block ×7, first 2 shown]
	s_waitcnt vmcnt(0)
	ds_write_b32 v180, v0
	v_mad_u64_u32 v[0:1], s[4:5], v181, 36, s[2:3]
	global_load_dword v0, v[0:1], off
	s_mov_b32 s4, -4
	s_waitcnt vmcnt(0)
	ds_write_b32 v85, v0
	s_waitcnt lgkmcnt(0)
	s_barrier
.LBB137_9:                              ;   Parent Loop BB137_7 Depth=1
                                        ; =>  This Inner Loop Header: Depth=2
	ds_read_b128 v[32:35], v182
	ds_read_b128 v[0:3], v182 offset:16
	ds_read2_b32 v[134:135], v188 offset0:2 offset1:3
	ds_read2_b32 v[136:137], v188 offset1:1
	v_add_u32_e32 v138, 0x1080, v188
	v_add_u32_e32 v139, 0x1088, v188
	;; [unrolled: 1-line block ×6, first 2 shown]
	ds_read_b128 v[36:39], v182 offset:1024
	ds_read_b128 v[4:7], v182 offset:1040
	;; [unrolled: 1-line block ×11, first 2 shown]
	ds_read2_b32 v[144:145], v183 offset1:32
	ds_read2_b32 v[146:147], v183 offset0:64 offset1:96
	ds_read2_b32 v[148:149], v183 offset0:128 offset1:160
	;; [unrolled: 1-line block ×3, first 2 shown]
	ds_read2_b32 v[210:211], v138 offset1:1
	ds_read2_b32 v[212:213], v139 offset1:1
	;; [unrolled: 1-line block ×6, first 2 shown]
	v_mov_b32_e32 v189, 0
	v_mov_b32_e32 v190, 0
	;; [unrolled: 1-line block ×17, first 2 shown]
	s_waitcnt lgkmcnt(14)
	v_and_b32_e32 v215, 0xf0f0f0f, v136
	v_lshrrev_b32_e32 v222, 4, v136
	v_lshrrev_b32_e32 v227, 4, v137
	s_waitcnt lgkmcnt(5)
	v_and_b32_e32 v230, 0xf0f0f0f, v210
	v_lshrrev_b32_e32 v231, 4, v210
	s_waitcnt lgkmcnt(3)
	v_and_b32_e32 v234, 0xf0f0f0f, v216
	v_lshrrev_b32_e32 v235, 4, v216
	v_lshrrev_b32_e32 v237, 4, v217
	s_waitcnt lgkmcnt(1)
	v_and_b32_e32 v239, 0xf0f0f0f, v220
	v_lshrrev_b32_e32 v220, 4, v220
	v_and_b32_e32 v228, 0xf0f0f0f, v134
	v_lshrrev_b32_e32 v229, 4, v134
	v_cvt_f32_f16_e32 v140, v144
	v_cvt_f32_f16_sdwa v142, v144 dst_sel:DWORD dst_unused:UNUSED_PAD src0_sel:WORD_1
	v_cvt_f32_f16_e32 v138, v146
	v_cvt_f32_f16_sdwa v144, v146 dst_sel:DWORD dst_unused:UNUSED_PAD src0_sel:WORD_1
	;; [unrolled: 2-line block ×4, first 2 shown]
	v_dot4c_i32_i8_e32 v189, v215, v32
	v_and_b32_e32 v207, 0xf0f0f0f, v213
	v_and_b32_e32 v208, 0xf0f0f0f, v219
	v_dot4c_i32_i8_e32 v193, v215, v36
	v_dot4c_i32_i8_e32 v198, v215, v44
	;; [unrolled: 1-line block ×7, first 2 shown]
	s_waitcnt lgkmcnt(0)
	v_and_b32_e32 v241, 0xf0f0f0f, v224
	v_lshrrev_b32_e32 v215, 4, v213
	v_lshrrev_b32_e32 v213, 4, v224
	;; [unrolled: 1-line block ×3, first 2 shown]
	v_and_b32_e32 v219, 0xf0f0f0f, v222
	v_and_b32_e32 v224, 0xf0f0f0f, v227
	;; [unrolled: 1-line block ×3, first 2 shown]
	v_dot4c_i32_i8_e32 v190, v230, v32
	v_and_b32_e32 v231, 0xf0f0f0f, v235
	v_dot4c_i32_i8_e32 v191, v234, v32
	v_and_b32_e32 v235, 0xf0f0f0f, v237
	v_and_b32_e32 v237, 0xf0f0f0f, v220
	v_dot4c_i32_i8_e32 v192, v239, v32
	v_dot4c_i32_i8_e32 v194, v230, v36
	;; [unrolled: 1-line block ×7, first 2 shown]
	v_and_b32_e32 v226, 0xf0f0f0f, v137
	v_and_b32_e32 v232, 0xf0f0f0f, v211
	v_lshrrev_b32_e32 v211, 4, v211
	v_and_b32_e32 v236, 0xf0f0f0f, v217
	v_and_b32_e32 v240, 0xf0f0f0f, v221
	v_lshrrev_b32_e32 v221, 4, v221
	v_dot4c_i32_i8_e32 v189, v219, v0
	v_dot4c_i32_i8_e32 v190, v227, v0
	;; [unrolled: 1-line block ×12, first 2 shown]
	v_and_b32_e32 v223, 0xf0f0f0f, v135
	v_lshrrev_b32_e32 v214, 4, v135
	v_cvt_f32_f16_e32 v141, v145
	v_cvt_f32_f16_sdwa v143, v145 dst_sel:DWORD dst_unused:UNUSED_PAD src0_sel:WORD_1
	v_cvt_f32_f16_e32 v139, v147
	v_cvt_f32_f16_sdwa v145, v147 dst_sel:DWORD dst_unused:UNUSED_PAD src0_sel:WORD_1
	;; [unrolled: 2-line block ×4, first 2 shown]
	v_and_b32_e32 v209, 0xf0f0f0f, v225
	v_lshrrev_b32_e32 v217, 4, v225
	v_and_b32_e32 v225, 0xf0f0f0f, v229
	v_and_b32_e32 v229, 0xf0f0f0f, v211
	;; [unrolled: 1-line block ×3, first 2 shown]
	v_dot4c_i32_i8_e32 v189, v226, v33
	v_dot4c_i32_i8_e32 v190, v232, v33
	;; [unrolled: 1-line block ×12, first 2 shown]
	v_and_b32_e32 v233, 0xf0f0f0f, v212
	v_lshrrev_b32_e32 v212, 4, v212
	v_and_b32_e32 v238, 0xf0f0f0f, v218
	v_lshrrev_b32_e32 v218, 4, v218
	v_dot4c_i32_i8_e32 v189, v224, v1
	v_dot4c_i32_i8_e32 v190, v229, v1
	;; [unrolled: 1-line block ×12, first 2 shown]
	v_and_b32_e32 v211, 0xf0f0f0f, v212
	v_and_b32_e32 v212, 0xf0f0f0f, v218
	;; [unrolled: 1-line block ×3, first 2 shown]
	v_dot4c_i32_i8_e32 v189, v228, v34
	v_dot4c_i32_i8_e32 v190, v233, v34
	;; [unrolled: 1-line block ×28, first 2 shown]
	ds_read_b128 v[32:35], v182 offset:5136
	v_dot4c_i32_i8_e32 v193, v223, v39
	v_dot4c_i32_i8_e32 v194, v207, v39
	;; [unrolled: 1-line block ×4, first 2 shown]
	ds_read_b128 v[36:39], v182 offset:6160
	v_dot4c_i32_i8_e32 v198, v223, v47
	v_dot4c_i32_i8_e32 v197, v207, v47
	;; [unrolled: 1-line block ×4, first 2 shown]
	ds_read_b128 v[44:47], v182 offset:7184
	ds_read_b32 v2, v184
	ds_read_b32 v4, v185
	;; [unrolled: 1-line block ×3, first 2 shown]
	v_mov_b32_e32 v202, 0
	v_mov_b32_e32 v218, 0
	v_mov_b32_e32 v221, 0
	v_mov_b32_e32 v210, 0
	v_dot4c_i32_i8_e32 v201, v219, v12
	v_dot4c_i32_i8_e32 v203, v219, v20
	s_waitcnt lgkmcnt(5)
	v_dot4c_i32_i8_e32 v204, v219, v32
	s_waitcnt lgkmcnt(4)
	v_dot4c_i32_i8_e32 v205, v219, v36
	s_waitcnt lgkmcnt(3)
	v_dot4c_i32_i8_e32 v206, v219, v44
	v_mov_b32_e32 v1, 0
	v_dot4c_i32_i8_e32 v202, v230, v16
	v_dot4c_i32_i8_e32 v218, v234, v16
	v_mov_b32_e32 v9, 0
	v_mov_b32_e32 v219, 0
	v_dot4c_i32_i8_e32 v221, v239, v16
	v_mov_b32_e32 v16, 0
	v_mov_b32_e32 v222, 0
	v_dot4c_i32_i8_e32 v210, v230, v24
	v_dot4c_i32_i8_e32 v1, v230, v28
	v_mov_b32_e32 v5, 0
	v_mov_b32_e32 v8, 0
	v_dot4c_i32_i8_e32 v9, v234, v24
	;; [unrolled: 4-line block ×4, first 2 shown]
	v_dot4c_i32_i8_e32 v8, v230, v48
	v_dot4c_i32_i8_e32 v10, v234, v40
	;; [unrolled: 1-line block ×90, first 2 shown]
	v_and_b32_e32 v17, 0xf0f0f0f, v214
	v_dot4c_i32_i8_e32 v202, v211, v14
	v_dot4c_i32_i8_e32 v218, v212, v14
	;; [unrolled: 1-line block ×15, first 2 shown]
	v_and_b32_e32 v25, 0xf0f0f0f, v215
	v_and_b32_e32 v29, 0xf0f0f0f, v216
	;; [unrolled: 1-line block ×3, first 2 shown]
	v_dot4c_i32_i8_e32 v202, v207, v19
	v_dot4c_i32_i8_e32 v218, v208, v19
	v_dot4c_i32_i8_e32 v221, v209, v19
	v_dot4c_i32_i8_e32 v210, v207, v27
	v_dot4c_i32_i8_e32 v9, v208, v27
	v_dot4c_i32_i8_e32 v16, v209, v27
	v_dot4c_i32_i8_e32 v1, v207, v31
	v_dot4c_i32_i8_e32 v219, v208, v31
	v_dot4c_i32_i8_e32 v222, v209, v31
	v_dot4c_i32_i8_e32 v5, v207, v43
	v_dot4c_i32_i8_e32 v10, v208, v43
	v_dot4c_i32_i8_e32 v24, v209, v43
	v_dot4c_i32_i8_e32 v8, v207, v51
	v_dot4c_i32_i8_e32 v220, v208, v51
	v_dot4c_i32_i8_e32 v28, v209, v51
	v_dot4c_i32_i8_e32 v189, v17, v3
	v_dot4c_i32_i8_e32 v193, v17, v7
	v_dot4c_i32_i8_e32 v198, v17, v11
	v_dot4c_i32_i8_e32 v201, v17, v15
	v_dot4c_i32_i8_e32 v203, v17, v23
	v_dot4c_i32_i8_e32 v204, v17, v35
	v_dot4c_i32_i8_e32 v205, v17, v39
	v_dot4c_i32_i8_e32 v206, v17, v47
	v_dot4c_i32_i8_e32 v190, v25, v3
	v_dot4c_i32_i8_e32 v191, v29, v3
	v_dot4c_i32_i8_e32 v192, v30, v3
	v_dot4c_i32_i8_e32 v194, v25, v7
	v_dot4c_i32_i8_e32 v195, v29, v7
	v_dot4c_i32_i8_e32 v196, v30, v7
	v_cvt_f32_i32_e32 v19, v193
	v_cvt_f32_i32_e32 v18, v189
	v_dot4c_i32_i8_e32 v197, v25, v11
	v_dot4c_i32_i8_e32 v199, v29, v11
	v_dot4c_i32_i8_e32 v200, v30, v11
	v_cvt_f32_i32_e32 v27, v201
	v_cvt_f32_i32_e32 v26, v198
	v_dot4c_i32_i8_e32 v202, v25, v15
	v_dot4c_i32_i8_e32 v218, v29, v15
	v_dot4c_i32_i8_e32 v221, v30, v15
	v_dot4c_i32_i8_e32 v210, v25, v23
	v_dot4c_i32_i8_e32 v9, v29, v23
	v_dot4c_i32_i8_e32 v16, v30, v23
	v_cvt_f32_i32_e32 v15, v204
	v_cvt_f32_i32_e32 v14, v203
	v_dot4c_i32_i8_e32 v1, v25, v35
	v_dot4c_i32_i8_e32 v219, v29, v35
	v_dot4c_i32_i8_e32 v222, v30, v35
	;; [unrolled: 8-line block ×3, first 2 shown]
	ds_read_b32 v0, v187
	v_cvt_f32_i32_e32 v31, v194
	v_cvt_f32_i32_e32 v30, v190
	v_cvt_f32_i32_e32 v35, v195
	v_cvt_f32_i32_e32 v34, v191
	v_cvt_f32_i32_e32 v39, v196
	v_cvt_f32_i32_e32 v38, v192
	v_cvt_f32_i32_e32 v41, v202
	v_cvt_f32_i32_e32 v40, v197
	v_cvt_f32_i32_e32 v43, v218
	v_cvt_f32_i32_e32 v42, v199
	v_cvt_f32_i32_e32 v45, v221
	v_cvt_f32_i32_e32 v44, v200
	v_cvt_f32_i32_e32 v47, v1
	v_cvt_f32_i32_e32 v46, v210
	v_cvt_f32_i32_e32 v49, v219
	v_cvt_f32_i32_e32 v48, v9
	v_cvt_f32_i32_e32 v17, v222
	v_cvt_f32_i32_e32 v16, v16
	v_cvt_f32_i32_e32 v9, v8
	v_cvt_f32_i32_e32 v8, v5
	v_cvt_f32_i32_e32 v11, v220
	v_cvt_f32_i32_e32 v10, v10
	v_cvt_f32_i32_e32 v25, v28
	v_cvt_f32_i32_e32 v24, v24
	v_pk_mul_f32 v[12:13], v[142:143], s[0:1] op_sel_hi:[1,0]
	v_pk_mul_f32 v[20:21], v[144:145], s[0:1] op_sel_hi:[1,0]
	;; [unrolled: 1-line block ×4, first 2 shown]
	v_pk_fma_f32 v[18:19], v[140:141], v[18:19], v[12:13] neg_lo:[0,0,1] neg_hi:[0,0,1]
	v_pk_fma_f32 v[26:27], v[26:27], v[138:139], v[20:21] neg_lo:[0,0,1] neg_hi:[0,0,1]
	;; [unrolled: 1-line block ×4, first 2 shown]
	s_add_i32 s4, s4, 4
	s_waitcnt lgkmcnt(3)
	v_pk_fma_f32 v[88:89], v[2:3], v[18:19], v[88:89] op_sel_hi:[0,1,1]
	v_pk_fma_f32 v[18:19], v[140:141], v[30:31], v[12:13] neg_lo:[0,0,1] neg_hi:[0,0,1]
	v_pk_fma_f32 v[28:29], v[140:141], v[34:35], v[12:13] neg_lo:[0,0,1] neg_hi:[0,0,1]
	v_pk_fma_f32 v[12:13], v[140:141], v[38:39], v[12:13] neg_lo:[0,0,1] neg_hi:[0,0,1]
	v_pk_fma_f32 v[110:111], v[2:3], v[26:27], v[110:111] op_sel_hi:[0,1,1]
	v_pk_fma_f32 v[26:27], v[40:41], v[138:139], v[20:21] neg_lo:[0,0,1] neg_hi:[0,0,1]
	v_pk_fma_f32 v[30:31], v[42:43], v[138:139], v[20:21] neg_lo:[0,0,1] neg_hi:[0,0,1]
	v_pk_fma_f32 v[20:21], v[44:45], v[138:139], v[20:21] neg_lo:[0,0,1] neg_hi:[0,0,1]
	;; [unrolled: 4-line block ×4, first 2 shown]
	v_add_u32_e32 v188, 16, v188
	v_add_u32_e32 v187, 4, v187
	;; [unrolled: 1-line block ×7, first 2 shown]
	s_cmp_lt_u32 s4, 12
	s_waitcnt lgkmcnt(2)
	v_pk_fma_f32 v[122:123], v[4:5], v[18:19], v[122:123] op_sel_hi:[0,1,1]
	s_waitcnt lgkmcnt(1)
	v_pk_fma_f32 v[128:129], v[6:7], v[28:29], v[128:129] op_sel_hi:[0,1,1]
	;; [unrolled: 2-line block ×3, first 2 shown]
	v_pk_fma_f32 v[116:117], v[4:5], v[26:27], v[116:117] op_sel_hi:[0,1,1]
	v_pk_fma_f32 v[124:125], v[6:7], v[30:31], v[124:125] op_sel_hi:[0,1,1]
	;; [unrolled: 1-line block ×9, first 2 shown]
	s_cbranch_scc1 .LBB137_9
; %bb.10:                               ;   in Loop: Header=BB137_7 Depth=1
	s_and_b32 s4, s14, -4
	s_cmp_eq_u32 s4, 4
	s_barrier
	s_cbranch_scc1 .LBB137_6
; %bb.11:                               ;   in Loop: Header=BB137_7 Depth=1
	v_add_u32_e32 v14, s15, v157
	v_add_u32_e32 v0, v14, v107
	;; [unrolled: 1-line block ×6, first 2 shown]
	v_mad_i64_i32 v[0:1], s[4:5], v0, 36, v[86:87]
	v_mad_i64_i32 v[2:3], s[4:5], v2, 36, v[86:87]
	;; [unrolled: 1-line block ×4, first 2 shown]
	v_add_u32_e32 v8, v14, v152
	v_add_u32_e32 v10, v14, v153
	;; [unrolled: 1-line block ×4, first 2 shown]
	v_mad_u64_u32 v[16:17], s[4:5], v16, 36, s[2:3]
	v_mad_i64_i32 v[8:9], s[4:5], v8, 36, v[86:87]
	v_mad_i64_i32 v[10:11], s[4:5], v10, 36, v[86:87]
	v_mad_i64_i32 v[12:13], s[4:5], v12, 36, v[86:87]
	v_mad_i64_i32 v[14:15], s[4:5], v14, 36, v[86:87]
	global_load_dword v16, v[16:17], off
	s_nop 0
	global_load_dword v0, v[0:1], off offset:4
	s_nop 0
	global_load_dword v1, v[2:3], off offset:4
	s_nop 0
	global_load_dword v2, v[4:5], off offset:4
	global_load_dword v3, v[6:7], off offset:4
	s_nop 0
	global_load_dword v4, v[8:9], off offset:4
	global_load_dword v5, v[10:11], off offset:4
                                        ; kill: killed $vgpr8_vgpr9
                                        ; kill: killed $vgpr10_vgpr11
	global_load_dword v6, v[12:13], off offset:4
	global_load_dword v7, v[14:15], off offset:4
	s_mov_b32 s4, 12
	v_mov_b32_e32 v9, v163
	v_mov_b32_e32 v11, v165
	;; [unrolled: 1-line block ×7, first 2 shown]
	s_waitcnt vmcnt(8)
	ds_write_b32 v85, v16
	s_waitcnt vmcnt(7)
	ds_write_b32 v173, v0
	;; [unrolled: 2-line block ×9, first 2 shown]
	s_waitcnt lgkmcnt(0)
	s_barrier
.LBB137_12:                             ;   Parent Loop BB137_7 Depth=1
                                        ; =>  This Inner Loop Header: Depth=2
	ds_read_b128 v[0:3], v11
	ds_read_b128 v[4:7], v11 offset:16
	ds_read2_b32 v[16:17], v9 offset1:32
	ds_read_b32 v8, v13
	ds_read2_b32 v[22:23], v20 offset1:1
	ds_read2_b32 v[32:33], v20 offset0:2 offset1:3
	v_add_u32_e32 v12, 0x1080, v20
	v_add_u32_e32 v14, 0x2100, v20
	v_mov_b32_e32 v140, 0
	s_waitcnt lgkmcnt(1)
	v_lshrrev_b32_e32 v10, 4, v22
	v_and_b32_e32 v21, 0xf0f0f0f, v22
	v_and_b32_e32 v22, 0xf0f0f0f, v10
	v_lshrrev_b32_e32 v10, 4, v23
	v_and_b32_e32 v26, 0xf0f0f0f, v10
	s_waitcnt lgkmcnt(0)
	v_lshrrev_b32_e32 v10, 4, v32
	v_and_b32_e32 v30, 0xf0f0f0f, v10
	v_lshrrev_b32_e32 v10, 4, v33
	v_and_b32_e32 v29, 0xf0f0f0f, v32
	v_and_b32_e32 v32, 0xf0f0f0f, v10
	ds_read_b32 v10, v15
	ds_read2_b32 v[34:35], v12 offset1:1
	v_and_b32_e32 v25, 0xf0f0f0f, v23
	v_and_b32_e32 v31, 0xf0f0f0f, v33
	v_mov_b32_e32 v142, 0
	v_mov_b32_e32 v143, 0
	s_waitcnt lgkmcnt(0)
	v_lshrrev_b32_e32 v12, 4, v34
	v_and_b32_e32 v24, 0xf0f0f0f, v12
	v_lshrrev_b32_e32 v12, 4, v35
	v_and_b32_e32 v28, 0xf0f0f0f, v12
	v_add_u32_e32 v12, 0x1088, v20
	ds_read2_b32 v[38:39], v12 offset1:1
	v_and_b32_e32 v27, 0xf0f0f0f, v35
	v_and_b32_e32 v23, 0xf0f0f0f, v34
	v_mov_b32_e32 v144, 0
	v_dot4c_i32_i8_e32 v140, v21, v0
	s_waitcnt lgkmcnt(0)
	v_lshrrev_b32_e32 v12, 4, v38
	v_and_b32_e32 v36, 0xf0f0f0f, v12
	v_lshrrev_b32_e32 v12, 4, v39
	v_and_b32_e32 v35, 0xf0f0f0f, v38
	v_and_b32_e32 v38, 0xf0f0f0f, v12
	ds_read_b32 v12, v18
	ds_read2_b32 v[40:41], v14 offset1:1
	v_and_b32_e32 v37, 0xf0f0f0f, v39
	v_dot4c_i32_i8_e32 v142, v23, v0
	v_dot4c_i32_i8_e32 v140, v22, v4
	;; [unrolled: 1-line block ×3, first 2 shown]
	s_waitcnt lgkmcnt(0)
	v_lshrrev_b32_e32 v14, 4, v40
	v_and_b32_e32 v34, 0xf0f0f0f, v14
	v_lshrrev_b32_e32 v14, 4, v41
	v_and_b32_e32 v33, 0xf0f0f0f, v40
	v_and_b32_e32 v40, 0xf0f0f0f, v14
	v_add_u32_e32 v14, 0x2108, v20
	ds_read2_b32 v[44:45], v14 offset1:1
	v_and_b32_e32 v39, 0xf0f0f0f, v41
	v_dot4c_i32_i8_e32 v143, v33, v0
	v_dot4c_i32_i8_e32 v143, v34, v4
	;; [unrolled: 1-line block ×3, first 2 shown]
	s_waitcnt lgkmcnt(0)
	v_lshrrev_b32_e32 v14, 4, v44
	v_and_b32_e32 v42, 0xf0f0f0f, v14
	v_lshrrev_b32_e32 v14, 4, v45
	v_and_b32_e32 v41, 0xf0f0f0f, v44
	v_and_b32_e32 v43, 0xf0f0f0f, v45
	;; [unrolled: 1-line block ×3, first 2 shown]
	v_add_u32_e32 v45, 0x3180, v20
	ds_read_b32 v14, v19
	ds_read2_b32 v[46:47], v45 offset1:1
	v_dot4c_i32_i8_e32 v142, v27, v1
	v_dot4c_i32_i8_e32 v143, v39, v1
	;; [unrolled: 1-line block ×4, first 2 shown]
	s_waitcnt lgkmcnt(0)
	v_and_b32_e32 v45, 0xf0f0f0f, v46
	v_lshrrev_b32_e32 v46, 4, v46
	v_and_b32_e32 v46, 0xf0f0f0f, v46
	v_dot4c_i32_i8_e32 v144, v45, v0
	v_dot4c_i32_i8_e32 v144, v46, v4
	v_and_b32_e32 v0, 0xf0f0f0f, v47
	v_dot4c_i32_i8_e32 v144, v0, v1
	v_add_u32_e32 v1, 0x3188, v20
	ds_read2_b32 v[48:49], v1 offset1:1
	v_lshrrev_b32_e32 v4, 4, v47
	v_and_b32_e32 v4, 0xf0f0f0f, v4
	v_dot4c_i32_i8_e32 v143, v40, v5
	v_dot4c_i32_i8_e32 v144, v4, v5
	s_waitcnt lgkmcnt(0)
	v_and_b32_e32 v1, 0xf0f0f0f, v48
	v_lshrrev_b32_e32 v5, 4, v48
	v_dot4c_i32_i8_e32 v140, v29, v2
	v_dot4c_i32_i8_e32 v142, v35, v2
	;; [unrolled: 1-line block ×3, first 2 shown]
	v_and_b32_e32 v5, 0xf0f0f0f, v5
	v_dot4c_i32_i8_e32 v144, v1, v2
	v_dot4c_i32_i8_e32 v140, v30, v6
	;; [unrolled: 1-line block ×5, first 2 shown]
	v_and_b32_e32 v2, 0xf0f0f0f, v49
	v_lshrrev_b32_e32 v6, 4, v49
	ds_read_b128 v[48:51], v11 offset:1024
	ds_read_b128 v[134:137], v11 offset:1040
	v_dot4c_i32_i8_e32 v140, v31, v3
	v_dot4c_i32_i8_e32 v142, v37, v3
	;; [unrolled: 1-line block ×4, first 2 shown]
	v_mov_b32_e32 v3, 0
	s_waitcnt lgkmcnt(1)
	v_dot4c_i32_i8_e32 v3, v21, v48
	s_waitcnt lgkmcnt(0)
	v_dot4c_i32_i8_e32 v3, v22, v134
	v_dot4c_i32_i8_e32 v3, v25, v49
	;; [unrolled: 1-line block ×8, first 2 shown]
	v_cvt_f32_f16_e32 v139, v17
	v_cvt_f32_f16_e32 v138, v16
	v_cvt_f32_i32_e32 v141, v3
	v_mov_b32_e32 v3, 0
	v_dot4c_i32_i8_e32 v3, v23, v48
	v_dot4c_i32_i8_e32 v3, v24, v134
	v_cvt_f32_f16_sdwa v17, v17 dst_sel:DWORD dst_unused:UNUSED_PAD src0_sel:WORD_1
	v_cvt_f32_f16_sdwa v16, v16 dst_sel:DWORD dst_unused:UNUSED_PAD src0_sel:WORD_1
	v_dot4c_i32_i8_e32 v3, v27, v49
	v_cvt_f32_i32_e32 v140, v140
	v_dot4c_i32_i8_e32 v3, v28, v135
	v_dot4c_i32_i8_e32 v3, v35, v50
	v_dot4c_i32_i8_e32 v3, v36, v136
	v_pk_mul_f32 v[16:17], v[16:17], s[0:1] op_sel_hi:[1,0]
	v_dot4c_i32_i8_e32 v3, v37, v51
	v_pk_fma_f32 v[140:141], v[138:139], v[140:141], v[16:17] neg_lo:[0,0,1] neg_hi:[0,0,1]
	v_dot4c_i32_i8_e32 v3, v38, v137
	v_pk_fma_f32 v[88:89], v[8:9], v[140:141], v[88:89] op_sel_hi:[0,1,1]
	v_dot4c_i32_i8_e32 v142, v38, v7
	v_and_b32_e32 v6, 0xf0f0f0f, v6
	v_cvt_f32_i32_e32 v141, v3
	v_mov_b32_e32 v3, 0
	v_dot4c_i32_i8_e32 v3, v33, v48
	v_dot4c_i32_i8_e32 v3, v34, v134
	;; [unrolled: 1-line block ×3, first 2 shown]
	v_cvt_f32_i32_e32 v140, v142
	v_dot4c_i32_i8_e32 v3, v40, v135
	v_dot4c_i32_i8_e32 v3, v41, v50
	;; [unrolled: 1-line block ×4, first 2 shown]
	v_pk_fma_f32 v[140:141], v[138:139], v[140:141], v[16:17] neg_lo:[0,0,1] neg_hi:[0,0,1]
	v_dot4c_i32_i8_e32 v3, v44, v137
	v_pk_fma_f32 v[122:123], v[10:11], v[140:141], v[122:123] op_sel_hi:[0,1,1]
	v_dot4c_i32_i8_e32 v143, v44, v7
	v_dot4c_i32_i8_e32 v144, v6, v7
	v_cvt_f32_i32_e32 v141, v3
	v_mov_b32_e32 v3, 0
	v_dot4c_i32_i8_e32 v3, v45, v48
	v_dot4c_i32_i8_e32 v3, v46, v134
	;; [unrolled: 1-line block ×8, first 2 shown]
	v_cvt_f32_i32_e32 v140, v143
	v_cvt_f32_i32_e32 v48, v144
	v_mov_b32_e32 v7, 0
	v_cvt_f32_i32_e32 v49, v3
	v_pk_fma_f32 v[140:141], v[138:139], v[140:141], v[16:17] neg_lo:[0,0,1] neg_hi:[0,0,1]
	v_mov_b32_e32 v3, 0
	v_mov_b32_e32 v47, 0
	v_pk_fma_f32 v[16:17], v[138:139], v[48:49], v[16:17] neg_lo:[0,0,1] neg_hi:[0,0,1]
	v_mov_b32_e32 v142, 0
	v_pk_fma_f32 v[132:133], v[14:15], v[16:17], v[132:133] op_sel_hi:[0,1,1]
	ds_read_b128 v[48:51], v11 offset:2048
	ds_read_b128 v[134:137], v11 offset:2064
	ds_read2_b32 v[16:17], v9 offset0:64 offset1:96
	v_pk_fma_f32 v[128:129], v[12:13], v[140:141], v[128:129] op_sel_hi:[0,1,1]
	v_mov_b32_e32 v140, 0
	s_waitcnt lgkmcnt(2)
	v_dot4c_i32_i8_e32 v3, v21, v48
	v_dot4c_i32_i8_e32 v7, v23, v48
	;; [unrolled: 1-line block ×4, first 2 shown]
	s_waitcnt lgkmcnt(1)
	v_dot4c_i32_i8_e32 v3, v22, v134
	v_dot4c_i32_i8_e32 v7, v24, v134
	;; [unrolled: 1-line block ×28, first 2 shown]
	ds_read_b128 v[48:51], v11 offset:3072
	ds_read_b128 v[134:137], v11 offset:3088
	s_waitcnt lgkmcnt(2)
	v_cvt_f32_f16_e32 v139, v17
	v_cvt_f32_f16_e32 v138, v16
	v_cvt_f32_f16_sdwa v17, v17 dst_sel:DWORD dst_unused:UNUSED_PAD src0_sel:WORD_1
	s_waitcnt lgkmcnt(1)
	v_dot4c_i32_i8_e32 v140, v21, v48
	s_waitcnt lgkmcnt(0)
	v_dot4c_i32_i8_e32 v140, v22, v134
	v_dot4c_i32_i8_e32 v140, v25, v49
	;; [unrolled: 1-line block ×7, first 2 shown]
	v_cvt_f32_f16_sdwa v16, v16 dst_sel:DWORD dst_unused:UNUSED_PAD src0_sel:WORD_1
	s_add_i32 s4, s4, 4
	v_add_u32_e32 v20, 16, v20
	v_cvt_f32_i32_e32 v141, v140
	v_cvt_f32_i32_e32 v140, v3
	v_mov_b32_e32 v3, 0
	v_dot4c_i32_i8_e32 v3, v23, v48
	v_dot4c_i32_i8_e32 v3, v24, v134
	;; [unrolled: 1-line block ×6, first 2 shown]
	v_pk_mul_f32 v[16:17], v[16:17], s[0:1] op_sel_hi:[1,0]
	v_dot4c_i32_i8_e32 v3, v37, v51
	v_pk_fma_f32 v[140:141], v[140:141], v[138:139], v[16:17] neg_lo:[0,0,1] neg_hi:[0,0,1]
	v_dot4c_i32_i8_e32 v3, v38, v137
	v_pk_fma_f32 v[110:111], v[8:9], v[140:141], v[110:111] op_sel_hi:[0,1,1]
	v_cvt_f32_i32_e32 v140, v7
	v_mov_b32_e32 v7, 0
	v_cvt_f32_i32_e32 v141, v3
	v_mov_b32_e32 v3, 0
	v_dot4c_i32_i8_e32 v3, v33, v48
	v_dot4c_i32_i8_e32 v3, v34, v134
	;; [unrolled: 1-line block ×7, first 2 shown]
	v_pk_fma_f32 v[140:141], v[140:141], v[138:139], v[16:17] neg_lo:[0,0,1] neg_hi:[0,0,1]
	v_dot4c_i32_i8_e32 v3, v44, v137
	v_pk_fma_f32 v[116:117], v[10:11], v[140:141], v[116:117] op_sel_hi:[0,1,1]
	v_cvt_f32_i32_e32 v140, v47
	v_mov_b32_e32 v47, 0
	v_cvt_f32_i32_e32 v141, v3
	v_mov_b32_e32 v3, 0
	v_dot4c_i32_i8_e32 v3, v45, v48
	v_dot4c_i32_i8_e32 v3, v46, v134
	;; [unrolled: 1-line block ×8, first 2 shown]
	v_cvt_f32_i32_e32 v48, v142
	v_pk_fma_f32 v[140:141], v[140:141], v[138:139], v[16:17] neg_lo:[0,0,1] neg_hi:[0,0,1]
	v_mov_b32_e32 v142, 0
	v_cvt_f32_i32_e32 v49, v3
	v_mov_b32_e32 v3, 0
	v_pk_fma_f32 v[124:125], v[12:13], v[140:141], v[124:125] op_sel_hi:[0,1,1]
	v_mov_b32_e32 v140, 0
	v_pk_fma_f32 v[16:17], v[48:49], v[138:139], v[16:17] neg_lo:[0,0,1] neg_hi:[0,0,1]
	v_add_u32_e32 v19, 4, v19
	v_pk_fma_f32 v[130:131], v[14:15], v[16:17], v[130:131] op_sel_hi:[0,1,1]
	ds_read_b128 v[48:51], v11 offset:4096
	ds_read_b128 v[134:137], v11 offset:4112
	ds_read2_b32 v[16:17], v9 offset0:128 offset1:160
	v_add_u32_e32 v18, 4, v18
	s_cmp_lt_u32 s4, 28
	s_waitcnt lgkmcnt(2)
	v_dot4c_i32_i8_e32 v3, v21, v48
	v_dot4c_i32_i8_e32 v7, v23, v48
	;; [unrolled: 1-line block ×4, first 2 shown]
	s_waitcnt lgkmcnt(1)
	v_dot4c_i32_i8_e32 v3, v22, v134
	v_dot4c_i32_i8_e32 v7, v24, v134
	;; [unrolled: 1-line block ×28, first 2 shown]
	ds_read_b128 v[48:51], v11 offset:5120
	ds_read_b128 v[134:137], v11 offset:5136
	s_waitcnt lgkmcnt(2)
	v_cvt_f32_f16_e32 v139, v17
	v_cvt_f32_f16_e32 v138, v16
	v_cvt_f32_f16_sdwa v17, v17 dst_sel:DWORD dst_unused:UNUSED_PAD src0_sel:WORD_1
	s_waitcnt lgkmcnt(1)
	v_dot4c_i32_i8_e32 v140, v21, v48
	s_waitcnt lgkmcnt(0)
	v_dot4c_i32_i8_e32 v140, v22, v134
	v_dot4c_i32_i8_e32 v140, v25, v49
	;; [unrolled: 1-line block ×7, first 2 shown]
	v_cvt_f32_f16_sdwa v16, v16 dst_sel:DWORD dst_unused:UNUSED_PAD src0_sel:WORD_1
	v_pk_mul_f32 v[16:17], v[16:17], s[0:1] op_sel_hi:[1,0]
	s_nop 0
	v_cvt_f32_i32_e32 v141, v140
	v_cvt_f32_i32_e32 v140, v3
	v_mov_b32_e32 v3, 0
	v_dot4c_i32_i8_e32 v3, v23, v48
	v_dot4c_i32_i8_e32 v3, v24, v134
	;; [unrolled: 1-line block ×7, first 2 shown]
	v_pk_fma_f32 v[140:141], v[140:141], v[138:139], v[16:17] neg_lo:[0,0,1] neg_hi:[0,0,1]
	v_dot4c_i32_i8_e32 v3, v38, v137
	v_pk_fma_f32 v[100:101], v[8:9], v[140:141], v[100:101] op_sel_hi:[0,1,1]
	v_cvt_f32_i32_e32 v140, v7
	v_mov_b32_e32 v7, 0
	v_cvt_f32_i32_e32 v141, v3
	v_mov_b32_e32 v3, 0
	v_dot4c_i32_i8_e32 v3, v33, v48
	v_dot4c_i32_i8_e32 v3, v34, v134
	;; [unrolled: 1-line block ×7, first 2 shown]
	v_pk_fma_f32 v[140:141], v[140:141], v[138:139], v[16:17] neg_lo:[0,0,1] neg_hi:[0,0,1]
	v_dot4c_i32_i8_e32 v3, v44, v137
	v_pk_fma_f32 v[112:113], v[10:11], v[140:141], v[112:113] op_sel_hi:[0,1,1]
	v_cvt_f32_i32_e32 v140, v47
	v_mov_b32_e32 v47, 0
	v_cvt_f32_i32_e32 v141, v3
	v_mov_b32_e32 v3, 0
	v_dot4c_i32_i8_e32 v3, v45, v48
	v_dot4c_i32_i8_e32 v3, v46, v134
	v_dot4c_i32_i8_e32 v3, v0, v49
	v_dot4c_i32_i8_e32 v3, v4, v135
	v_dot4c_i32_i8_e32 v3, v1, v50
	v_dot4c_i32_i8_e32 v3, v5, v136
	v_dot4c_i32_i8_e32 v3, v2, v51
	v_dot4c_i32_i8_e32 v3, v6, v137
	v_cvt_f32_i32_e32 v48, v142
	v_pk_fma_f32 v[140:141], v[140:141], v[138:139], v[16:17] neg_lo:[0,0,1] neg_hi:[0,0,1]
	s_nop 0
	v_cvt_f32_i32_e32 v49, v3
	v_pk_fma_f32 v[118:119], v[12:13], v[140:141], v[118:119] op_sel_hi:[0,1,1]
	v_mov_b32_e32 v3, 0
	v_mov_b32_e32 v140, 0
	v_pk_fma_f32 v[16:17], v[48:49], v[138:139], v[16:17] neg_lo:[0,0,1] neg_hi:[0,0,1]
	v_mov_b32_e32 v138, 0
	v_pk_fma_f32 v[126:127], v[14:15], v[16:17], v[126:127] op_sel_hi:[0,1,1]
	ds_read_b128 v[48:51], v11 offset:6144
	ds_read_b128 v[134:137], v11 offset:6160
	ds_read2_b32 v[16:17], v9 offset0:192 offset1:224
	s_waitcnt lgkmcnt(2)
	v_dot4c_i32_i8_e32 v3, v21, v48
	v_dot4c_i32_i8_e32 v7, v23, v48
	;; [unrolled: 1-line block ×4, first 2 shown]
	s_waitcnt lgkmcnt(1)
	v_dot4c_i32_i8_e32 v3, v22, v134
	v_dot4c_i32_i8_e32 v7, v24, v134
	;; [unrolled: 1-line block ×28, first 2 shown]
	ds_read_b128 v[48:51], v11 offset:7168
	ds_read_b128 v[134:137], v11 offset:7184
	s_waitcnt lgkmcnt(1)
	v_dot4c_i32_i8_e32 v138, v21, v48
	s_waitcnt lgkmcnt(0)
	v_dot4c_i32_i8_e32 v138, v22, v134
	v_dot4c_i32_i8_e32 v138, v25, v49
	;; [unrolled: 1-line block ×7, first 2 shown]
	v_cvt_f32_f16_e32 v31, v17
	v_cvt_f32_f16_e32 v30, v16
	v_cvt_f32_f16_sdwa v17, v17 dst_sel:DWORD dst_unused:UNUSED_PAD src0_sel:WORD_1
	v_cvt_f32_i32_e32 v139, v138
	v_cvt_f32_i32_e32 v138, v3
	v_mov_b32_e32 v3, 0
	v_dot4c_i32_i8_e32 v3, v23, v48
	v_dot4c_i32_i8_e32 v3, v24, v134
	;; [unrolled: 1-line block ×8, first 2 shown]
	v_cvt_f32_f16_sdwa v16, v16 dst_sel:DWORD dst_unused:UNUSED_PAD src0_sel:WORD_1
	v_cvt_f32_i32_e32 v22, v7
	v_pk_mul_f32 v[16:17], v[16:17], s[0:1] op_sel_hi:[1,0]
	v_cvt_f32_i32_e32 v23, v3
	v_mov_b32_e32 v3, 0
	v_dot4c_i32_i8_e32 v3, v33, v48
	v_dot4c_i32_i8_e32 v3, v34, v134
	;; [unrolled: 1-line block ×7, first 2 shown]
	v_pk_fma_f32 v[22:23], v[22:23], v[30:31], v[16:17] neg_lo:[0,0,1] neg_hi:[0,0,1]
	v_dot4c_i32_i8_e32 v3, v44, v137
	v_pk_fma_f32 v[102:103], v[10:11], v[22:23], v[102:103] op_sel_hi:[0,1,1]
	v_cvt_f32_i32_e32 v22, v47
	v_pk_fma_f32 v[138:139], v[138:139], v[30:31], v[16:17] neg_lo:[0,0,1] neg_hi:[0,0,1]
	v_cvt_f32_i32_e32 v23, v3
	v_mov_b32_e32 v3, 0
	v_dot4c_i32_i8_e32 v3, v45, v48
	v_dot4c_i32_i8_e32 v3, v46, v134
	;; [unrolled: 1-line block ×8, first 2 shown]
	v_cvt_f32_i32_e32 v0, v140
	v_pk_fma_f32 v[22:23], v[22:23], v[30:31], v[16:17] neg_lo:[0,0,1] neg_hi:[0,0,1]
	v_pk_fma_f32 v[92:93], v[8:9], v[138:139], v[92:93] op_sel_hi:[0,1,1]
	v_cvt_f32_i32_e32 v1, v3
	v_pk_fma_f32 v[114:115], v[12:13], v[22:23], v[114:115] op_sel_hi:[0,1,1]
	v_add_u32_e32 v13, 4, v13
	v_add_u32_e32 v11, 32, v11
	v_pk_fma_f32 v[0:1], v[0:1], v[30:31], v[16:17] neg_lo:[0,0,1] neg_hi:[0,0,1]
	v_add_u32_e32 v9, 4, v9
	v_pk_fma_f32 v[120:121], v[14:15], v[0:1], v[120:121] op_sel_hi:[0,1,1]
	v_add_u32_e32 v15, 4, v15
	s_cbranch_scc1 .LBB137_12
; %bb.13:                               ;   in Loop: Header=BB137_7 Depth=1
	s_barrier
	s_branch .LBB137_6
.LBB137_14:
	v_cvt_pk_f16_f32 v20, v88, v89
	v_cvt_pk_f16_f32 v19, v122, v123
	;; [unrolled: 1-line block ×16, first 2 shown]
	v_mov_b32_e32 v4, v57
	v_cmp_gt_u32_e32 vcc, s8, v59
	s_and_saveexec_b64 s[0:1], vcc
	s_cbranch_execz .LBB137_3
.LBB137_15:
	v_add_u32_e32 v5, s6, v53
	v_mul_lo_u32 v21, v59, s10
	v_cmp_gt_u32_e32 vcc, s10, v5
	s_and_saveexec_b64 s[0:1], vcc
	s_cbranch_execz .LBB137_17
; %bb.16:
	v_add_u32_e32 v6, v5, v21
	v_mov_b32_e32 v7, 0
	s_waitcnt lgkmcnt(0)
	v_lshl_add_u64 v[6:7], v[6:7], 1, s[12:13]
	global_store_short v[6:7], v20, off
.LBB137_17:
	s_or_b64 exec, exec, s[0:1]
	v_add_u32_e32 v6, 32, v5
	v_cmp_gt_u32_e64 s[0:1], s10, v6
	s_and_saveexec_b64 s[2:3], s[0:1]
	s_cbranch_execz .LBB137_19
; %bb.18:
	v_add_u32_e32 v22, v6, v21
	v_mov_b32_e32 v23, 0
	s_waitcnt lgkmcnt(0)
	v_lshl_add_u64 v[22:23], v[22:23], 1, s[12:13]
	global_store_short v[22:23], v19, off
.LBB137_19:
	s_or_b64 exec, exec, s[2:3]
	v_add_u32_e32 v7, 64, v5
	v_cmp_gt_u32_e64 s[2:3], s10, v7
	s_and_saveexec_b64 s[4:5], s[2:3]
	;; [unrolled: 12-line block ×3, first 2 shown]
	s_cbranch_execz .LBB137_23
; %bb.22:
	v_add_u32_e32 v22, v8, v21
	v_mov_b32_e32 v23, 0
	s_waitcnt lgkmcnt(0)
	v_lshl_add_u64 v[22:23], v[22:23], 1, s[12:13]
	global_store_short v[22:23], v17, off
.LBB137_23:
	s_or_b64 exec, exec, s[6:7]
	v_add3_u32 v21, v4, s11, 8
	v_cmp_gt_u32_e64 s[6:7], s8, v21
	s_and_b64 exec, exec, s[6:7]
	s_cbranch_execz .LBB137_3
; %bb.24:
	v_mul_lo_u32 v21, v21, s10
	s_and_saveexec_b64 s[6:7], vcc
	s_cbranch_execnz .LBB137_64
; %bb.25:
	s_or_b64 exec, exec, s[6:7]
	s_and_saveexec_b64 s[6:7], s[0:1]
	s_cbranch_execnz .LBB137_65
.LBB137_26:
	s_or_b64 exec, exec, s[6:7]
	s_and_saveexec_b64 s[6:7], s[2:3]
	s_cbranch_execnz .LBB137_66
.LBB137_27:
	s_or_b64 exec, exec, s[6:7]
	s_and_saveexec_b64 s[6:7], s[4:5]
	s_cbranch_execz .LBB137_29
.LBB137_28:
	v_add_u32_e32 v18, v21, v8
	v_mov_b32_e32 v19, 0
	s_waitcnt lgkmcnt(0)
	v_lshl_add_u64 v[18:19], v[18:19], 1, s[12:13]
	global_store_short_d16_hi v[18:19], v17, off
.LBB137_29:
	s_or_b64 exec, exec, s[6:7]
	v_add3_u32 v17, v4, s11, 16
	v_cmp_gt_u32_e64 s[6:7], s8, v17
	s_and_b64 exec, exec, s[6:7]
	s_cbranch_execz .LBB137_3
; %bb.30:
	v_mul_lo_u32 v17, v17, s10
	s_and_saveexec_b64 s[6:7], vcc
	s_cbranch_execnz .LBB137_67
; %bb.31:
	s_or_b64 exec, exec, s[6:7]
	s_and_saveexec_b64 s[6:7], s[0:1]
	s_cbranch_execnz .LBB137_68
.LBB137_32:
	s_or_b64 exec, exec, s[6:7]
	s_and_saveexec_b64 s[6:7], s[2:3]
	s_cbranch_execnz .LBB137_69
.LBB137_33:
	s_or_b64 exec, exec, s[6:7]
	s_and_saveexec_b64 s[6:7], s[4:5]
	s_cbranch_execz .LBB137_35
.LBB137_34:
	v_add_u32_e32 v18, v17, v8
	v_mov_b32_e32 v19, 0
	s_waitcnt lgkmcnt(0)
	v_lshl_add_u64 v[18:19], v[18:19], 1, s[12:13]
	global_store_short v[18:19], v13, off
.LBB137_35:
	s_or_b64 exec, exec, s[6:7]
	v_add3_u32 v17, v4, s11, 24
	v_cmp_gt_u32_e64 s[6:7], s8, v17
	s_and_b64 exec, exec, s[6:7]
	s_cbranch_execz .LBB137_3
; %bb.36:
	v_mul_lo_u32 v17, v17, s10
	s_and_saveexec_b64 s[6:7], vcc
	s_cbranch_execnz .LBB137_70
; %bb.37:
	s_or_b64 exec, exec, s[6:7]
	s_and_saveexec_b64 s[6:7], s[0:1]
	s_cbranch_execnz .LBB137_71
.LBB137_38:
	s_or_b64 exec, exec, s[6:7]
	s_and_saveexec_b64 s[6:7], s[2:3]
	s_cbranch_execnz .LBB137_72
.LBB137_39:
	s_or_b64 exec, exec, s[6:7]
	s_and_saveexec_b64 s[6:7], s[4:5]
	s_cbranch_execz .LBB137_41
.LBB137_40:
	v_add_u32_e32 v14, v17, v8
	v_mov_b32_e32 v15, 0
	s_waitcnt lgkmcnt(0)
	v_lshl_add_u64 v[14:15], v[14:15], 1, s[12:13]
	global_store_short_d16_hi v[14:15], v13, off
.LBB137_41:
	s_or_b64 exec, exec, s[6:7]
	v_add3_u32 v13, v4, s11, 32
	v_cmp_gt_u32_e64 s[6:7], s8, v13
	s_and_b64 exec, exec, s[6:7]
	s_cbranch_execz .LBB137_3
; %bb.42:
	v_mul_lo_u32 v13, v13, s10
	s_and_saveexec_b64 s[6:7], vcc
	s_cbranch_execnz .LBB137_73
; %bb.43:
	s_or_b64 exec, exec, s[6:7]
	s_and_saveexec_b64 s[6:7], s[0:1]
	s_cbranch_execnz .LBB137_74
.LBB137_44:
	s_or_b64 exec, exec, s[6:7]
	s_and_saveexec_b64 s[6:7], s[2:3]
	s_cbranch_execnz .LBB137_75
.LBB137_45:
	s_or_b64 exec, exec, s[6:7]
	s_and_saveexec_b64 s[6:7], s[4:5]
	s_cbranch_execz .LBB137_47
.LBB137_46:
	v_add_u32_e32 v14, v13, v8
	v_mov_b32_e32 v15, 0
	s_waitcnt lgkmcnt(0)
	v_lshl_add_u64 v[14:15], v[14:15], 1, s[12:13]
	global_store_short v[14:15], v9, off
.LBB137_47:
	s_or_b64 exec, exec, s[6:7]
	v_add3_u32 v13, v4, s11, 40
	v_cmp_gt_u32_e64 s[6:7], s8, v13
	s_and_b64 exec, exec, s[6:7]
	s_cbranch_execz .LBB137_3
; %bb.48:
	v_mul_lo_u32 v13, v13, s10
	s_and_saveexec_b64 s[6:7], vcc
	s_cbranch_execnz .LBB137_76
; %bb.49:
	s_or_b64 exec, exec, s[6:7]
	s_and_saveexec_b64 s[6:7], s[0:1]
	s_cbranch_execnz .LBB137_77
.LBB137_50:
	s_or_b64 exec, exec, s[6:7]
	s_and_saveexec_b64 s[6:7], s[2:3]
	s_cbranch_execnz .LBB137_78
.LBB137_51:
	s_or_b64 exec, exec, s[6:7]
	s_and_saveexec_b64 s[6:7], s[4:5]
	s_cbranch_execz .LBB137_53
.LBB137_52:
	v_add_u32_e32 v10, v13, v8
	v_mov_b32_e32 v11, 0
	s_waitcnt lgkmcnt(0)
	v_lshl_add_u64 v[10:11], v[10:11], 1, s[12:13]
	global_store_short_d16_hi v[10:11], v9, off
.LBB137_53:
	s_or_b64 exec, exec, s[6:7]
	v_add3_u32 v9, v4, s11, 48
	v_cmp_gt_u32_e64 s[6:7], s8, v9
	s_and_b64 exec, exec, s[6:7]
	s_cbranch_execz .LBB137_3
; %bb.54:
	v_mul_lo_u32 v9, v9, s10
	s_and_saveexec_b64 s[6:7], vcc
	s_cbranch_execnz .LBB137_79
; %bb.55:
	s_or_b64 exec, exec, s[6:7]
	s_and_saveexec_b64 s[6:7], s[0:1]
	s_cbranch_execnz .LBB137_80
.LBB137_56:
	s_or_b64 exec, exec, s[6:7]
	s_and_saveexec_b64 s[6:7], s[2:3]
	s_cbranch_execnz .LBB137_81
.LBB137_57:
	s_or_b64 exec, exec, s[6:7]
	s_and_saveexec_b64 s[6:7], s[4:5]
	s_cbranch_execz .LBB137_59
.LBB137_58:
	v_add_u32_e32 v10, v9, v8
	v_mov_b32_e32 v11, 0
	s_waitcnt lgkmcnt(0)
	v_lshl_add_u64 v[10:11], v[10:11], 1, s[12:13]
	global_store_short v[10:11], v0, off
.LBB137_59:
	s_or_b64 exec, exec, s[6:7]
	v_add3_u32 v4, v4, s11, 56
	v_cmp_gt_u32_e64 s[6:7], s8, v4
	s_and_b64 exec, exec, s[6:7]
	s_cbranch_execz .LBB137_3
; %bb.60:
	v_mul_lo_u32 v4, v4, s10
	s_and_saveexec_b64 s[6:7], vcc
	s_cbranch_execnz .LBB137_82
; %bb.61:
	s_or_b64 exec, exec, s[6:7]
	s_and_saveexec_b64 s[6:7], s[0:1]
	s_cbranch_execnz .LBB137_83
.LBB137_62:
	s_or_b64 exec, exec, s[6:7]
	s_and_saveexec_b64 s[0:1], s[2:3]
	s_cbranch_execnz .LBB137_84
.LBB137_63:
	s_or_b64 exec, exec, s[0:1]
	s_and_b64 exec, exec, s[4:5]
	s_cbranch_execz .LBB137_3
	s_branch .LBB137_85
.LBB137_64:
	v_add_u32_e32 v22, v21, v5
	v_mov_b32_e32 v23, 0
	s_waitcnt lgkmcnt(0)
	v_lshl_add_u64 v[22:23], v[22:23], 1, s[12:13]
	global_store_short_d16_hi v[22:23], v20, off
	s_or_b64 exec, exec, s[6:7]
	s_and_saveexec_b64 s[6:7], s[0:1]
	s_cbranch_execz .LBB137_26
.LBB137_65:
	v_add_u32_e32 v22, v21, v6
	v_mov_b32_e32 v23, 0
	s_waitcnt lgkmcnt(0)
	v_lshl_add_u64 v[22:23], v[22:23], 1, s[12:13]
	global_store_short_d16_hi v[22:23], v19, off
	s_or_b64 exec, exec, s[6:7]
	s_and_saveexec_b64 s[6:7], s[2:3]
	s_cbranch_execz .LBB137_27
.LBB137_66:
	v_add_u32_e32 v22, v21, v7
	v_mov_b32_e32 v23, 0
	s_waitcnt lgkmcnt(0)
	v_lshl_add_u64 v[22:23], v[22:23], 1, s[12:13]
	global_store_short_d16_hi v[22:23], v18, off
	s_or_b64 exec, exec, s[6:7]
	s_and_saveexec_b64 s[6:7], s[4:5]
	s_cbranch_execnz .LBB137_28
	s_branch .LBB137_29
.LBB137_67:
	v_add_u32_e32 v18, v17, v5
	v_mov_b32_e32 v19, 0
	s_waitcnt lgkmcnt(0)
	v_lshl_add_u64 v[18:19], v[18:19], 1, s[12:13]
	global_store_short v[18:19], v16, off
	s_or_b64 exec, exec, s[6:7]
	s_and_saveexec_b64 s[6:7], s[0:1]
	s_cbranch_execz .LBB137_32
.LBB137_68:
	v_add_u32_e32 v18, v17, v6
	v_mov_b32_e32 v19, 0
	s_waitcnt lgkmcnt(0)
	v_lshl_add_u64 v[18:19], v[18:19], 1, s[12:13]
	global_store_short v[18:19], v15, off
	s_or_b64 exec, exec, s[6:7]
	s_and_saveexec_b64 s[6:7], s[2:3]
	s_cbranch_execz .LBB137_33
.LBB137_69:
	v_add_u32_e32 v18, v17, v7
	v_mov_b32_e32 v19, 0
	s_waitcnt lgkmcnt(0)
	v_lshl_add_u64 v[18:19], v[18:19], 1, s[12:13]
	global_store_short v[18:19], v14, off
	s_or_b64 exec, exec, s[6:7]
	s_and_saveexec_b64 s[6:7], s[4:5]
	s_cbranch_execnz .LBB137_34
	s_branch .LBB137_35
.LBB137_70:
	v_add_u32_e32 v18, v17, v5
	v_mov_b32_e32 v19, 0
	s_waitcnt lgkmcnt(0)
	v_lshl_add_u64 v[18:19], v[18:19], 1, s[12:13]
	global_store_short_d16_hi v[18:19], v16, off
	s_or_b64 exec, exec, s[6:7]
	s_and_saveexec_b64 s[6:7], s[0:1]
	s_cbranch_execz .LBB137_38
.LBB137_71:
	v_add_u32_e32 v18, v17, v6
	v_mov_b32_e32 v19, 0
	s_waitcnt lgkmcnt(0)
	v_lshl_add_u64 v[18:19], v[18:19], 1, s[12:13]
	global_store_short_d16_hi v[18:19], v15, off
	s_or_b64 exec, exec, s[6:7]
	s_and_saveexec_b64 s[6:7], s[2:3]
	s_cbranch_execz .LBB137_39
.LBB137_72:
	v_add_u32_e32 v18, v17, v7
	v_mov_b32_e32 v19, 0
	s_waitcnt lgkmcnt(0)
	v_lshl_add_u64 v[18:19], v[18:19], 1, s[12:13]
	global_store_short_d16_hi v[18:19], v14, off
	s_or_b64 exec, exec, s[6:7]
	s_and_saveexec_b64 s[6:7], s[4:5]
	s_cbranch_execnz .LBB137_40
	s_branch .LBB137_41
.LBB137_73:
	v_add_u32_e32 v14, v13, v5
	v_mov_b32_e32 v15, 0
	s_waitcnt lgkmcnt(0)
	v_lshl_add_u64 v[14:15], v[14:15], 1, s[12:13]
	global_store_short v[14:15], v12, off
	s_or_b64 exec, exec, s[6:7]
	s_and_saveexec_b64 s[6:7], s[0:1]
	s_cbranch_execz .LBB137_44
.LBB137_74:
	v_add_u32_e32 v14, v13, v6
	v_mov_b32_e32 v15, 0
	s_waitcnt lgkmcnt(0)
	v_lshl_add_u64 v[14:15], v[14:15], 1, s[12:13]
	global_store_short v[14:15], v11, off
	s_or_b64 exec, exec, s[6:7]
	s_and_saveexec_b64 s[6:7], s[2:3]
	s_cbranch_execz .LBB137_45
.LBB137_75:
	v_add_u32_e32 v14, v13, v7
	v_mov_b32_e32 v15, 0
	s_waitcnt lgkmcnt(0)
	v_lshl_add_u64 v[14:15], v[14:15], 1, s[12:13]
	global_store_short v[14:15], v10, off
	s_or_b64 exec, exec, s[6:7]
	s_and_saveexec_b64 s[6:7], s[4:5]
	s_cbranch_execnz .LBB137_46
	s_branch .LBB137_47
.LBB137_76:
	v_add_u32_e32 v14, v13, v5
	v_mov_b32_e32 v15, 0
	s_waitcnt lgkmcnt(0)
	v_lshl_add_u64 v[14:15], v[14:15], 1, s[12:13]
	global_store_short_d16_hi v[14:15], v12, off
	s_or_b64 exec, exec, s[6:7]
	s_and_saveexec_b64 s[6:7], s[0:1]
	s_cbranch_execz .LBB137_50
.LBB137_77:
	v_add_u32_e32 v14, v13, v6
	v_mov_b32_e32 v15, 0
	s_waitcnt lgkmcnt(0)
	v_lshl_add_u64 v[14:15], v[14:15], 1, s[12:13]
	global_store_short_d16_hi v[14:15], v11, off
	s_or_b64 exec, exec, s[6:7]
	s_and_saveexec_b64 s[6:7], s[2:3]
	s_cbranch_execz .LBB137_51
.LBB137_78:
	v_add_u32_e32 v14, v13, v7
	v_mov_b32_e32 v15, 0
	s_waitcnt lgkmcnt(0)
	v_lshl_add_u64 v[14:15], v[14:15], 1, s[12:13]
	global_store_short_d16_hi v[14:15], v10, off
	s_or_b64 exec, exec, s[6:7]
	s_and_saveexec_b64 s[6:7], s[4:5]
	s_cbranch_execnz .LBB137_52
	s_branch .LBB137_53
.LBB137_79:
	v_add_u32_e32 v10, v9, v5
	v_mov_b32_e32 v11, 0
	s_waitcnt lgkmcnt(0)
	v_lshl_add_u64 v[10:11], v[10:11], 1, s[12:13]
	global_store_short v[10:11], v3, off
	s_or_b64 exec, exec, s[6:7]
	s_and_saveexec_b64 s[6:7], s[0:1]
	s_cbranch_execz .LBB137_56
.LBB137_80:
	v_add_u32_e32 v10, v9, v6
	v_mov_b32_e32 v11, 0
	s_waitcnt lgkmcnt(0)
	v_lshl_add_u64 v[10:11], v[10:11], 1, s[12:13]
	global_store_short v[10:11], v2, off
	s_or_b64 exec, exec, s[6:7]
	s_and_saveexec_b64 s[6:7], s[2:3]
	s_cbranch_execz .LBB137_57
.LBB137_81:
	v_add_u32_e32 v10, v9, v7
	v_mov_b32_e32 v11, 0
	s_waitcnt lgkmcnt(0)
	v_lshl_add_u64 v[10:11], v[10:11], 1, s[12:13]
	global_store_short v[10:11], v1, off
	s_or_b64 exec, exec, s[6:7]
	s_and_saveexec_b64 s[6:7], s[4:5]
	s_cbranch_execnz .LBB137_58
	s_branch .LBB137_59
.LBB137_82:
	v_add_u32_e32 v10, v4, v5
	v_mov_b32_e32 v11, 0
	s_waitcnt lgkmcnt(0)
	v_lshl_add_u64 v[10:11], v[10:11], 1, s[12:13]
	global_store_short_d16_hi v[10:11], v3, off
	s_or_b64 exec, exec, s[6:7]
	s_and_saveexec_b64 s[6:7], s[0:1]
	s_cbranch_execz .LBB137_62
.LBB137_83:
	v_add_u32_e32 v10, v4, v6
	v_mov_b32_e32 v11, 0
	s_waitcnt lgkmcnt(0)
	v_lshl_add_u64 v[10:11], v[10:11], 1, s[12:13]
	global_store_short_d16_hi v[10:11], v2, off
	s_or_b64 exec, exec, s[6:7]
	s_and_saveexec_b64 s[0:1], s[2:3]
	s_cbranch_execz .LBB137_63
.LBB137_84:
	v_add_u32_e32 v2, v4, v7
	v_mov_b32_e32 v3, 0
	s_waitcnt lgkmcnt(0)
	v_lshl_add_u64 v[2:3], v[2:3], 1, s[12:13]
	global_store_short_d16_hi v[2:3], v1, off
	s_or_b64 exec, exec, s[0:1]
	s_and_b64 exec, exec, s[4:5]
	s_cbranch_execz .LBB137_3
.LBB137_85:
	v_add_u32_e32 v2, v4, v8
	v_mov_b32_e32 v3, 0
	s_waitcnt lgkmcnt(0)
	v_lshl_add_u64 v[2:3], v[2:3], 1, s[12:13]
	global_store_short_d16_hi v[2:3], v0, off
	s_endpgm
	.section	.rodata,"a",@progbits
	.p2align	6, 0x0
	.amdhsa_kernel _ZL12mul_mat_q4_0IN3c104HalfELb0EEvPKvS3_PT_iiiii
		.amdhsa_group_segment_fixed_size 30336
		.amdhsa_private_segment_fixed_size 0
		.amdhsa_kernarg_size 44
		.amdhsa_user_sgpr_count 2
		.amdhsa_user_sgpr_dispatch_ptr 0
		.amdhsa_user_sgpr_queue_ptr 0
		.amdhsa_user_sgpr_kernarg_segment_ptr 1
		.amdhsa_user_sgpr_dispatch_id 0
		.amdhsa_user_sgpr_kernarg_preload_length 0
		.amdhsa_user_sgpr_kernarg_preload_offset 0
		.amdhsa_user_sgpr_private_segment_size 0
		.amdhsa_uses_dynamic_stack 0
		.amdhsa_enable_private_segment 0
		.amdhsa_system_sgpr_workgroup_id_x 1
		.amdhsa_system_sgpr_workgroup_id_y 1
		.amdhsa_system_sgpr_workgroup_id_z 0
		.amdhsa_system_sgpr_workgroup_info 0
		.amdhsa_system_vgpr_workitem_id 1
		.amdhsa_next_free_vgpr 243
		.amdhsa_next_free_sgpr 96
		.amdhsa_accum_offset 244
		.amdhsa_reserve_vcc 1
		.amdhsa_float_round_mode_32 0
		.amdhsa_float_round_mode_16_64 0
		.amdhsa_float_denorm_mode_32 3
		.amdhsa_float_denorm_mode_16_64 3
		.amdhsa_dx10_clamp 1
		.amdhsa_ieee_mode 1
		.amdhsa_fp16_overflow 0
		.amdhsa_tg_split 0
		.amdhsa_exception_fp_ieee_invalid_op 0
		.amdhsa_exception_fp_denorm_src 0
		.amdhsa_exception_fp_ieee_div_zero 0
		.amdhsa_exception_fp_ieee_overflow 0
		.amdhsa_exception_fp_ieee_underflow 0
		.amdhsa_exception_fp_ieee_inexact 0
		.amdhsa_exception_int_div_zero 0
	.end_amdhsa_kernel
	.section	.text._ZL12mul_mat_q4_0IN3c104HalfELb0EEvPKvS3_PT_iiiii,"axG",@progbits,_ZL12mul_mat_q4_0IN3c104HalfELb0EEvPKvS3_PT_iiiii,comdat
.Lfunc_end137:
	.size	_ZL12mul_mat_q4_0IN3c104HalfELb0EEvPKvS3_PT_iiiii, .Lfunc_end137-_ZL12mul_mat_q4_0IN3c104HalfELb0EEvPKvS3_PT_iiiii
                                        ; -- End function
	.set _ZL12mul_mat_q4_0IN3c104HalfELb0EEvPKvS3_PT_iiiii.num_vgpr, 243
	.set _ZL12mul_mat_q4_0IN3c104HalfELb0EEvPKvS3_PT_iiiii.num_agpr, 0
	.set _ZL12mul_mat_q4_0IN3c104HalfELb0EEvPKvS3_PT_iiiii.numbered_sgpr, 18
	.set _ZL12mul_mat_q4_0IN3c104HalfELb0EEvPKvS3_PT_iiiii.num_named_barrier, 0
	.set _ZL12mul_mat_q4_0IN3c104HalfELb0EEvPKvS3_PT_iiiii.private_seg_size, 0
	.set _ZL12mul_mat_q4_0IN3c104HalfELb0EEvPKvS3_PT_iiiii.uses_vcc, 1
	.set _ZL12mul_mat_q4_0IN3c104HalfELb0EEvPKvS3_PT_iiiii.uses_flat_scratch, 0
	.set _ZL12mul_mat_q4_0IN3c104HalfELb0EEvPKvS3_PT_iiiii.has_dyn_sized_stack, 0
	.set _ZL12mul_mat_q4_0IN3c104HalfELb0EEvPKvS3_PT_iiiii.has_recursion, 0
	.set _ZL12mul_mat_q4_0IN3c104HalfELb0EEvPKvS3_PT_iiiii.has_indirect_call, 0
	.section	.AMDGPU.csdata,"",@progbits
; Kernel info:
; codeLenInByte = 9572
; TotalNumSgprs: 24
; NumVgprs: 243
; NumAgprs: 0
; TotalNumVgprs: 243
; ScratchSize: 0
; MemoryBound: 0
; FloatMode: 240
; IeeeMode: 1
; LDSByteSize: 30336 bytes/workgroup (compile time only)
; SGPRBlocks: 12
; VGPRBlocks: 30
; NumSGPRsForWavesPerEU: 102
; NumVGPRsForWavesPerEU: 243
; AccumOffset: 244
; Occupancy: 2
; WaveLimiterHint : 0
; COMPUTE_PGM_RSRC2:SCRATCH_EN: 0
; COMPUTE_PGM_RSRC2:USER_SGPR: 2
; COMPUTE_PGM_RSRC2:TRAP_HANDLER: 0
; COMPUTE_PGM_RSRC2:TGID_X_EN: 1
; COMPUTE_PGM_RSRC2:TGID_Y_EN: 1
; COMPUTE_PGM_RSRC2:TGID_Z_EN: 0
; COMPUTE_PGM_RSRC2:TIDIG_COMP_CNT: 1
; COMPUTE_PGM_RSRC3_GFX90A:ACCUM_OFFSET: 60
; COMPUTE_PGM_RSRC3_GFX90A:TG_SPLIT: 0
	.section	.text._ZL12mul_mat_q4_0IN3c104HalfELb1EEvPKvS3_PT_iiiii,"axG",@progbits,_ZL12mul_mat_q4_0IN3c104HalfELb1EEvPKvS3_PT_iiiii,comdat
	.globl	_ZL12mul_mat_q4_0IN3c104HalfELb1EEvPKvS3_PT_iiiii ; -- Begin function _ZL12mul_mat_q4_0IN3c104HalfELb1EEvPKvS3_PT_iiiii
	.p2align	8
	.type	_ZL12mul_mat_q4_0IN3c104HalfELb1EEvPKvS3_PT_iiiii,@function
_ZL12mul_mat_q4_0IN3c104HalfELb1EEvPKvS3_PT_iiiii: ; @_ZL12mul_mat_q4_0IN3c104HalfELb1EEvPKvS3_PT_iiiii
; %bb.0:
	s_load_dwordx4 s[8:11], s[0:1], 0x18
	s_load_dword s14, s[0:1], 0x28
	s_lshl_b32 s15, s3, 6
	v_bfe_u32 v87, v0, 10, 10
	s_waitcnt lgkmcnt(0)
	s_cmp_gt_i32 s8, 31
	s_cbranch_scc1 .LBB138_4
; %bb.1:
	v_bfe_u32 v4, v0, 10, 10
	v_and_b32_e32 v53, 0x3ff, v0
	v_add_u32_e32 v57, s15, v4
	s_load_dwordx2 s[12:13], s[0:1], 0x10
	s_lshl_b32 s6, s2, 7
	s_cbranch_execz .LBB138_5
; %bb.2:
	v_mov_b32_e32 v0, 0
	v_mov_b32_e32 v9, 0
	;; [unrolled: 1-line block ×16, first 2 shown]
	v_cmp_gt_u32_e32 vcc, s10, v57
	s_and_saveexec_b64 s[0:1], vcc
	s_cbranch_execnz .LBB138_15
.LBB138_3:
	s_endpgm
.LBB138_4:
                                        ; implicit-def: $vgpr4
                                        ; implicit-def: $vgpr53
                                        ; implicit-def: $vgpr57
	s_load_dwordx2 s[12:13], s[0:1], 0x10
	s_lshl_b32 s6, s2, 7
.LBB138_5:
	s_ashr_i32 s4, s8, 31
	s_lshr_b32 s4, s4, 27
	s_add_i32 s4, s8, s4
	s_load_dwordx4 s[0:3], s[0:1], 0x0
	s_ashr_i32 s7, s4, 5
	s_ashr_i32 s4, s11, 31
	s_lshr_b32 s4, s4, 27
	s_add_i32 s4, s11, s4
	s_ashr_i32 s5, s4, 5
	s_mul_i32 s4, s7, s6
	s_mul_hi_i32 s11, s4, 18
	s_mul_i32 s4, s4, 18
	s_waitcnt lgkmcnt(0)
	s_add_u32 s8, s0, s4
	s_addc_u32 s1, s1, s11
	s_not_b32 s0, s6
	s_add_i32 s0, s9, s0
	v_add_u32_e32 v1, 64, v87
	v_min_i32_e32 v22, s0, v1
	v_add_u32_e32 v1, 0x48, v87
	v_min_i32_e32 v23, s0, v1
	;; [unrolled: 2-line block ×3, first 2 shown]
	v_add_u32_e32 v1, 0x58, v87
	v_and_b32_e32 v53, 0x3ff, v0
	v_add_u32_e32 v8, 8, v87
	v_min_i32_e32 v25, s0, v1
	v_add_u32_e32 v1, 0x60, v87
	v_lshlrev_b32_e32 v2, 2, v53
	v_min_i32_e32 v3, s0, v87
	s_movk_i32 s4, 0x84
	v_min_i32_e32 v9, s0, v8
	v_min_i32_e32 v26, s0, v1
	v_add_u32_e32 v1, 0x68, v87
	v_mad_u64_u32 v[58:59], s[16:17], v9, s4, v[2:3]
	v_min_i32_e32 v27, s0, v1
	v_add_u32_e32 v1, 0x70, v87
	v_min_i32_e32 v28, s0, v1
	v_add_u32_e32 v1, 0x78, v87
	v_bfe_u32 v59, v0, 3, 7
	v_min_i32_e32 v29, s0, v1
	v_lshl_add_u32 v1, v87, 2, v59
	v_min_i32_e32 v30, s0, v1
	v_ashrrev_i32_e32 v4, 31, v30
	v_lshrrev_b32_e32 v4, 30, v4
	v_and_b32_e32 v86, 7, v0
	v_add_u32_e32 v4, v30, v4
	v_and_b32_e32 v4, -4, v4
	v_lshlrev_b32_e32 v5, 2, v86
	s_movk_i32 s9, 0x6200
	v_add3_u32 v31, v4, v5, s9
	v_add_u32_e32 v4, 32, v1
	v_min_i32_e32 v33, s0, v4
	v_ashrrev_i32_e32 v4, 31, v33
	v_lshrrev_b32_e32 v4, 30, v4
	v_add_u32_e32 v4, v33, v4
	v_and_b32_e32 v4, -4, v4
	v_bfe_u32 v52, v0, 2, 8
	v_add3_u32 v34, v4, v5, s9
	v_add_u32_e32 v4, 64, v1
	v_add_u32_e32 v1, 0x60, v1
	v_and_b32_e32 v6, 31, v0
	v_mov_b32_e32 v7, 0x4200
	v_min_i32_e32 v35, s0, v4
	v_min_i32_e32 v37, s0, v1
	v_lshl_or_b32 v38, v6, 2, v7
	v_lshl_add_u32 v6, v87, 3, v52
	v_add_u32_e32 v10, 16, v87
	v_add_u32_e32 v12, 24, v87
	;; [unrolled: 1-line block ×6, first 2 shown]
	v_ashrrev_i32_e32 v4, 31, v35
	v_ashrrev_i32_e32 v1, 31, v37
	v_and_b32_e32 v7, 63, v6
	v_min_i32_e32 v11, s0, v10
	v_min_i32_e32 v13, s0, v12
	;; [unrolled: 1-line block ×6, first 2 shown]
	v_lshrrev_b32_e32 v4, 30, v4
	v_lshrrev_b32_e32 v1, 30, v1
	s_add_i32 s0, s10, -1
	v_or_b32_e32 v39, s15, v7
	v_mad_u64_u32 v[56:57], s[16:17], v3, s4, v[2:3]
	v_add_u32_e32 v4, v35, v4
	v_add_u32_e32 v1, v37, v1
	v_and_b32_e32 v6, 3, v0
	v_min_i32_e32 v39, s0, v39
	v_and_b32_e32 v4, -4, v4
	v_and_b32_e32 v1, -4, v1
	v_add_u32_e32 v57, s15, v87
	v_mad_u64_u32 v[88:89], s[16:17], v39, s5, v[6:7]
	v_lshlrev_b32_e32 v6, 2, v6
	v_add3_u32 v36, v4, v5, s9
	v_add3_u32 v1, v1, v5, s9
	v_cvt_f64_i32_e32 v[4:5], s0
	v_lshl_or_b32 v39, v7, 4, v6
	v_cvt_f64_u32_e32 v[6:7], v57
	v_min_f64 v[6:7], v[6:7], v[4:5]
	v_cvt_i32_f64_e32 v40, v[6:7]
	v_add_u32_e32 v6, 8, v57
	v_cvt_f64_u32_e32 v[6:7], v6
	v_min_f64 v[6:7], v[6:7], v[4:5]
	v_cvt_i32_f64_e32 v41, v[6:7]
	v_add_u32_e32 v6, 16, v57
	v_cvt_f64_u32_e32 v[6:7], v6
	v_min_f64 v[6:7], v[6:7], v[4:5]
	v_cvt_i32_f64_e32 v42, v[6:7]
	v_add_u32_e32 v6, 24, v57
	v_cvt_f64_u32_e32 v[6:7], v6
	v_min_f64 v[6:7], v[6:7], v[4:5]
	v_cvt_i32_f64_e32 v43, v[6:7]
	v_add_u32_e32 v6, 32, v57
	v_cvt_f64_u32_e32 v[6:7], v6
	v_min_f64 v[6:7], v[6:7], v[4:5]
	v_cvt_i32_f64_e32 v44, v[6:7]
	v_add_u32_e32 v6, 40, v57
	v_cvt_f64_u32_e32 v[6:7], v6
	v_min_f64 v[6:7], v[6:7], v[4:5]
	v_cvt_i32_f64_e32 v45, v[6:7]
	v_add_u32_e32 v6, 48, v57
	v_cvt_f64_u32_e32 v[6:7], v6
	v_min_f64 v[6:7], v[6:7], v[4:5]
	v_cvt_i32_f64_e32 v46, v[6:7]
	v_add_u32_e32 v6, 56, v57
	v_cvt_f64_u32_e32 v[6:7], v6
	v_min_f64 v[4:5], v[6:7], v[4:5]
	v_cvt_i32_f64_e32 v4, v[4:5]
	v_add_u32_e32 v5, 32, v53
	v_add_u32_e32 v6, 64, v53
	v_add_u32_e32 v7, 0x60, v53
	v_lshlrev_b32_e32 v47, 5, v53
	v_and_b32_e32 v7, 0x1fc, v7
	v_and_b32_e32 v6, 0x1fc, v6
	;; [unrolled: 1-line block ×4, first 2 shown]
	v_mad_u64_u32 v[62:63], s[16:17], v13, s4, v[2:3]
	v_add_u32_e32 v7, v47, v7
	v_add_u32_e32 v6, v47, v6
	;; [unrolled: 1-line block ×4, first 2 shown]
	v_lshlrev_b32_e32 v0, 5, v33
	v_mov_b32_e32 v55, 0
	v_mad_u64_u32 v[66:67], s[16:17], v17, s4, v[2:3]
	v_add_u32_e32 v63, v34, v0
	v_lshlrev_b32_e32 v0, 5, v37
	v_add_u32_e32 v67, v1, v0
	v_and_b32_e32 v0, 28, v2
	v_mov_b32_e32 v1, v55
	v_mad_u64_u32 v[60:61], s[16:17], v11, s4, v[2:3]
	v_mad_u64_u32 v[84:85], s[16:17], v28, s4, v[2:3]
	v_lshlrev_b32_e32 v32, 5, v30
	v_mad_u64_u32 v[90:91], s[16:17], v29, s4, v[2:3]
	v_lshl_add_u64 v[92:93], s[2:3], 0, v[0:1]
	v_mov_b32_e32 v0, 0x7280
	v_and_b32_e32 v54, 12, v2
	v_mad_u64_u32 v[64:65], s[16:17], v15, s4, v[2:3]
	v_mad_u64_u32 v[68:69], s[16:17], v19, s4, v[2:3]
	;; [unrolled: 1-line block ×9, first 2 shown]
	v_add_u32_e32 v61, v31, v32
	v_lshlrev_b32_e32 v31, 5, v35
	v_lshlrev_b32_e32 v2, 7, v8
	;; [unrolled: 1-line block ×7, first 2 shown]
	v_mul_lo_u32 v85, s5, v4
	v_lshlrev_b32_e32 v4, 7, v20
	v_lshl_add_u32 v91, v87, 4, v0
	v_lshlrev_b32_e32 v0, 7, v87
	v_mov_b32_e32 v94, v55
	v_mov_b32_e32 v95, v55
	v_add_u32_e32 v65, v36, v31
	v_add_u32_e32 v69, 0x7280, v39
	s_add_i32 s9, s7, 3
	v_mul_lo_u32 v71, s5, v40
	v_mul_lo_u32 v73, s5, v41
	;; [unrolled: 1-line block ×7, first 2 shown]
	v_lshrrev_b32_e32 v89, 3, v5
	v_add_u32_e32 v97, v38, v2
	v_add_u32_e32 v99, v38, v8
	;; [unrolled: 1-line block ×17, first 2 shown]
	s_mov_b32 s11, 0
	s_mov_b32 s0, 0x41000000
	v_mul_lo_u32 v96, v3, s7
	v_mul_lo_u32 v98, v9, s7
	;; [unrolled: 1-line block ×20, first 2 shown]
	v_mul_u32_u24_e32 v133, 0x84, v53
	v_mad_u32_u24 v135, v53, s4, 64
	v_mov_b64_e32 v[142:143], v[94:95]
	v_mov_b64_e32 v[136:137], v[94:95]
	v_mov_b64_e32 v[128:129], v[94:95]
	v_mov_b64_e32 v[154:155], v[94:95]
	v_mov_b64_e32 v[148:149], v[94:95]
	v_mov_b64_e32 v[144:145], v[94:95]
	v_mov_b64_e32 v[138:139], v[94:95]
	v_mov_b64_e32 v[160:161], v[94:95]
	v_mov_b64_e32 v[156:157], v[94:95]
	v_mov_b64_e32 v[150:151], v[94:95]
	v_mov_b64_e32 v[146:147], v[94:95]
	v_mov_b64_e32 v[164:165], v[94:95]
	v_mov_b64_e32 v[162:163], v[94:95]
	v_mov_b64_e32 v[158:159], v[94:95]
	v_mov_b64_e32 v[152:153], v[94:95]
	s_branch .LBB138_7
.LBB138_6:                              ;   in Loop: Header=BB138_7 Depth=1
	s_add_i32 s11, s11, 8
	s_add_i32 s9, s9, -8
	s_cmp_ge_i32 s11, s7
	s_cbranch_scc1 .LBB138_14
.LBB138_7:                              ; =>This Loop Header: Depth=1
                                        ;     Child Loop BB138_9 Depth 2
                                        ;     Child Loop BB138_12 Depth 2
	s_mul_i32 s4, s11, 18
	s_mul_hi_u32 s5, s11, 18
	s_add_u32 s4, s8, s4
	s_addc_u32 s5, s1, s5
	v_mad_u64_u32 v[0:1], s[16:17], v52, 18, s[4:5]
	v_mad_i64_i32 v[2:3], s[16:17], v96, 18, v[0:1]
	v_lshl_add_u64 v[2:3], v[2:3], 0, v[54:55]
	global_load_dword v2, v[2:3], off offset:2
	s_cmp_gt_u32 s9, 3
	s_waitcnt vmcnt(0)
	ds_write_b32 v56, v2
	v_mad_i64_i32 v[2:3], s[16:17], v98, 18, v[0:1]
	v_lshl_add_u64 v[2:3], v[2:3], 0, v[54:55]
	global_load_dword v2, v[2:3], off offset:2
	s_waitcnt vmcnt(0)
	ds_write_b32 v58, v2
	v_mad_i64_i32 v[2:3], s[16:17], v100, 18, v[0:1]
	v_lshl_add_u64 v[2:3], v[2:3], 0, v[54:55]
	global_load_dword v2, v[2:3], off offset:2
	;; [unrolled: 5-line block ×13, first 2 shown]
	s_waitcnt vmcnt(0)
	ds_write_b32 v82, v2
	v_mad_i64_i32 v[2:3], s[16:17], v124, 18, v[0:1]
	v_mad_i64_i32 v[0:1], s[16:17], v126, 18, v[0:1]
	v_lshl_add_u64 v[2:3], v[2:3], 0, v[54:55]
	v_lshl_add_u64 v[0:1], v[0:1], 0, v[54:55]
	global_load_dword v2, v[2:3], off offset:2
	s_nop 0
	global_load_dword v0, v[0:1], off offset:2
	s_waitcnt vmcnt(1)
	ds_write_b32 v84, v2
	s_waitcnt vmcnt(0)
	ds_write_b32 v90, v0
	v_mad_u64_u32 v[0:1], s[4:5], v86, 18, s[4:5]
	v_mad_i64_i32 v[2:3], s[4:5], v130, 18, v[0:1]
	global_load_ushort v2, v[2:3], off
	s_waitcnt vmcnt(0)
	v_cvt_f32_f16_e32 v2, v2
	ds_write_b32 v61, v2
	v_mad_i64_i32 v[2:3], s[4:5], v132, 18, v[0:1]
	global_load_ushort v2, v[2:3], off
	s_waitcnt vmcnt(0)
	v_cvt_f32_f16_e32 v2, v2
	ds_write_b32 v63, v2
	v_mad_i64_i32 v[2:3], s[4:5], v134, 18, v[0:1]
	v_mad_i64_i32 v[0:1], s[4:5], v140, 18, v[0:1]
	global_load_ushort v2, v[2:3], off
	s_nop 0
	global_load_ushort v0, v[0:1], off
	s_waitcnt vmcnt(1)
	v_cvt_f32_f16_e32 v2, v2
	s_waitcnt vmcnt(0)
	v_cvt_f32_f16_e32 v0, v0
	ds_write_b32 v65, v2
	ds_write_b32 v67, v0
	s_cbranch_scc0 .LBB138_6
; %bb.8:                                ;   in Loop: Header=BB138_7 Depth=1
	v_add_u32_e32 v2, s11, v59
	v_add_u32_e32 v0, v2, v71
	v_mad_i64_i32 v[0:1], s[4:5], v0, 36, v[92:93]
	global_load_dword v0, v[0:1], off offset:4
	v_add_u32_e32 v141, s11, v88
	v_mov_b32_e32 v182, v113
	v_mov_b32_e32 v183, v91
	;; [unrolled: 1-line block ×7, first 2 shown]
	s_waitcnt vmcnt(0)
	ds_write_b32 v111, v0
	v_add_u32_e32 v0, v2, v73
	v_mad_i64_i32 v[0:1], s[4:5], v0, 36, v[92:93]
	global_load_dword v0, v[0:1], off offset:4
	s_waitcnt vmcnt(0)
	ds_write_b32 v97, v0
	v_add_u32_e32 v0, v2, v75
	v_mad_i64_i32 v[0:1], s[4:5], v0, 36, v[92:93]
	global_load_dword v0, v[0:1], off offset:4
	s_waitcnt vmcnt(0)
	ds_write_b32 v99, v0
	v_add_u32_e32 v0, v2, v77
	v_mad_i64_i32 v[0:1], s[4:5], v0, 36, v[92:93]
	global_load_dword v0, v[0:1], off offset:4
	s_waitcnt vmcnt(0)
	ds_write_b32 v101, v0
	v_add_u32_e32 v0, v2, v79
	v_mad_i64_i32 v[0:1], s[4:5], v0, 36, v[92:93]
	global_load_dword v0, v[0:1], off offset:4
	s_waitcnt vmcnt(0)
	ds_write_b32 v103, v0
	v_add_u32_e32 v0, v2, v81
	v_mad_i64_i32 v[0:1], s[4:5], v0, 36, v[92:93]
	global_load_dword v0, v[0:1], off offset:4
	s_waitcnt vmcnt(0)
	ds_write_b32 v105, v0
	v_add_u32_e32 v0, v2, v83
	v_mad_i64_i32 v[0:1], s[4:5], v0, 36, v[92:93]
	global_load_dword v0, v[0:1], off offset:4
	s_waitcnt vmcnt(0)
	ds_write_b32 v107, v0
	v_add_u32_e32 v0, v2, v85
	v_mad_i64_i32 v[0:1], s[4:5], v0, 36, v[92:93]
	global_load_dword v0, v[0:1], off offset:4
	s_waitcnt vmcnt(0)
	ds_write_b32 v109, v0
	v_mad_u64_u32 v[0:1], s[4:5], v141, 36, s[2:3]
	global_load_dword v0, v[0:1], off
	s_mov_b32 s4, -4
	s_waitcnt vmcnt(0)
	ds_write_b32 v69, v0
	s_waitcnt lgkmcnt(0)
	s_barrier
.LBB138_9:                              ;   Parent Loop BB138_7 Depth=1
                                        ; =>  This Inner Loop Header: Depth=2
	ds_read_b128 v[32:35], v182
	ds_read_b128 v[0:3], v182 offset:16
	ds_read2_b32 v[166:167], v188 offset0:2 offset1:3
	ds_read2_b32 v[168:169], v188 offset1:1
	v_add_u32_e32 v170, 0x1080, v188
	v_add_u32_e32 v171, 0x1088, v188
	;; [unrolled: 1-line block ×6, first 2 shown]
	ds_read_b128 v[36:39], v182 offset:1024
	ds_read_b128 v[4:7], v182 offset:1040
	;; [unrolled: 1-line block ×11, first 2 shown]
	ds_read2_b32 v[176:177], v183 offset1:32
	ds_read2_b32 v[178:179], v183 offset0:64 offset1:96
	ds_read2_b32 v[180:181], v183 offset0:128 offset1:160
	;; [unrolled: 1-line block ×3, first 2 shown]
	ds_read2_b32 v[210:211], v170 offset1:1
	ds_read2_b32 v[212:213], v171 offset1:1
	;; [unrolled: 1-line block ×6, first 2 shown]
	v_mov_b32_e32 v189, 0
	v_mov_b32_e32 v190, 0
	;; [unrolled: 1-line block ×17, first 2 shown]
	s_waitcnt lgkmcnt(14)
	v_and_b32_e32 v215, 0xf0f0f0f, v168
	v_lshrrev_b32_e32 v222, 4, v168
	v_lshrrev_b32_e32 v227, 4, v169
	s_waitcnt lgkmcnt(5)
	v_and_b32_e32 v230, 0xf0f0f0f, v210
	v_lshrrev_b32_e32 v231, 4, v210
	s_waitcnt lgkmcnt(3)
	v_and_b32_e32 v234, 0xf0f0f0f, v216
	v_lshrrev_b32_e32 v235, 4, v216
	v_lshrrev_b32_e32 v237, 4, v217
	s_waitcnt lgkmcnt(1)
	v_and_b32_e32 v239, 0xf0f0f0f, v220
	v_lshrrev_b32_e32 v220, 4, v220
	v_and_b32_e32 v228, 0xf0f0f0f, v166
	v_lshrrev_b32_e32 v229, 4, v166
	v_cvt_f32_f16_e32 v172, v176
	v_cvt_f32_f16_sdwa v174, v176 dst_sel:DWORD dst_unused:UNUSED_PAD src0_sel:WORD_1
	v_cvt_f32_f16_e32 v170, v178
	v_cvt_f32_f16_sdwa v176, v178 dst_sel:DWORD dst_unused:UNUSED_PAD src0_sel:WORD_1
	;; [unrolled: 2-line block ×4, first 2 shown]
	v_dot4c_i32_i8_e32 v189, v215, v32
	v_and_b32_e32 v207, 0xf0f0f0f, v213
	v_and_b32_e32 v208, 0xf0f0f0f, v219
	v_dot4c_i32_i8_e32 v193, v215, v36
	v_dot4c_i32_i8_e32 v198, v215, v44
	v_dot4c_i32_i8_e32 v201, v215, v16
	v_dot4c_i32_i8_e32 v203, v215, v24
	v_dot4c_i32_i8_e32 v204, v215, v28
	v_dot4c_i32_i8_e32 v205, v215, v40
	v_dot4c_i32_i8_e32 v206, v215, v48
	s_waitcnt lgkmcnt(0)
	v_and_b32_e32 v241, 0xf0f0f0f, v224
	v_lshrrev_b32_e32 v215, 4, v213
	v_lshrrev_b32_e32 v213, 4, v224
	;; [unrolled: 1-line block ×3, first 2 shown]
	v_and_b32_e32 v219, 0xf0f0f0f, v222
	v_and_b32_e32 v224, 0xf0f0f0f, v227
	;; [unrolled: 1-line block ×3, first 2 shown]
	v_dot4c_i32_i8_e32 v190, v230, v32
	v_and_b32_e32 v231, 0xf0f0f0f, v235
	v_dot4c_i32_i8_e32 v191, v234, v32
	v_and_b32_e32 v235, 0xf0f0f0f, v237
	v_and_b32_e32 v237, 0xf0f0f0f, v220
	v_dot4c_i32_i8_e32 v192, v239, v32
	v_dot4c_i32_i8_e32 v194, v230, v36
	;; [unrolled: 1-line block ×7, first 2 shown]
	v_and_b32_e32 v226, 0xf0f0f0f, v169
	v_and_b32_e32 v232, 0xf0f0f0f, v211
	v_lshrrev_b32_e32 v211, 4, v211
	v_and_b32_e32 v236, 0xf0f0f0f, v217
	v_and_b32_e32 v240, 0xf0f0f0f, v221
	v_lshrrev_b32_e32 v221, 4, v221
	v_dot4c_i32_i8_e32 v189, v219, v0
	v_dot4c_i32_i8_e32 v190, v227, v0
	;; [unrolled: 1-line block ×12, first 2 shown]
	v_and_b32_e32 v223, 0xf0f0f0f, v167
	v_lshrrev_b32_e32 v214, 4, v167
	v_cvt_f32_f16_e32 v173, v177
	v_cvt_f32_f16_sdwa v175, v177 dst_sel:DWORD dst_unused:UNUSED_PAD src0_sel:WORD_1
	v_cvt_f32_f16_e32 v171, v179
	v_cvt_f32_f16_sdwa v177, v179 dst_sel:DWORD dst_unused:UNUSED_PAD src0_sel:WORD_1
	;; [unrolled: 2-line block ×4, first 2 shown]
	v_and_b32_e32 v209, 0xf0f0f0f, v225
	v_lshrrev_b32_e32 v217, 4, v225
	v_and_b32_e32 v225, 0xf0f0f0f, v229
	v_and_b32_e32 v229, 0xf0f0f0f, v211
	;; [unrolled: 1-line block ×3, first 2 shown]
	v_dot4c_i32_i8_e32 v189, v226, v33
	v_dot4c_i32_i8_e32 v190, v232, v33
	;; [unrolled: 1-line block ×12, first 2 shown]
	v_and_b32_e32 v233, 0xf0f0f0f, v212
	v_lshrrev_b32_e32 v212, 4, v212
	v_and_b32_e32 v238, 0xf0f0f0f, v218
	v_lshrrev_b32_e32 v218, 4, v218
	v_dot4c_i32_i8_e32 v189, v224, v1
	v_dot4c_i32_i8_e32 v190, v229, v1
	;; [unrolled: 1-line block ×12, first 2 shown]
	v_and_b32_e32 v211, 0xf0f0f0f, v212
	v_and_b32_e32 v212, 0xf0f0f0f, v218
	;; [unrolled: 1-line block ×3, first 2 shown]
	v_dot4c_i32_i8_e32 v189, v228, v34
	v_dot4c_i32_i8_e32 v190, v233, v34
	;; [unrolled: 1-line block ×28, first 2 shown]
	ds_read_b128 v[32:35], v182 offset:5136
	v_dot4c_i32_i8_e32 v193, v223, v39
	v_dot4c_i32_i8_e32 v194, v207, v39
	;; [unrolled: 1-line block ×4, first 2 shown]
	ds_read_b128 v[36:39], v182 offset:6160
	v_dot4c_i32_i8_e32 v198, v223, v47
	v_dot4c_i32_i8_e32 v197, v207, v47
	;; [unrolled: 1-line block ×4, first 2 shown]
	ds_read_b128 v[44:47], v182 offset:7184
	ds_read_b32 v2, v184
	ds_read_b32 v4, v185
	;; [unrolled: 1-line block ×3, first 2 shown]
	v_mov_b32_e32 v202, 0
	v_mov_b32_e32 v218, 0
	;; [unrolled: 1-line block ×4, first 2 shown]
	v_dot4c_i32_i8_e32 v201, v219, v12
	v_dot4c_i32_i8_e32 v203, v219, v20
	s_waitcnt lgkmcnt(5)
	v_dot4c_i32_i8_e32 v204, v219, v32
	s_waitcnt lgkmcnt(4)
	;; [unrolled: 2-line block ×3, first 2 shown]
	v_dot4c_i32_i8_e32 v206, v219, v44
	v_mov_b32_e32 v1, 0
	v_dot4c_i32_i8_e32 v202, v230, v16
	v_dot4c_i32_i8_e32 v218, v234, v16
	v_mov_b32_e32 v9, 0
	v_mov_b32_e32 v219, 0
	v_dot4c_i32_i8_e32 v221, v239, v16
	v_mov_b32_e32 v16, 0
	v_mov_b32_e32 v222, 0
	v_dot4c_i32_i8_e32 v210, v230, v24
	v_dot4c_i32_i8_e32 v1, v230, v28
	v_mov_b32_e32 v5, 0
	v_mov_b32_e32 v8, 0
	v_dot4c_i32_i8_e32 v9, v234, v24
	;; [unrolled: 4-line block ×4, first 2 shown]
	v_dot4c_i32_i8_e32 v8, v230, v48
	v_dot4c_i32_i8_e32 v10, v234, v40
	;; [unrolled: 1-line block ×90, first 2 shown]
	v_and_b32_e32 v17, 0xf0f0f0f, v214
	v_dot4c_i32_i8_e32 v202, v211, v14
	v_dot4c_i32_i8_e32 v218, v212, v14
	v_dot4c_i32_i8_e32 v221, v213, v14
	v_dot4c_i32_i8_e32 v210, v211, v22
	v_dot4c_i32_i8_e32 v9, v212, v22
	v_dot4c_i32_i8_e32 v16, v213, v22
	v_dot4c_i32_i8_e32 v1, v211, v34
	v_dot4c_i32_i8_e32 v219, v212, v34
	v_dot4c_i32_i8_e32 v222, v213, v34
	v_dot4c_i32_i8_e32 v5, v211, v38
	v_dot4c_i32_i8_e32 v10, v212, v38
	v_dot4c_i32_i8_e32 v24, v213, v38
	v_dot4c_i32_i8_e32 v8, v211, v46
	v_dot4c_i32_i8_e32 v220, v212, v46
	v_dot4c_i32_i8_e32 v28, v213, v46
	v_and_b32_e32 v25, 0xf0f0f0f, v215
	v_and_b32_e32 v29, 0xf0f0f0f, v216
	;; [unrolled: 1-line block ×3, first 2 shown]
	v_dot4c_i32_i8_e32 v202, v207, v19
	v_dot4c_i32_i8_e32 v218, v208, v19
	;; [unrolled: 1-line block ×29, first 2 shown]
	v_cvt_f32_i32_e32 v19, v193
	v_cvt_f32_i32_e32 v18, v189
	v_dot4c_i32_i8_e32 v197, v25, v11
	v_dot4c_i32_i8_e32 v199, v29, v11
	v_dot4c_i32_i8_e32 v200, v30, v11
	v_cvt_f32_i32_e32 v27, v201
	v_cvt_f32_i32_e32 v26, v198
	v_dot4c_i32_i8_e32 v202, v25, v15
	v_dot4c_i32_i8_e32 v218, v29, v15
	v_dot4c_i32_i8_e32 v221, v30, v15
	v_dot4c_i32_i8_e32 v210, v25, v23
	v_dot4c_i32_i8_e32 v9, v29, v23
	v_dot4c_i32_i8_e32 v16, v30, v23
	v_cvt_f32_i32_e32 v15, v204
	v_cvt_f32_i32_e32 v14, v203
	v_dot4c_i32_i8_e32 v1, v25, v35
	v_dot4c_i32_i8_e32 v219, v29, v35
	v_dot4c_i32_i8_e32 v222, v30, v35
	;; [unrolled: 8-line block ×3, first 2 shown]
	ds_read_b32 v0, v187
	v_cvt_f32_i32_e32 v31, v194
	v_cvt_f32_i32_e32 v30, v190
	;; [unrolled: 1-line block ×24, first 2 shown]
	v_pk_mul_f32 v[12:13], v[174:175], s[0:1] op_sel_hi:[1,0]
	v_pk_mul_f32 v[20:21], v[176:177], s[0:1] op_sel_hi:[1,0]
	;; [unrolled: 1-line block ×4, first 2 shown]
	v_pk_fma_f32 v[18:19], v[172:173], v[18:19], v[12:13] neg_lo:[0,0,1] neg_hi:[0,0,1]
	v_pk_fma_f32 v[26:27], v[26:27], v[170:171], v[20:21] neg_lo:[0,0,1] neg_hi:[0,0,1]
	;; [unrolled: 1-line block ×4, first 2 shown]
	s_add_i32 s4, s4, 4
	s_waitcnt lgkmcnt(3)
	v_pk_fma_f32 v[94:95], v[2:3], v[18:19], v[94:95] op_sel_hi:[0,1,1]
	v_pk_fma_f32 v[18:19], v[172:173], v[30:31], v[12:13] neg_lo:[0,0,1] neg_hi:[0,0,1]
	v_pk_fma_f32 v[28:29], v[172:173], v[34:35], v[12:13] neg_lo:[0,0,1] neg_hi:[0,0,1]
	v_pk_fma_f32 v[12:13], v[172:173], v[38:39], v[12:13] neg_lo:[0,0,1] neg_hi:[0,0,1]
	v_pk_fma_f32 v[142:143], v[2:3], v[26:27], v[142:143] op_sel_hi:[0,1,1]
	v_pk_fma_f32 v[26:27], v[40:41], v[170:171], v[20:21] neg_lo:[0,0,1] neg_hi:[0,0,1]
	v_pk_fma_f32 v[30:31], v[42:43], v[170:171], v[20:21] neg_lo:[0,0,1] neg_hi:[0,0,1]
	v_pk_fma_f32 v[20:21], v[44:45], v[170:171], v[20:21] neg_lo:[0,0,1] neg_hi:[0,0,1]
	v_pk_fma_f32 v[136:137], v[2:3], v[14:15], v[136:137] op_sel_hi:[0,1,1]
	v_pk_fma_f32 v[14:15], v[46:47], v[168:169], v[32:33] neg_lo:[0,0,1] neg_hi:[0,0,1]
	v_pk_fma_f32 v[34:35], v[48:49], v[168:169], v[32:33] neg_lo:[0,0,1] neg_hi:[0,0,1]
	v_pk_fma_f32 v[16:17], v[16:17], v[168:169], v[32:33] neg_lo:[0,0,1] neg_hi:[0,0,1]
	v_pk_fma_f32 v[128:129], v[2:3], v[22:23], v[128:129] op_sel_hi:[0,1,1]
	v_pk_fma_f32 v[2:3], v[8:9], v[166:167], v[36:37] neg_lo:[0,0,1] neg_hi:[0,0,1]
	v_pk_fma_f32 v[8:9], v[10:11], v[166:167], v[36:37] neg_lo:[0,0,1] neg_hi:[0,0,1]
	v_pk_fma_f32 v[10:11], v[24:25], v[166:167], v[36:37] neg_lo:[0,0,1] neg_hi:[0,0,1]
	v_add_u32_e32 v188, 16, v188
	v_add_u32_e32 v187, 4, v187
	;; [unrolled: 1-line block ×7, first 2 shown]
	s_cmp_lt_u32 s4, 12
	s_waitcnt lgkmcnt(2)
	v_pk_fma_f32 v[154:155], v[4:5], v[18:19], v[154:155] op_sel_hi:[0,1,1]
	s_waitcnt lgkmcnt(1)
	v_pk_fma_f32 v[160:161], v[6:7], v[28:29], v[160:161] op_sel_hi:[0,1,1]
	;; [unrolled: 2-line block ×3, first 2 shown]
	v_pk_fma_f32 v[148:149], v[4:5], v[26:27], v[148:149] op_sel_hi:[0,1,1]
	v_pk_fma_f32 v[156:157], v[6:7], v[30:31], v[156:157] op_sel_hi:[0,1,1]
	;; [unrolled: 1-line block ×9, first 2 shown]
	s_cbranch_scc1 .LBB138_9
; %bb.10:                               ;   in Loop: Header=BB138_7 Depth=1
	s_and_b32 s4, s9, -4
	s_cmp_eq_u32 s4, 4
	s_barrier
	s_cbranch_scc1 .LBB138_6
; %bb.11:                               ;   in Loop: Header=BB138_7 Depth=1
	v_add_u32_e32 v14, s11, v89
	v_add_u32_e32 v0, v14, v71
	;; [unrolled: 1-line block ×6, first 2 shown]
	v_mad_i64_i32 v[0:1], s[4:5], v0, 36, v[92:93]
	v_mad_i64_i32 v[2:3], s[4:5], v2, 36, v[92:93]
	;; [unrolled: 1-line block ×4, first 2 shown]
	v_add_u32_e32 v8, v14, v79
	v_add_u32_e32 v10, v14, v81
	;; [unrolled: 1-line block ×4, first 2 shown]
	v_mad_u64_u32 v[16:17], s[4:5], v16, 36, s[2:3]
	v_mad_i64_i32 v[8:9], s[4:5], v8, 36, v[92:93]
	v_mad_i64_i32 v[10:11], s[4:5], v10, 36, v[92:93]
	;; [unrolled: 1-line block ×4, first 2 shown]
	global_load_dword v16, v[16:17], off
	s_nop 0
	global_load_dword v0, v[0:1], off offset:4
	s_nop 0
	global_load_dword v1, v[2:3], off offset:4
	;; [unrolled: 2-line block ×3, first 2 shown]
	global_load_dword v3, v[6:7], off offset:4
	s_nop 0
	global_load_dword v4, v[8:9], off offset:4
	global_load_dword v5, v[10:11], off offset:4
                                        ; kill: killed $vgpr8_vgpr9
                                        ; kill: killed $vgpr10_vgpr11
	global_load_dword v6, v[12:13], off offset:4
	global_load_dword v7, v[14:15], off offset:4
	s_mov_b32 s4, 12
	v_mov_b32_e32 v9, v91
	v_mov_b32_e32 v11, v113
	;; [unrolled: 1-line block ×7, first 2 shown]
	s_waitcnt vmcnt(8)
	ds_write_b32 v69, v16
	s_waitcnt vmcnt(7)
	ds_write_b32 v111, v0
	;; [unrolled: 2-line block ×9, first 2 shown]
	s_waitcnt lgkmcnt(0)
	s_barrier
.LBB138_12:                             ;   Parent Loop BB138_7 Depth=1
                                        ; =>  This Inner Loop Header: Depth=2
	ds_read_b128 v[0:3], v11
	ds_read_b128 v[4:7], v11 offset:16
	ds_read2_b32 v[16:17], v9 offset1:32
	ds_read_b32 v8, v13
	ds_read2_b32 v[22:23], v20 offset1:1
	ds_read2_b32 v[32:33], v20 offset0:2 offset1:3
	v_add_u32_e32 v12, 0x1080, v20
	v_add_u32_e32 v14, 0x2100, v20
	v_mov_b32_e32 v141, 0
	s_waitcnt lgkmcnt(1)
	v_lshrrev_b32_e32 v10, 4, v22
	v_and_b32_e32 v21, 0xf0f0f0f, v22
	v_and_b32_e32 v22, 0xf0f0f0f, v10
	v_lshrrev_b32_e32 v10, 4, v23
	v_and_b32_e32 v26, 0xf0f0f0f, v10
	s_waitcnt lgkmcnt(0)
	v_lshrrev_b32_e32 v10, 4, v32
	v_and_b32_e32 v30, 0xf0f0f0f, v10
	v_lshrrev_b32_e32 v10, 4, v33
	v_and_b32_e32 v29, 0xf0f0f0f, v32
	v_and_b32_e32 v32, 0xf0f0f0f, v10
	ds_read_b32 v10, v15
	ds_read2_b32 v[34:35], v12 offset1:1
	v_and_b32_e32 v25, 0xf0f0f0f, v23
	v_and_b32_e32 v31, 0xf0f0f0f, v33
	v_mov_b32_e32 v174, 0
	v_mov_b32_e32 v175, 0
	s_waitcnt lgkmcnt(0)
	v_lshrrev_b32_e32 v12, 4, v34
	v_and_b32_e32 v24, 0xf0f0f0f, v12
	v_lshrrev_b32_e32 v12, 4, v35
	v_and_b32_e32 v28, 0xf0f0f0f, v12
	v_add_u32_e32 v12, 0x1088, v20
	ds_read2_b32 v[38:39], v12 offset1:1
	v_and_b32_e32 v27, 0xf0f0f0f, v35
	v_and_b32_e32 v23, 0xf0f0f0f, v34
	v_mov_b32_e32 v176, 0
	v_dot4c_i32_i8_e32 v141, v21, v0
	s_waitcnt lgkmcnt(0)
	v_lshrrev_b32_e32 v12, 4, v38
	v_and_b32_e32 v36, 0xf0f0f0f, v12
	v_lshrrev_b32_e32 v12, 4, v39
	v_and_b32_e32 v35, 0xf0f0f0f, v38
	v_and_b32_e32 v38, 0xf0f0f0f, v12
	ds_read_b32 v12, v18
	ds_read2_b32 v[40:41], v14 offset1:1
	v_and_b32_e32 v37, 0xf0f0f0f, v39
	v_dot4c_i32_i8_e32 v174, v23, v0
	v_dot4c_i32_i8_e32 v141, v22, v4
	;; [unrolled: 1-line block ×3, first 2 shown]
	s_waitcnt lgkmcnt(0)
	v_lshrrev_b32_e32 v14, 4, v40
	v_and_b32_e32 v34, 0xf0f0f0f, v14
	v_lshrrev_b32_e32 v14, 4, v41
	v_and_b32_e32 v33, 0xf0f0f0f, v40
	v_and_b32_e32 v40, 0xf0f0f0f, v14
	v_add_u32_e32 v14, 0x2108, v20
	ds_read2_b32 v[44:45], v14 offset1:1
	v_and_b32_e32 v39, 0xf0f0f0f, v41
	v_dot4c_i32_i8_e32 v175, v33, v0
	v_dot4c_i32_i8_e32 v175, v34, v4
	;; [unrolled: 1-line block ×3, first 2 shown]
	s_waitcnt lgkmcnt(0)
	v_lshrrev_b32_e32 v14, 4, v44
	v_and_b32_e32 v42, 0xf0f0f0f, v14
	v_lshrrev_b32_e32 v14, 4, v45
	v_and_b32_e32 v41, 0xf0f0f0f, v44
	v_and_b32_e32 v43, 0xf0f0f0f, v45
	;; [unrolled: 1-line block ×3, first 2 shown]
	v_add_u32_e32 v45, 0x3180, v20
	ds_read_b32 v14, v19
	ds_read2_b32 v[46:47], v45 offset1:1
	v_dot4c_i32_i8_e32 v174, v27, v1
	v_dot4c_i32_i8_e32 v175, v39, v1
	;; [unrolled: 1-line block ×4, first 2 shown]
	s_waitcnt lgkmcnt(0)
	v_and_b32_e32 v45, 0xf0f0f0f, v46
	v_lshrrev_b32_e32 v46, 4, v46
	v_and_b32_e32 v46, 0xf0f0f0f, v46
	v_dot4c_i32_i8_e32 v176, v45, v0
	v_dot4c_i32_i8_e32 v176, v46, v4
	v_and_b32_e32 v0, 0xf0f0f0f, v47
	v_dot4c_i32_i8_e32 v176, v0, v1
	v_add_u32_e32 v1, 0x3188, v20
	ds_read2_b32 v[48:49], v1 offset1:1
	v_lshrrev_b32_e32 v4, 4, v47
	v_and_b32_e32 v4, 0xf0f0f0f, v4
	v_dot4c_i32_i8_e32 v175, v40, v5
	v_dot4c_i32_i8_e32 v176, v4, v5
	s_waitcnt lgkmcnt(0)
	v_and_b32_e32 v1, 0xf0f0f0f, v48
	v_lshrrev_b32_e32 v5, 4, v48
	v_dot4c_i32_i8_e32 v141, v29, v2
	v_dot4c_i32_i8_e32 v174, v35, v2
	;; [unrolled: 1-line block ×3, first 2 shown]
	v_and_b32_e32 v5, 0xf0f0f0f, v5
	v_dot4c_i32_i8_e32 v176, v1, v2
	v_dot4c_i32_i8_e32 v141, v30, v6
	;; [unrolled: 1-line block ×5, first 2 shown]
	v_and_b32_e32 v2, 0xf0f0f0f, v49
	v_lshrrev_b32_e32 v6, 4, v49
	ds_read_b128 v[48:51], v11 offset:1024
	ds_read_b128 v[166:169], v11 offset:1040
	v_dot4c_i32_i8_e32 v141, v31, v3
	v_dot4c_i32_i8_e32 v174, v37, v3
	;; [unrolled: 1-line block ×4, first 2 shown]
	v_mov_b32_e32 v3, 0
	s_waitcnt lgkmcnt(1)
	v_dot4c_i32_i8_e32 v3, v21, v48
	s_waitcnt lgkmcnt(0)
	v_dot4c_i32_i8_e32 v3, v22, v166
	v_dot4c_i32_i8_e32 v3, v25, v49
	;; [unrolled: 1-line block ×8, first 2 shown]
	v_cvt_f32_f16_e32 v171, v17
	v_cvt_f32_f16_e32 v170, v16
	v_cvt_f32_i32_e32 v173, v3
	v_mov_b32_e32 v3, 0
	v_dot4c_i32_i8_e32 v3, v23, v48
	v_dot4c_i32_i8_e32 v3, v24, v166
	v_cvt_f32_f16_sdwa v17, v17 dst_sel:DWORD dst_unused:UNUSED_PAD src0_sel:WORD_1
	v_cvt_f32_f16_sdwa v16, v16 dst_sel:DWORD dst_unused:UNUSED_PAD src0_sel:WORD_1
	v_dot4c_i32_i8_e32 v3, v27, v49
	v_cvt_f32_i32_e32 v172, v141
	v_dot4c_i32_i8_e32 v3, v28, v167
	v_dot4c_i32_i8_e32 v3, v35, v50
	;; [unrolled: 1-line block ×3, first 2 shown]
	v_pk_mul_f32 v[16:17], v[16:17], s[0:1] op_sel_hi:[1,0]
	v_dot4c_i32_i8_e32 v3, v37, v51
	v_pk_fma_f32 v[172:173], v[170:171], v[172:173], v[16:17] neg_lo:[0,0,1] neg_hi:[0,0,1]
	v_dot4c_i32_i8_e32 v3, v38, v169
	v_pk_fma_f32 v[94:95], v[8:9], v[172:173], v[94:95] op_sel_hi:[0,1,1]
	v_dot4c_i32_i8_e32 v174, v38, v7
	v_and_b32_e32 v6, 0xf0f0f0f, v6
	v_cvt_f32_i32_e32 v173, v3
	v_mov_b32_e32 v3, 0
	v_dot4c_i32_i8_e32 v3, v33, v48
	v_dot4c_i32_i8_e32 v3, v34, v166
	;; [unrolled: 1-line block ×3, first 2 shown]
	v_cvt_f32_i32_e32 v172, v174
	v_dot4c_i32_i8_e32 v3, v40, v167
	v_dot4c_i32_i8_e32 v3, v41, v50
	;; [unrolled: 1-line block ×4, first 2 shown]
	v_pk_fma_f32 v[172:173], v[170:171], v[172:173], v[16:17] neg_lo:[0,0,1] neg_hi:[0,0,1]
	v_dot4c_i32_i8_e32 v3, v44, v169
	v_pk_fma_f32 v[154:155], v[10:11], v[172:173], v[154:155] op_sel_hi:[0,1,1]
	v_dot4c_i32_i8_e32 v175, v44, v7
	v_dot4c_i32_i8_e32 v176, v6, v7
	v_cvt_f32_i32_e32 v173, v3
	v_mov_b32_e32 v3, 0
	v_dot4c_i32_i8_e32 v3, v45, v48
	v_dot4c_i32_i8_e32 v3, v46, v166
	;; [unrolled: 1-line block ×8, first 2 shown]
	v_cvt_f32_i32_e32 v172, v175
	v_cvt_f32_i32_e32 v48, v176
	v_mov_b32_e32 v7, 0
	v_cvt_f32_i32_e32 v49, v3
	v_pk_fma_f32 v[172:173], v[170:171], v[172:173], v[16:17] neg_lo:[0,0,1] neg_hi:[0,0,1]
	v_mov_b32_e32 v3, 0
	v_mov_b32_e32 v47, 0
	v_pk_fma_f32 v[16:17], v[170:171], v[48:49], v[16:17] neg_lo:[0,0,1] neg_hi:[0,0,1]
	v_mov_b32_e32 v141, 0
	v_pk_fma_f32 v[164:165], v[14:15], v[16:17], v[164:165] op_sel_hi:[0,1,1]
	ds_read_b128 v[48:51], v11 offset:2048
	ds_read_b128 v[166:169], v11 offset:2064
	ds_read2_b32 v[16:17], v9 offset0:64 offset1:96
	v_pk_fma_f32 v[160:161], v[12:13], v[172:173], v[160:161] op_sel_hi:[0,1,1]
	v_mov_b32_e32 v172, 0
	s_waitcnt lgkmcnt(2)
	v_dot4c_i32_i8_e32 v3, v21, v48
	v_dot4c_i32_i8_e32 v7, v23, v48
	;; [unrolled: 1-line block ×4, first 2 shown]
	s_waitcnt lgkmcnt(1)
	v_dot4c_i32_i8_e32 v3, v22, v166
	v_dot4c_i32_i8_e32 v7, v24, v166
	;; [unrolled: 1-line block ×28, first 2 shown]
	ds_read_b128 v[48:51], v11 offset:3072
	ds_read_b128 v[166:169], v11 offset:3088
	s_waitcnt lgkmcnt(2)
	v_cvt_f32_f16_e32 v171, v17
	v_cvt_f32_f16_e32 v170, v16
	v_cvt_f32_f16_sdwa v17, v17 dst_sel:DWORD dst_unused:UNUSED_PAD src0_sel:WORD_1
	s_waitcnt lgkmcnt(1)
	v_dot4c_i32_i8_e32 v172, v21, v48
	s_waitcnt lgkmcnt(0)
	v_dot4c_i32_i8_e32 v172, v22, v166
	v_dot4c_i32_i8_e32 v172, v25, v49
	;; [unrolled: 1-line block ×7, first 2 shown]
	v_cvt_f32_f16_sdwa v16, v16 dst_sel:DWORD dst_unused:UNUSED_PAD src0_sel:WORD_1
	s_add_i32 s4, s4, 4
	v_add_u32_e32 v20, 16, v20
	v_cvt_f32_i32_e32 v173, v172
	v_cvt_f32_i32_e32 v172, v3
	v_mov_b32_e32 v3, 0
	v_dot4c_i32_i8_e32 v3, v23, v48
	v_dot4c_i32_i8_e32 v3, v24, v166
	;; [unrolled: 1-line block ×6, first 2 shown]
	v_pk_mul_f32 v[16:17], v[16:17], s[0:1] op_sel_hi:[1,0]
	v_dot4c_i32_i8_e32 v3, v37, v51
	v_pk_fma_f32 v[172:173], v[172:173], v[170:171], v[16:17] neg_lo:[0,0,1] neg_hi:[0,0,1]
	v_dot4c_i32_i8_e32 v3, v38, v169
	v_pk_fma_f32 v[142:143], v[8:9], v[172:173], v[142:143] op_sel_hi:[0,1,1]
	v_cvt_f32_i32_e32 v172, v7
	v_mov_b32_e32 v7, 0
	v_cvt_f32_i32_e32 v173, v3
	v_mov_b32_e32 v3, 0
	v_dot4c_i32_i8_e32 v3, v33, v48
	v_dot4c_i32_i8_e32 v3, v34, v166
	;; [unrolled: 1-line block ×7, first 2 shown]
	v_pk_fma_f32 v[172:173], v[172:173], v[170:171], v[16:17] neg_lo:[0,0,1] neg_hi:[0,0,1]
	v_dot4c_i32_i8_e32 v3, v44, v169
	v_pk_fma_f32 v[148:149], v[10:11], v[172:173], v[148:149] op_sel_hi:[0,1,1]
	v_cvt_f32_i32_e32 v172, v47
	v_mov_b32_e32 v47, 0
	v_cvt_f32_i32_e32 v173, v3
	v_mov_b32_e32 v3, 0
	v_dot4c_i32_i8_e32 v3, v45, v48
	v_dot4c_i32_i8_e32 v3, v46, v166
	;; [unrolled: 1-line block ×8, first 2 shown]
	v_cvt_f32_i32_e32 v48, v141
	v_pk_fma_f32 v[172:173], v[172:173], v[170:171], v[16:17] neg_lo:[0,0,1] neg_hi:[0,0,1]
	v_mov_b32_e32 v141, 0
	v_cvt_f32_i32_e32 v49, v3
	v_mov_b32_e32 v3, 0
	v_pk_fma_f32 v[156:157], v[12:13], v[172:173], v[156:157] op_sel_hi:[0,1,1]
	v_mov_b32_e32 v172, 0
	v_pk_fma_f32 v[16:17], v[48:49], v[170:171], v[16:17] neg_lo:[0,0,1] neg_hi:[0,0,1]
	v_add_u32_e32 v19, 4, v19
	v_pk_fma_f32 v[162:163], v[14:15], v[16:17], v[162:163] op_sel_hi:[0,1,1]
	ds_read_b128 v[48:51], v11 offset:4096
	ds_read_b128 v[166:169], v11 offset:4112
	ds_read2_b32 v[16:17], v9 offset0:128 offset1:160
	v_add_u32_e32 v18, 4, v18
	s_cmp_lt_u32 s4, 28
	s_waitcnt lgkmcnt(2)
	v_dot4c_i32_i8_e32 v3, v21, v48
	v_dot4c_i32_i8_e32 v7, v23, v48
	v_dot4c_i32_i8_e32 v47, v33, v48
	v_dot4c_i32_i8_e32 v141, v45, v48
	s_waitcnt lgkmcnt(1)
	v_dot4c_i32_i8_e32 v3, v22, v166
	v_dot4c_i32_i8_e32 v7, v24, v166
	;; [unrolled: 1-line block ×28, first 2 shown]
	ds_read_b128 v[48:51], v11 offset:5120
	ds_read_b128 v[166:169], v11 offset:5136
	s_waitcnt lgkmcnt(2)
	v_cvt_f32_f16_e32 v171, v17
	v_cvt_f32_f16_e32 v170, v16
	v_cvt_f32_f16_sdwa v17, v17 dst_sel:DWORD dst_unused:UNUSED_PAD src0_sel:WORD_1
	s_waitcnt lgkmcnt(1)
	v_dot4c_i32_i8_e32 v172, v21, v48
	s_waitcnt lgkmcnt(0)
	v_dot4c_i32_i8_e32 v172, v22, v166
	v_dot4c_i32_i8_e32 v172, v25, v49
	;; [unrolled: 1-line block ×7, first 2 shown]
	v_cvt_f32_f16_sdwa v16, v16 dst_sel:DWORD dst_unused:UNUSED_PAD src0_sel:WORD_1
	v_pk_mul_f32 v[16:17], v[16:17], s[0:1] op_sel_hi:[1,0]
	s_nop 0
	v_cvt_f32_i32_e32 v173, v172
	v_cvt_f32_i32_e32 v172, v3
	v_mov_b32_e32 v3, 0
	v_dot4c_i32_i8_e32 v3, v23, v48
	v_dot4c_i32_i8_e32 v3, v24, v166
	;; [unrolled: 1-line block ×7, first 2 shown]
	v_pk_fma_f32 v[172:173], v[172:173], v[170:171], v[16:17] neg_lo:[0,0,1] neg_hi:[0,0,1]
	v_dot4c_i32_i8_e32 v3, v38, v169
	v_pk_fma_f32 v[136:137], v[8:9], v[172:173], v[136:137] op_sel_hi:[0,1,1]
	v_cvt_f32_i32_e32 v172, v7
	v_mov_b32_e32 v7, 0
	v_cvt_f32_i32_e32 v173, v3
	v_mov_b32_e32 v3, 0
	v_dot4c_i32_i8_e32 v3, v33, v48
	v_dot4c_i32_i8_e32 v3, v34, v166
	v_dot4c_i32_i8_e32 v3, v39, v49
	v_dot4c_i32_i8_e32 v3, v40, v167
	v_dot4c_i32_i8_e32 v3, v41, v50
	v_dot4c_i32_i8_e32 v3, v42, v168
	v_dot4c_i32_i8_e32 v3, v43, v51
	v_pk_fma_f32 v[172:173], v[172:173], v[170:171], v[16:17] neg_lo:[0,0,1] neg_hi:[0,0,1]
	v_dot4c_i32_i8_e32 v3, v44, v169
	v_pk_fma_f32 v[144:145], v[10:11], v[172:173], v[144:145] op_sel_hi:[0,1,1]
	v_cvt_f32_i32_e32 v172, v47
	v_mov_b32_e32 v47, 0
	v_cvt_f32_i32_e32 v173, v3
	v_mov_b32_e32 v3, 0
	v_dot4c_i32_i8_e32 v3, v45, v48
	v_dot4c_i32_i8_e32 v3, v46, v166
	;; [unrolled: 1-line block ×8, first 2 shown]
	v_cvt_f32_i32_e32 v48, v141
	v_pk_fma_f32 v[172:173], v[172:173], v[170:171], v[16:17] neg_lo:[0,0,1] neg_hi:[0,0,1]
	v_mov_b32_e32 v141, 0
	v_cvt_f32_i32_e32 v49, v3
	v_mov_b32_e32 v3, 0
	v_pk_fma_f32 v[150:151], v[12:13], v[172:173], v[150:151] op_sel_hi:[0,1,1]
	v_pk_fma_f32 v[16:17], v[48:49], v[170:171], v[16:17] neg_lo:[0,0,1] neg_hi:[0,0,1]
	s_nop 0
	v_pk_fma_f32 v[158:159], v[14:15], v[16:17], v[158:159] op_sel_hi:[0,1,1]
	ds_read_b128 v[48:51], v11 offset:6144
	ds_read_b128 v[166:169], v11 offset:6160
	ds_read2_b32 v[16:17], v9 offset0:192 offset1:224
	v_mov_b32_e32 v170, 0
	s_waitcnt lgkmcnt(2)
	v_dot4c_i32_i8_e32 v3, v21, v48
	v_dot4c_i32_i8_e32 v7, v23, v48
	;; [unrolled: 1-line block ×4, first 2 shown]
	s_waitcnt lgkmcnt(1)
	v_dot4c_i32_i8_e32 v3, v22, v166
	v_dot4c_i32_i8_e32 v7, v24, v166
	;; [unrolled: 1-line block ×28, first 2 shown]
	ds_read_b128 v[48:51], v11 offset:7168
	ds_read_b128 v[166:169], v11 offset:7184
	s_waitcnt lgkmcnt(1)
	v_dot4c_i32_i8_e32 v170, v21, v48
	s_waitcnt lgkmcnt(0)
	v_dot4c_i32_i8_e32 v170, v22, v166
	v_dot4c_i32_i8_e32 v170, v25, v49
	;; [unrolled: 1-line block ×7, first 2 shown]
	v_cvt_f32_f16_e32 v31, v17
	v_cvt_f32_f16_e32 v30, v16
	v_cvt_f32_f16_sdwa v17, v17 dst_sel:DWORD dst_unused:UNUSED_PAD src0_sel:WORD_1
	v_cvt_f32_i32_e32 v171, v170
	v_cvt_f32_i32_e32 v170, v3
	v_mov_b32_e32 v3, 0
	v_dot4c_i32_i8_e32 v3, v23, v48
	v_dot4c_i32_i8_e32 v3, v24, v166
	;; [unrolled: 1-line block ×8, first 2 shown]
	v_cvt_f32_f16_sdwa v16, v16 dst_sel:DWORD dst_unused:UNUSED_PAD src0_sel:WORD_1
	v_cvt_f32_i32_e32 v22, v7
	v_pk_mul_f32 v[16:17], v[16:17], s[0:1] op_sel_hi:[1,0]
	v_cvt_f32_i32_e32 v23, v3
	v_mov_b32_e32 v3, 0
	v_dot4c_i32_i8_e32 v3, v33, v48
	v_dot4c_i32_i8_e32 v3, v34, v166
	;; [unrolled: 1-line block ×7, first 2 shown]
	v_pk_fma_f32 v[22:23], v[22:23], v[30:31], v[16:17] neg_lo:[0,0,1] neg_hi:[0,0,1]
	v_dot4c_i32_i8_e32 v3, v44, v169
	v_pk_fma_f32 v[138:139], v[10:11], v[22:23], v[138:139] op_sel_hi:[0,1,1]
	v_cvt_f32_i32_e32 v22, v47
	v_pk_fma_f32 v[170:171], v[170:171], v[30:31], v[16:17] neg_lo:[0,0,1] neg_hi:[0,0,1]
	v_cvt_f32_i32_e32 v23, v3
	v_mov_b32_e32 v3, 0
	v_dot4c_i32_i8_e32 v3, v45, v48
	v_dot4c_i32_i8_e32 v3, v46, v166
	;; [unrolled: 1-line block ×8, first 2 shown]
	v_cvt_f32_i32_e32 v0, v141
	v_pk_fma_f32 v[22:23], v[22:23], v[30:31], v[16:17] neg_lo:[0,0,1] neg_hi:[0,0,1]
	v_pk_fma_f32 v[128:129], v[8:9], v[170:171], v[128:129] op_sel_hi:[0,1,1]
	v_cvt_f32_i32_e32 v1, v3
	v_pk_fma_f32 v[146:147], v[12:13], v[22:23], v[146:147] op_sel_hi:[0,1,1]
	v_add_u32_e32 v13, 4, v13
	v_add_u32_e32 v11, 32, v11
	v_pk_fma_f32 v[0:1], v[0:1], v[30:31], v[16:17] neg_lo:[0,0,1] neg_hi:[0,0,1]
	v_add_u32_e32 v9, 4, v9
	v_pk_fma_f32 v[152:153], v[14:15], v[0:1], v[152:153] op_sel_hi:[0,1,1]
	v_add_u32_e32 v15, 4, v15
	s_cbranch_scc1 .LBB138_12
; %bb.13:                               ;   in Loop: Header=BB138_7 Depth=1
	s_barrier
	s_branch .LBB138_6
.LBB138_14:
	v_cvt_pk_f16_f32 v20, v94, v95
	v_cvt_pk_f16_f32 v19, v154, v155
	;; [unrolled: 1-line block ×16, first 2 shown]
	v_mov_b32_e32 v4, v87
	v_cmp_gt_u32_e32 vcc, s10, v57
	s_and_saveexec_b64 s[0:1], vcc
	s_cbranch_execz .LBB138_3
.LBB138_15:
	v_add_u32_e32 v5, s6, v53
	v_mul_lo_u32 v21, v57, s14
	v_cmp_gt_u32_e32 vcc, s14, v5
	s_and_saveexec_b64 s[0:1], vcc
	s_cbranch_execz .LBB138_17
; %bb.16:
	v_add_u32_e32 v6, v5, v21
	v_mov_b32_e32 v7, 0
	s_waitcnt lgkmcnt(0)
	v_lshl_add_u64 v[6:7], v[6:7], 1, s[12:13]
	global_store_short v[6:7], v20, off
.LBB138_17:
	s_or_b64 exec, exec, s[0:1]
	v_add_u32_e32 v6, 32, v5
	v_cmp_gt_u32_e64 s[0:1], s14, v6
	s_and_saveexec_b64 s[2:3], s[0:1]
	s_cbranch_execz .LBB138_19
; %bb.18:
	v_add_u32_e32 v22, v6, v21
	v_mov_b32_e32 v23, 0
	s_waitcnt lgkmcnt(0)
	v_lshl_add_u64 v[22:23], v[22:23], 1, s[12:13]
	global_store_short v[22:23], v19, off
.LBB138_19:
	s_or_b64 exec, exec, s[2:3]
	v_add_u32_e32 v7, 64, v5
	v_cmp_gt_u32_e64 s[2:3], s14, v7
	s_and_saveexec_b64 s[4:5], s[2:3]
	;; [unrolled: 12-line block ×3, first 2 shown]
	s_cbranch_execz .LBB138_23
; %bb.22:
	v_add_u32_e32 v22, v8, v21
	v_mov_b32_e32 v23, 0
	s_waitcnt lgkmcnt(0)
	v_lshl_add_u64 v[22:23], v[22:23], 1, s[12:13]
	global_store_short v[22:23], v17, off
.LBB138_23:
	s_or_b64 exec, exec, s[6:7]
	v_add3_u32 v21, v4, s15, 8
	v_cmp_gt_u32_e64 s[6:7], s10, v21
	s_and_b64 exec, exec, s[6:7]
	s_cbranch_execz .LBB138_3
; %bb.24:
	v_mul_lo_u32 v21, v21, s14
	s_and_saveexec_b64 s[6:7], vcc
	s_cbranch_execnz .LBB138_64
; %bb.25:
	s_or_b64 exec, exec, s[6:7]
	s_and_saveexec_b64 s[6:7], s[0:1]
	s_cbranch_execnz .LBB138_65
.LBB138_26:
	s_or_b64 exec, exec, s[6:7]
	s_and_saveexec_b64 s[6:7], s[2:3]
	s_cbranch_execnz .LBB138_66
.LBB138_27:
	s_or_b64 exec, exec, s[6:7]
	s_and_saveexec_b64 s[6:7], s[4:5]
	s_cbranch_execz .LBB138_29
.LBB138_28:
	v_add_u32_e32 v18, v21, v8
	v_mov_b32_e32 v19, 0
	s_waitcnt lgkmcnt(0)
	v_lshl_add_u64 v[18:19], v[18:19], 1, s[12:13]
	global_store_short_d16_hi v[18:19], v17, off
.LBB138_29:
	s_or_b64 exec, exec, s[6:7]
	v_add3_u32 v17, v4, s15, 16
	v_cmp_gt_u32_e64 s[6:7], s10, v17
	s_and_b64 exec, exec, s[6:7]
	s_cbranch_execz .LBB138_3
; %bb.30:
	v_mul_lo_u32 v17, v17, s14
	s_and_saveexec_b64 s[6:7], vcc
	s_cbranch_execnz .LBB138_67
; %bb.31:
	s_or_b64 exec, exec, s[6:7]
	s_and_saveexec_b64 s[6:7], s[0:1]
	s_cbranch_execnz .LBB138_68
.LBB138_32:
	s_or_b64 exec, exec, s[6:7]
	s_and_saveexec_b64 s[6:7], s[2:3]
	s_cbranch_execnz .LBB138_69
.LBB138_33:
	s_or_b64 exec, exec, s[6:7]
	s_and_saveexec_b64 s[6:7], s[4:5]
	s_cbranch_execz .LBB138_35
.LBB138_34:
	v_add_u32_e32 v18, v17, v8
	v_mov_b32_e32 v19, 0
	s_waitcnt lgkmcnt(0)
	v_lshl_add_u64 v[18:19], v[18:19], 1, s[12:13]
	global_store_short v[18:19], v13, off
.LBB138_35:
	s_or_b64 exec, exec, s[6:7]
	v_add3_u32 v17, v4, s15, 24
	v_cmp_gt_u32_e64 s[6:7], s10, v17
	s_and_b64 exec, exec, s[6:7]
	s_cbranch_execz .LBB138_3
; %bb.36:
	v_mul_lo_u32 v17, v17, s14
	s_and_saveexec_b64 s[6:7], vcc
	s_cbranch_execnz .LBB138_70
; %bb.37:
	s_or_b64 exec, exec, s[6:7]
	s_and_saveexec_b64 s[6:7], s[0:1]
	s_cbranch_execnz .LBB138_71
.LBB138_38:
	s_or_b64 exec, exec, s[6:7]
	s_and_saveexec_b64 s[6:7], s[2:3]
	s_cbranch_execnz .LBB138_72
.LBB138_39:
	s_or_b64 exec, exec, s[6:7]
	s_and_saveexec_b64 s[6:7], s[4:5]
	s_cbranch_execz .LBB138_41
.LBB138_40:
	v_add_u32_e32 v14, v17, v8
	v_mov_b32_e32 v15, 0
	s_waitcnt lgkmcnt(0)
	v_lshl_add_u64 v[14:15], v[14:15], 1, s[12:13]
	global_store_short_d16_hi v[14:15], v13, off
.LBB138_41:
	s_or_b64 exec, exec, s[6:7]
	v_add3_u32 v13, v4, s15, 32
	v_cmp_gt_u32_e64 s[6:7], s10, v13
	s_and_b64 exec, exec, s[6:7]
	s_cbranch_execz .LBB138_3
; %bb.42:
	v_mul_lo_u32 v13, v13, s14
	s_and_saveexec_b64 s[6:7], vcc
	s_cbranch_execnz .LBB138_73
; %bb.43:
	s_or_b64 exec, exec, s[6:7]
	s_and_saveexec_b64 s[6:7], s[0:1]
	s_cbranch_execnz .LBB138_74
.LBB138_44:
	s_or_b64 exec, exec, s[6:7]
	s_and_saveexec_b64 s[6:7], s[2:3]
	s_cbranch_execnz .LBB138_75
.LBB138_45:
	s_or_b64 exec, exec, s[6:7]
	s_and_saveexec_b64 s[6:7], s[4:5]
	s_cbranch_execz .LBB138_47
.LBB138_46:
	v_add_u32_e32 v14, v13, v8
	v_mov_b32_e32 v15, 0
	s_waitcnt lgkmcnt(0)
	v_lshl_add_u64 v[14:15], v[14:15], 1, s[12:13]
	global_store_short v[14:15], v9, off
.LBB138_47:
	s_or_b64 exec, exec, s[6:7]
	v_add3_u32 v13, v4, s15, 40
	v_cmp_gt_u32_e64 s[6:7], s10, v13
	s_and_b64 exec, exec, s[6:7]
	s_cbranch_execz .LBB138_3
; %bb.48:
	v_mul_lo_u32 v13, v13, s14
	s_and_saveexec_b64 s[6:7], vcc
	s_cbranch_execnz .LBB138_76
; %bb.49:
	s_or_b64 exec, exec, s[6:7]
	s_and_saveexec_b64 s[6:7], s[0:1]
	s_cbranch_execnz .LBB138_77
.LBB138_50:
	s_or_b64 exec, exec, s[6:7]
	s_and_saveexec_b64 s[6:7], s[2:3]
	s_cbranch_execnz .LBB138_78
.LBB138_51:
	s_or_b64 exec, exec, s[6:7]
	s_and_saveexec_b64 s[6:7], s[4:5]
	s_cbranch_execz .LBB138_53
.LBB138_52:
	v_add_u32_e32 v10, v13, v8
	v_mov_b32_e32 v11, 0
	s_waitcnt lgkmcnt(0)
	v_lshl_add_u64 v[10:11], v[10:11], 1, s[12:13]
	global_store_short_d16_hi v[10:11], v9, off
.LBB138_53:
	s_or_b64 exec, exec, s[6:7]
	v_add3_u32 v9, v4, s15, 48
	v_cmp_gt_u32_e64 s[6:7], s10, v9
	s_and_b64 exec, exec, s[6:7]
	s_cbranch_execz .LBB138_3
; %bb.54:
	v_mul_lo_u32 v9, v9, s14
	s_and_saveexec_b64 s[6:7], vcc
	s_cbranch_execnz .LBB138_79
; %bb.55:
	s_or_b64 exec, exec, s[6:7]
	s_and_saveexec_b64 s[6:7], s[0:1]
	s_cbranch_execnz .LBB138_80
.LBB138_56:
	s_or_b64 exec, exec, s[6:7]
	s_and_saveexec_b64 s[6:7], s[2:3]
	s_cbranch_execnz .LBB138_81
.LBB138_57:
	s_or_b64 exec, exec, s[6:7]
	s_and_saveexec_b64 s[6:7], s[4:5]
	s_cbranch_execz .LBB138_59
.LBB138_58:
	v_add_u32_e32 v10, v9, v8
	v_mov_b32_e32 v11, 0
	s_waitcnt lgkmcnt(0)
	v_lshl_add_u64 v[10:11], v[10:11], 1, s[12:13]
	global_store_short v[10:11], v0, off
.LBB138_59:
	s_or_b64 exec, exec, s[6:7]
	v_add3_u32 v4, v4, s15, 56
	v_cmp_gt_u32_e64 s[6:7], s10, v4
	s_and_b64 exec, exec, s[6:7]
	s_cbranch_execz .LBB138_3
; %bb.60:
	v_mul_lo_u32 v4, v4, s14
	s_and_saveexec_b64 s[6:7], vcc
	s_cbranch_execnz .LBB138_82
; %bb.61:
	s_or_b64 exec, exec, s[6:7]
	s_and_saveexec_b64 s[6:7], s[0:1]
	s_cbranch_execnz .LBB138_83
.LBB138_62:
	s_or_b64 exec, exec, s[6:7]
	s_and_saveexec_b64 s[0:1], s[2:3]
	s_cbranch_execnz .LBB138_84
.LBB138_63:
	s_or_b64 exec, exec, s[0:1]
	s_and_b64 exec, exec, s[4:5]
	s_cbranch_execz .LBB138_3
	s_branch .LBB138_85
.LBB138_64:
	v_add_u32_e32 v22, v21, v5
	v_mov_b32_e32 v23, 0
	s_waitcnt lgkmcnt(0)
	v_lshl_add_u64 v[22:23], v[22:23], 1, s[12:13]
	global_store_short_d16_hi v[22:23], v20, off
	s_or_b64 exec, exec, s[6:7]
	s_and_saveexec_b64 s[6:7], s[0:1]
	s_cbranch_execz .LBB138_26
.LBB138_65:
	v_add_u32_e32 v22, v21, v6
	v_mov_b32_e32 v23, 0
	s_waitcnt lgkmcnt(0)
	v_lshl_add_u64 v[22:23], v[22:23], 1, s[12:13]
	global_store_short_d16_hi v[22:23], v19, off
	s_or_b64 exec, exec, s[6:7]
	s_and_saveexec_b64 s[6:7], s[2:3]
	s_cbranch_execz .LBB138_27
.LBB138_66:
	v_add_u32_e32 v22, v21, v7
	v_mov_b32_e32 v23, 0
	s_waitcnt lgkmcnt(0)
	v_lshl_add_u64 v[22:23], v[22:23], 1, s[12:13]
	global_store_short_d16_hi v[22:23], v18, off
	s_or_b64 exec, exec, s[6:7]
	s_and_saveexec_b64 s[6:7], s[4:5]
	s_cbranch_execnz .LBB138_28
	s_branch .LBB138_29
.LBB138_67:
	v_add_u32_e32 v18, v17, v5
	v_mov_b32_e32 v19, 0
	s_waitcnt lgkmcnt(0)
	v_lshl_add_u64 v[18:19], v[18:19], 1, s[12:13]
	global_store_short v[18:19], v16, off
	s_or_b64 exec, exec, s[6:7]
	s_and_saveexec_b64 s[6:7], s[0:1]
	s_cbranch_execz .LBB138_32
.LBB138_68:
	v_add_u32_e32 v18, v17, v6
	v_mov_b32_e32 v19, 0
	s_waitcnt lgkmcnt(0)
	v_lshl_add_u64 v[18:19], v[18:19], 1, s[12:13]
	global_store_short v[18:19], v15, off
	s_or_b64 exec, exec, s[6:7]
	s_and_saveexec_b64 s[6:7], s[2:3]
	s_cbranch_execz .LBB138_33
.LBB138_69:
	v_add_u32_e32 v18, v17, v7
	v_mov_b32_e32 v19, 0
	s_waitcnt lgkmcnt(0)
	v_lshl_add_u64 v[18:19], v[18:19], 1, s[12:13]
	global_store_short v[18:19], v14, off
	s_or_b64 exec, exec, s[6:7]
	s_and_saveexec_b64 s[6:7], s[4:5]
	s_cbranch_execnz .LBB138_34
	s_branch .LBB138_35
.LBB138_70:
	v_add_u32_e32 v18, v17, v5
	v_mov_b32_e32 v19, 0
	s_waitcnt lgkmcnt(0)
	v_lshl_add_u64 v[18:19], v[18:19], 1, s[12:13]
	global_store_short_d16_hi v[18:19], v16, off
	s_or_b64 exec, exec, s[6:7]
	s_and_saveexec_b64 s[6:7], s[0:1]
	s_cbranch_execz .LBB138_38
.LBB138_71:
	v_add_u32_e32 v18, v17, v6
	v_mov_b32_e32 v19, 0
	s_waitcnt lgkmcnt(0)
	v_lshl_add_u64 v[18:19], v[18:19], 1, s[12:13]
	global_store_short_d16_hi v[18:19], v15, off
	s_or_b64 exec, exec, s[6:7]
	s_and_saveexec_b64 s[6:7], s[2:3]
	s_cbranch_execz .LBB138_39
.LBB138_72:
	v_add_u32_e32 v18, v17, v7
	v_mov_b32_e32 v19, 0
	s_waitcnt lgkmcnt(0)
	v_lshl_add_u64 v[18:19], v[18:19], 1, s[12:13]
	global_store_short_d16_hi v[18:19], v14, off
	s_or_b64 exec, exec, s[6:7]
	s_and_saveexec_b64 s[6:7], s[4:5]
	s_cbranch_execnz .LBB138_40
	s_branch .LBB138_41
.LBB138_73:
	v_add_u32_e32 v14, v13, v5
	v_mov_b32_e32 v15, 0
	s_waitcnt lgkmcnt(0)
	v_lshl_add_u64 v[14:15], v[14:15], 1, s[12:13]
	global_store_short v[14:15], v12, off
	s_or_b64 exec, exec, s[6:7]
	s_and_saveexec_b64 s[6:7], s[0:1]
	s_cbranch_execz .LBB138_44
.LBB138_74:
	v_add_u32_e32 v14, v13, v6
	v_mov_b32_e32 v15, 0
	s_waitcnt lgkmcnt(0)
	v_lshl_add_u64 v[14:15], v[14:15], 1, s[12:13]
	global_store_short v[14:15], v11, off
	s_or_b64 exec, exec, s[6:7]
	s_and_saveexec_b64 s[6:7], s[2:3]
	s_cbranch_execz .LBB138_45
.LBB138_75:
	v_add_u32_e32 v14, v13, v7
	v_mov_b32_e32 v15, 0
	s_waitcnt lgkmcnt(0)
	v_lshl_add_u64 v[14:15], v[14:15], 1, s[12:13]
	global_store_short v[14:15], v10, off
	s_or_b64 exec, exec, s[6:7]
	s_and_saveexec_b64 s[6:7], s[4:5]
	s_cbranch_execnz .LBB138_46
	s_branch .LBB138_47
.LBB138_76:
	v_add_u32_e32 v14, v13, v5
	v_mov_b32_e32 v15, 0
	s_waitcnt lgkmcnt(0)
	v_lshl_add_u64 v[14:15], v[14:15], 1, s[12:13]
	global_store_short_d16_hi v[14:15], v12, off
	s_or_b64 exec, exec, s[6:7]
	s_and_saveexec_b64 s[6:7], s[0:1]
	s_cbranch_execz .LBB138_50
.LBB138_77:
	v_add_u32_e32 v14, v13, v6
	v_mov_b32_e32 v15, 0
	s_waitcnt lgkmcnt(0)
	v_lshl_add_u64 v[14:15], v[14:15], 1, s[12:13]
	global_store_short_d16_hi v[14:15], v11, off
	s_or_b64 exec, exec, s[6:7]
	s_and_saveexec_b64 s[6:7], s[2:3]
	s_cbranch_execz .LBB138_51
.LBB138_78:
	v_add_u32_e32 v14, v13, v7
	v_mov_b32_e32 v15, 0
	s_waitcnt lgkmcnt(0)
	v_lshl_add_u64 v[14:15], v[14:15], 1, s[12:13]
	global_store_short_d16_hi v[14:15], v10, off
	s_or_b64 exec, exec, s[6:7]
	s_and_saveexec_b64 s[6:7], s[4:5]
	s_cbranch_execnz .LBB138_52
	s_branch .LBB138_53
.LBB138_79:
	v_add_u32_e32 v10, v9, v5
	v_mov_b32_e32 v11, 0
	s_waitcnt lgkmcnt(0)
	v_lshl_add_u64 v[10:11], v[10:11], 1, s[12:13]
	global_store_short v[10:11], v3, off
	s_or_b64 exec, exec, s[6:7]
	s_and_saveexec_b64 s[6:7], s[0:1]
	s_cbranch_execz .LBB138_56
.LBB138_80:
	v_add_u32_e32 v10, v9, v6
	v_mov_b32_e32 v11, 0
	s_waitcnt lgkmcnt(0)
	v_lshl_add_u64 v[10:11], v[10:11], 1, s[12:13]
	global_store_short v[10:11], v2, off
	s_or_b64 exec, exec, s[6:7]
	s_and_saveexec_b64 s[6:7], s[2:3]
	s_cbranch_execz .LBB138_57
.LBB138_81:
	v_add_u32_e32 v10, v9, v7
	v_mov_b32_e32 v11, 0
	s_waitcnt lgkmcnt(0)
	v_lshl_add_u64 v[10:11], v[10:11], 1, s[12:13]
	global_store_short v[10:11], v1, off
	s_or_b64 exec, exec, s[6:7]
	s_and_saveexec_b64 s[6:7], s[4:5]
	s_cbranch_execnz .LBB138_58
	s_branch .LBB138_59
.LBB138_82:
	v_add_u32_e32 v10, v4, v5
	v_mov_b32_e32 v11, 0
	s_waitcnt lgkmcnt(0)
	v_lshl_add_u64 v[10:11], v[10:11], 1, s[12:13]
	global_store_short_d16_hi v[10:11], v3, off
	s_or_b64 exec, exec, s[6:7]
	s_and_saveexec_b64 s[6:7], s[0:1]
	s_cbranch_execz .LBB138_62
.LBB138_83:
	v_add_u32_e32 v10, v4, v6
	v_mov_b32_e32 v11, 0
	s_waitcnt lgkmcnt(0)
	v_lshl_add_u64 v[10:11], v[10:11], 1, s[12:13]
	global_store_short_d16_hi v[10:11], v2, off
	s_or_b64 exec, exec, s[6:7]
	s_and_saveexec_b64 s[0:1], s[2:3]
	s_cbranch_execz .LBB138_63
.LBB138_84:
	v_add_u32_e32 v2, v4, v7
	v_mov_b32_e32 v3, 0
	s_waitcnt lgkmcnt(0)
	v_lshl_add_u64 v[2:3], v[2:3], 1, s[12:13]
	global_store_short_d16_hi v[2:3], v1, off
	s_or_b64 exec, exec, s[0:1]
	s_and_b64 exec, exec, s[4:5]
	s_cbranch_execz .LBB138_3
.LBB138_85:
	v_add_u32_e32 v2, v4, v8
	v_mov_b32_e32 v3, 0
	s_waitcnt lgkmcnt(0)
	v_lshl_add_u64 v[2:3], v[2:3], 1, s[12:13]
	global_store_short_d16_hi v[2:3], v0, off
	s_endpgm
	.section	.rodata,"a",@progbits
	.p2align	6, 0x0
	.amdhsa_kernel _ZL12mul_mat_q4_0IN3c104HalfELb1EEvPKvS3_PT_iiiii
		.amdhsa_group_segment_fixed_size 30336
		.amdhsa_private_segment_fixed_size 0
		.amdhsa_kernarg_size 44
		.amdhsa_user_sgpr_count 2
		.amdhsa_user_sgpr_dispatch_ptr 0
		.amdhsa_user_sgpr_queue_ptr 0
		.amdhsa_user_sgpr_kernarg_segment_ptr 1
		.amdhsa_user_sgpr_dispatch_id 0
		.amdhsa_user_sgpr_kernarg_preload_length 0
		.amdhsa_user_sgpr_kernarg_preload_offset 0
		.amdhsa_user_sgpr_private_segment_size 0
		.amdhsa_uses_dynamic_stack 0
		.amdhsa_enable_private_segment 0
		.amdhsa_system_sgpr_workgroup_id_x 1
		.amdhsa_system_sgpr_workgroup_id_y 1
		.amdhsa_system_sgpr_workgroup_id_z 0
		.amdhsa_system_sgpr_workgroup_info 0
		.amdhsa_system_vgpr_workitem_id 1
		.amdhsa_next_free_vgpr 243
		.amdhsa_next_free_sgpr 96
		.amdhsa_accum_offset 244
		.amdhsa_reserve_vcc 1
		.amdhsa_float_round_mode_32 0
		.amdhsa_float_round_mode_16_64 0
		.amdhsa_float_denorm_mode_32 3
		.amdhsa_float_denorm_mode_16_64 3
		.amdhsa_dx10_clamp 1
		.amdhsa_ieee_mode 1
		.amdhsa_fp16_overflow 0
		.amdhsa_tg_split 0
		.amdhsa_exception_fp_ieee_invalid_op 0
		.amdhsa_exception_fp_denorm_src 0
		.amdhsa_exception_fp_ieee_div_zero 0
		.amdhsa_exception_fp_ieee_overflow 0
		.amdhsa_exception_fp_ieee_underflow 0
		.amdhsa_exception_fp_ieee_inexact 0
		.amdhsa_exception_int_div_zero 0
	.end_amdhsa_kernel
	.section	.text._ZL12mul_mat_q4_0IN3c104HalfELb1EEvPKvS3_PT_iiiii,"axG",@progbits,_ZL12mul_mat_q4_0IN3c104HalfELb1EEvPKvS3_PT_iiiii,comdat
.Lfunc_end138:
	.size	_ZL12mul_mat_q4_0IN3c104HalfELb1EEvPKvS3_PT_iiiii, .Lfunc_end138-_ZL12mul_mat_q4_0IN3c104HalfELb1EEvPKvS3_PT_iiiii
                                        ; -- End function
	.set _ZL12mul_mat_q4_0IN3c104HalfELb1EEvPKvS3_PT_iiiii.num_vgpr, 243
	.set _ZL12mul_mat_q4_0IN3c104HalfELb1EEvPKvS3_PT_iiiii.num_agpr, 0
	.set _ZL12mul_mat_q4_0IN3c104HalfELb1EEvPKvS3_PT_iiiii.numbered_sgpr, 18
	.set _ZL12mul_mat_q4_0IN3c104HalfELb1EEvPKvS3_PT_iiiii.num_named_barrier, 0
	.set _ZL12mul_mat_q4_0IN3c104HalfELb1EEvPKvS3_PT_iiiii.private_seg_size, 0
	.set _ZL12mul_mat_q4_0IN3c104HalfELb1EEvPKvS3_PT_iiiii.uses_vcc, 1
	.set _ZL12mul_mat_q4_0IN3c104HalfELb1EEvPKvS3_PT_iiiii.uses_flat_scratch, 0
	.set _ZL12mul_mat_q4_0IN3c104HalfELb1EEvPKvS3_PT_iiiii.has_dyn_sized_stack, 0
	.set _ZL12mul_mat_q4_0IN3c104HalfELb1EEvPKvS3_PT_iiiii.has_recursion, 0
	.set _ZL12mul_mat_q4_0IN3c104HalfELb1EEvPKvS3_PT_iiiii.has_indirect_call, 0
	.section	.AMDGPU.csdata,"",@progbits
; Kernel info:
; codeLenInByte = 9812
; TotalNumSgprs: 24
; NumVgprs: 243
; NumAgprs: 0
; TotalNumVgprs: 243
; ScratchSize: 0
; MemoryBound: 0
; FloatMode: 240
; IeeeMode: 1
; LDSByteSize: 30336 bytes/workgroup (compile time only)
; SGPRBlocks: 12
; VGPRBlocks: 30
; NumSGPRsForWavesPerEU: 102
; NumVGPRsForWavesPerEU: 243
; AccumOffset: 244
; Occupancy: 2
; WaveLimiterHint : 0
; COMPUTE_PGM_RSRC2:SCRATCH_EN: 0
; COMPUTE_PGM_RSRC2:USER_SGPR: 2
; COMPUTE_PGM_RSRC2:TRAP_HANDLER: 0
; COMPUTE_PGM_RSRC2:TGID_X_EN: 1
; COMPUTE_PGM_RSRC2:TGID_Y_EN: 1
; COMPUTE_PGM_RSRC2:TGID_Z_EN: 0
; COMPUTE_PGM_RSRC2:TIDIG_COMP_CNT: 1
; COMPUTE_PGM_RSRC3_GFX90A:ACCUM_OFFSET: 60
; COMPUTE_PGM_RSRC3_GFX90A:TG_SPLIT: 0
	.section	.text._ZL12mul_mat_q4_1IN3c104HalfELb0EEvPKvS3_PT_iiiii,"axG",@progbits,_ZL12mul_mat_q4_1IN3c104HalfELb0EEvPKvS3_PT_iiiii,comdat
	.globl	_ZL12mul_mat_q4_1IN3c104HalfELb0EEvPKvS3_PT_iiiii ; -- Begin function _ZL12mul_mat_q4_1IN3c104HalfELb0EEvPKvS3_PT_iiiii
	.p2align	8
	.type	_ZL12mul_mat_q4_1IN3c104HalfELb0EEvPKvS3_PT_iiiii,@function
_ZL12mul_mat_q4_1IN3c104HalfELb0EEvPKvS3_PT_iiiii: ; @_ZL12mul_mat_q4_1IN3c104HalfELb0EEvPKvS3_PT_iiiii
; %bb.0:
	s_load_dword s6, s[0:1], 0x18
	s_load_dwordx4 s[8:11], s[0:1], 0x20
	s_waitcnt lgkmcnt(0)
	s_lshl_b32 s11, s3, 6
	v_bfe_u32 v61, v0, 10, 10
	s_cmp_gt_i32 s6, 31
	s_cbranch_scc1 .LBB139_4
; %bb.1:
	v_bfe_u32 v4, v0, 10, 10
	v_and_b32_e32 v57, 0x3ff, v0
	v_add_u32_e32 v63, s11, v4
	s_load_dwordx2 s[12:13], s[0:1], 0x10
	s_lshl_b32 s4, s2, 7
	s_cbranch_execz .LBB139_5
; %bb.2:
	v_mov_b32_e32 v0, 0
	v_mov_b32_e32 v9, 0
	;; [unrolled: 1-line block ×16, first 2 shown]
	v_cmp_gt_u32_e32 vcc, s8, v63
	s_and_saveexec_b64 s[0:1], vcc
	s_cbranch_execnz .LBB139_15
.LBB139_3:
	s_endpgm
.LBB139_4:
                                        ; implicit-def: $vgpr4
                                        ; implicit-def: $vgpr57
                                        ; implicit-def: $vgpr63
	s_load_dwordx2 s[12:13], s[0:1], 0x10
	s_lshl_b32 s4, s2, 7
.LBB139_5:
	s_ashr_i32 s5, s6, 31
	s_lshr_b32 s5, s5, 27
	s_load_dwordx4 s[0:3], s[0:1], 0x0
	s_add_i32 s14, s6, s5
	s_ashr_i32 s6, s9, 31
	s_lshr_b32 s6, s6, 27
	s_ashr_i32 s5, s14, 5
	s_add_i32 s6, s9, s6
	s_ashr_i32 s15, s6, 5
	s_mul_i32 s6, s5, s4
	v_bfe_u32 v109, v0, 3, 7
	s_mul_hi_i32 s7, s6, 20
	s_mul_i32 s6, s6, 20
	v_and_b32_e32 v84, 7, v0
	v_lshl_add_u32 v2, v61, 2, v109
	s_waitcnt lgkmcnt(0)
	s_add_u32 s6, s0, s6
	v_and_b32_e32 v3, 0x7fc, v2
	v_lshlrev_b32_e32 v4, 2, v84
	s_movk_i32 s0, 0x6200
	v_add3_u32 v8, v3, v4, s0
	v_add_u32_e32 v3, 32, v2
	v_and_b32_e32 v57, 0x3ff, v0
	v_mul_lo_u32 v86, s5, v2
	v_lshlrev_b32_e32 v9, 5, v2
	v_and_b32_e32 v5, 0xffc, v3
	v_lshlrev_b32_e32 v11, 5, v3
	v_add_u32_e32 v3, 64, v2
	v_add_u32_e32 v2, 0x60, v2
	v_lshlrev_b32_e32 v1, 2, v57
	s_movk_i32 s16, 0x84
	v_add3_u32 v10, v5, v4, s0
	v_and_b32_e32 v5, 0xffc, v3
	v_lshlrev_b32_e32 v13, 5, v3
	v_and_b32_e32 v3, 0xffc, v2
	v_bfe_u32 v56, v0, 2, 8
	v_and_b32_e32 v58, 12, v1
	v_mad_u32_u24 v65, v61, s16, v1
	v_add3_u32 v12, v5, v4, s0
	v_add3_u32 v14, v3, v4, s0
	v_and_b32_e32 v6, 31, v0
	v_and_b32_e32 v4, 28, v1
	v_mov_b32_e32 v1, 0x4200
	v_lshl_or_b32 v1, v6, 2, v1
	v_lshl_add_u32 v6, v61, 3, v56
	v_and_b32_e32 v7, 63, v6
	s_addc_u32 s7, s1, s7
	s_add_i32 s0, s8, -1
	v_or_b32_e32 v16, s11, v7
	v_and_b32_e32 v6, 3, v0
	v_min_i32_e32 v16, s0, v16
	v_lshlrev_b32_e32 v15, 5, v2
	v_cvt_f64_i32_e32 v[2:3], s0
	v_mad_u64_u32 v[88:89], s[0:1], v16, s15, v[6:7]
	v_lshlrev_b32_e32 v6, 2, v6
	v_add_u32_e32 v63, s11, v61
	v_lshl_or_b32 v6, v7, 4, v6
	v_add_u32_e32 v89, 0x7280, v6
	v_cvt_f64_u32_e32 v[6:7], v63
	v_min_f64 v[6:7], v[6:7], v[2:3]
	v_cvt_i32_f64_e32 v6, v[6:7]
	v_mul_lo_u32 v117, s15, v6
	v_add_u32_e32 v6, 8, v63
	v_cvt_f64_u32_e32 v[6:7], v6
	v_min_f64 v[6:7], v[6:7], v[2:3]
	v_cvt_i32_f64_e32 v6, v[6:7]
	v_mul_lo_u32 v119, s15, v6
	;; [unrolled: 5-line block ×4, first 2 shown]
	v_add_u32_e32 v6, 32, v63
	v_cvt_f64_u32_e32 v[6:7], v6
	v_min_f64 v[6:7], v[6:7], v[2:3]
	v_mul_lo_u32 v60, s5, v61
	s_lshl_b32 s17, s5, 3
	v_cvt_i32_f64_e32 v6, v[6:7]
	v_add_u32_e32 v62, s17, v60
	v_mul_lo_u32 v156, s15, v6
	v_add_u32_e32 v6, 40, v63
	v_add_u32_e32 v64, s17, v62
	v_cvt_f64_u32_e32 v[6:7], v6
	v_add_u32_e32 v66, s17, v64
	v_min_f64 v[6:7], v[6:7], v[2:3]
	v_add_u32_e32 v68, s17, v66
	v_cvt_i32_f64_e32 v6, v[6:7]
	v_add_u32_e32 v70, s17, v68
	v_mul_lo_u32 v157, s15, v6
	v_add_u32_e32 v6, 48, v63
	v_add_u32_e32 v72, s17, v70
	v_cvt_f64_u32_e32 v[6:7], v6
	v_add_u32_e32 v74, s17, v72
	v_min_f64 v[6:7], v[6:7], v[2:3]
	v_add_u32_e32 v76, s17, v74
	v_cvt_i32_f64_e32 v6, v[6:7]
	v_add_u32_e32 v78, s17, v76
	v_mul_lo_u32 v158, s15, v6
	v_add_u32_e32 v6, 56, v63
	v_add_u32_e32 v80, s17, v78
	v_cvt_f64_u32_e32 v[6:7], v6
	v_mov_b32_e32 v59, 0
	v_add_u32_e32 v82, s17, v80
	v_min_f64 v[2:3], v[6:7], v[2:3]
	s_and_b32 s18, s14, 0xffffffe0
	v_mov_b32_e32 v5, v59
	v_cvt_i32_f64_e32 v2, v[2:3]
	v_add_u32_e32 v3, 32, v57
	v_add_u32_e32 v6, 64, v57
	;; [unrolled: 1-line block ×4, first 2 shown]
	v_lshlrev_b32_e32 v16, 7, v61
	v_lshrrev_b32_e32 v161, 3, v3
	v_lshl_add_u64 v[90:91], s[2:3], 0, v[4:5]
	v_lshlrev_b32_e32 v4, 5, v57
	v_and_b32_e32 v5, 0x1fc, v7
	v_and_b32_e32 v6, 0x1fc, v6
	;; [unrolled: 1-line block ×4, first 2 shown]
	v_add_u32_e32 v98, s17, v96
	v_add_u32_e32 v108, s18, v86
	;; [unrolled: 1-line block ×8, first 2 shown]
	v_mul_lo_u32 v159, s15, v2
	v_add_u32_e32 v2, 0x1c00, v16
	v_add_u32_e32 v5, v4, v5
	;; [unrolled: 1-line block ×5, first 2 shown]
	v_mov_b32_e32 v4, 0x7280
	v_mov_b32_e32 v92, v59
	;; [unrolled: 1-line block ×3, first 2 shown]
	v_add_u32_e32 v104, s17, v98
	v_add_u32_e32 v116, s18, v108
	;; [unrolled: 1-line block ×17, first 2 shown]
	s_add_i32 s9, s5, 3
	v_mul_u32_u24_e32 v160, 0x84, v57
	v_add_u32_e32 v162, 0x6e00, v5
	v_add_u32_e32 v163, 0x6a00, v6
	;; [unrolled: 1-line block ×5, first 2 shown]
	v_lshl_add_u32 v167, v61, 4, v4
	v_add_u32_e32 v168, v10, v11
	v_add_u32_e32 v169, 0x4200, v16
	;; [unrolled: 1-line block ×3, first 2 shown]
	v_mad_u32_u24 v171, v57, s16, 64
	v_add_u32_e32 v172, 0x6e10, v5
	v_add_u32_e32 v173, 0x6a10, v6
	;; [unrolled: 1-line block ×4, first 2 shown]
	s_mov_b32 s14, 0
	v_add_u32_e32 v176, v14, v15
	v_add_u32_e32 v177, v1, v16
	;; [unrolled: 1-line block ×11, first 2 shown]
	v_mov_b64_e32 v[110:111], v[92:93]
	v_mov_b64_e32 v[100:101], v[92:93]
	;; [unrolled: 1-line block ×15, first 2 shown]
	s_branch .LBB139_7
.LBB139_6:                              ;   in Loop: Header=BB139_7 Depth=1
	s_add_i32 s14, s14, 8
	s_add_i32 s9, s9, -8
	s_cmp_ge_i32 s14, s5
	s_cbranch_scc1 .LBB139_14
.LBB139_7:                              ; =>This Loop Header: Depth=1
                                        ;     Child Loop BB139_9 Depth 2
                                        ;     Child Loop BB139_12 Depth 2
	s_mul_i32 s0, s14, 20
	s_mul_hi_u32 s1, s14, 20
	s_add_u32 s0, s6, s0
	s_addc_u32 s1, s7, s1
	v_mad_u64_u32 v[0:1], s[16:17], v56, 20, s[0:1]
	v_mad_u64_u32 v[2:3], s[16:17], v60, 20, v[0:1]
	v_lshl_add_u64 v[2:3], v[2:3], 0, v[58:59]
	global_load_dword v2, v[2:3], off offset:4
	s_cmp_gt_u32 s9, 3
	s_waitcnt vmcnt(0)
	ds_write_b32 v65, v2
	v_mad_u64_u32 v[2:3], s[16:17], v62, 20, v[0:1]
	v_lshl_add_u64 v[2:3], v[2:3], 0, v[58:59]
	global_load_dword v2, v[2:3], off offset:4
	s_waitcnt vmcnt(0)
	ds_write_b32 v67, v2
	v_mad_u64_u32 v[2:3], s[16:17], v64, 20, v[0:1]
	v_lshl_add_u64 v[2:3], v[2:3], 0, v[58:59]
	global_load_dword v2, v[2:3], off offset:4
	s_waitcnt vmcnt(0)
	ds_write_b32 v69, v2
	v_mad_u64_u32 v[2:3], s[16:17], v66, 20, v[0:1]
	v_lshl_add_u64 v[2:3], v[2:3], 0, v[58:59]
	global_load_dword v2, v[2:3], off offset:4
	s_waitcnt vmcnt(0)
	ds_write_b32 v71, v2
	v_mad_u64_u32 v[2:3], s[16:17], v68, 20, v[0:1]
	v_lshl_add_u64 v[2:3], v[2:3], 0, v[58:59]
	global_load_dword v2, v[2:3], off offset:4
	s_waitcnt vmcnt(0)
	ds_write_b32 v73, v2
	v_mad_u64_u32 v[2:3], s[16:17], v70, 20, v[0:1]
	v_lshl_add_u64 v[2:3], v[2:3], 0, v[58:59]
	global_load_dword v2, v[2:3], off offset:4
	s_waitcnt vmcnt(0)
	ds_write_b32 v75, v2
	v_mad_u64_u32 v[2:3], s[16:17], v72, 20, v[0:1]
	v_lshl_add_u64 v[2:3], v[2:3], 0, v[58:59]
	global_load_dword v2, v[2:3], off offset:4
	s_waitcnt vmcnt(0)
	ds_write_b32 v77, v2
	v_mad_u64_u32 v[2:3], s[16:17], v74, 20, v[0:1]
	v_lshl_add_u64 v[2:3], v[2:3], 0, v[58:59]
	global_load_dword v2, v[2:3], off offset:4
	s_waitcnt vmcnt(0)
	ds_write_b32 v79, v2
	v_mad_u64_u32 v[2:3], s[16:17], v76, 20, v[0:1]
	v_lshl_add_u64 v[2:3], v[2:3], 0, v[58:59]
	global_load_dword v2, v[2:3], off offset:4
	s_waitcnt vmcnt(0)
	ds_write_b32 v81, v2
	v_mad_u64_u32 v[2:3], s[16:17], v78, 20, v[0:1]
	v_lshl_add_u64 v[2:3], v[2:3], 0, v[58:59]
	global_load_dword v2, v[2:3], off offset:4
	s_waitcnt vmcnt(0)
	ds_write_b32 v83, v2
	v_mad_u64_u32 v[2:3], s[16:17], v80, 20, v[0:1]
	v_lshl_add_u64 v[2:3], v[2:3], 0, v[58:59]
	global_load_dword v2, v[2:3], off offset:4
	s_waitcnt vmcnt(0)
	ds_write_b32 v85, v2
	v_mad_u64_u32 v[2:3], s[16:17], v82, 20, v[0:1]
	v_lshl_add_u64 v[2:3], v[2:3], 0, v[58:59]
	global_load_dword v2, v[2:3], off offset:4
	s_waitcnt vmcnt(0)
	ds_write_b32 v87, v2
	v_mad_u64_u32 v[2:3], s[16:17], v96, 20, v[0:1]
	v_lshl_add_u64 v[2:3], v[2:3], 0, v[58:59]
	global_load_dword v2, v[2:3], off offset:4
	s_waitcnt vmcnt(0)
	ds_write_b32 v97, v2
	v_mad_u64_u32 v[2:3], s[16:17], v98, 20, v[0:1]
	v_lshl_add_u64 v[2:3], v[2:3], 0, v[58:59]
	global_load_dword v2, v[2:3], off offset:4
	s_waitcnt vmcnt(0)
	ds_write_b32 v99, v2
	v_mad_u64_u32 v[2:3], s[16:17], v104, 20, v[0:1]
	v_mad_u64_u32 v[0:1], s[16:17], v106, 20, v[0:1]
	v_lshl_add_u64 v[2:3], v[2:3], 0, v[58:59]
	v_lshl_add_u64 v[0:1], v[0:1], 0, v[58:59]
	global_load_dword v2, v[2:3], off offset:4
	s_nop 0
	global_load_dword v0, v[0:1], off offset:4
	s_waitcnt vmcnt(1)
	ds_write_b32 v105, v2
	s_waitcnt vmcnt(0)
	ds_write_b32 v107, v0
	v_mad_u64_u32 v[0:1], s[0:1], v84, 20, s[0:1]
	v_mad_u64_u32 v[2:3], s[0:1], v86, 20, v[0:1]
	global_load_dword v2, v[2:3], off
	s_waitcnt vmcnt(0)
	ds_write_b32 v166, v2
	v_mad_u64_u32 v[2:3], s[0:1], v108, 20, v[0:1]
	global_load_dword v2, v[2:3], off
	s_waitcnt vmcnt(0)
	ds_write_b32 v168, v2
	v_mad_u64_u32 v[2:3], s[0:1], v116, 20, v[0:1]
	v_mad_u64_u32 v[0:1], s[0:1], v118, 20, v[0:1]
	global_load_dword v2, v[2:3], off
	s_nop 0
	global_load_dword v0, v[0:1], off
	s_waitcnt vmcnt(1)
	ds_write_b32 v170, v2
	s_waitcnt vmcnt(0)
	ds_write_b32 v176, v0
	s_cbranch_scc0 .LBB139_6
; %bb.8:                                ;   in Loop: Header=BB139_7 Depth=1
	v_add_u32_e32 v2, s14, v109
	v_add_u32_e32 v0, v2, v117
	v_mad_i64_i32 v[0:1], s[0:1], v0, 36, v[90:91]
	global_load_dword v0, v[0:1], off offset:4
	v_add_u32_e32 v185, s14, v88
	v_mov_b32_e32 v186, v169
	v_mov_b32_e32 v187, v167
	;; [unrolled: 1-line block ×7, first 2 shown]
	s_waitcnt vmcnt(0)
	ds_write_b32 v177, v0
	v_add_u32_e32 v0, v2, v119
	v_mad_i64_i32 v[0:1], s[0:1], v0, 36, v[90:91]
	global_load_dword v0, v[0:1], off offset:4
	s_waitcnt vmcnt(0)
	ds_write_b32 v178, v0
	v_add_u32_e32 v0, v2, v154
	v_mad_i64_i32 v[0:1], s[0:1], v0, 36, v[90:91]
	global_load_dword v0, v[0:1], off offset:4
	;; [unrolled: 5-line block ×7, first 2 shown]
	s_waitcnt vmcnt(0)
	ds_write_b32 v184, v0
	v_mad_u64_u32 v[0:1], s[0:1], v185, 36, s[2:3]
	global_load_dword v0, v[0:1], off
	s_mov_b32 s0, -4
	s_waitcnt vmcnt(0)
	ds_write_b32 v89, v0
	s_waitcnt lgkmcnt(0)
	s_barrier
.LBB139_9:                              ;   Parent Loop BB139_7 Depth=1
                                        ; =>  This Inner Loop Header: Depth=2
	ds_read_b128 v[40:43], v186
	ds_read_b128 v[0:3], v186 offset:16
	ds_read2_b32 v[138:139], v192 offset0:2 offset1:3
	v_add_u32_e32 v140, 0x1080, v192
	v_add_u32_e32 v141, 0x1088, v192
	v_add_u32_e32 v142, 0x2100, v192
	v_add_u32_e32 v143, 0x2108, v192
	v_add_u32_e32 v144, 0x3180, v192
	ds_read2_b32 v[146:147], v192 offset1:1
	ds_read_b32 v148, v191
	v_add_u32_e32 v145, 0x3188, v192
	ds_read_b128 v[28:31], v186 offset:1024
	ds_read_b128 v[8:11], v186 offset:1040
	;; [unrolled: 1-line block ×12, first 2 shown]
	ds_read2_b32 v[152:153], v140 offset1:1
	ds_read2_b32 v[140:141], v141 offset1:1
	;; [unrolled: 1-line block ×6, first 2 shown]
	s_waitcnt lgkmcnt(14)
	v_and_b32_e32 v149, 0xf0f0f0f, v147
	v_lshrrev_b32_e32 v147, 4, v147
	v_lshrrev_b32_e32 v220, 4, v138
	v_mov_b32_e32 v193, 0
	v_mov_b32_e32 v194, 0
	;; [unrolled: 1-line block ×4, first 2 shown]
	v_and_b32_e32 v237, 0xf0f0f0f, v146
	v_lshrrev_b32_e32 v150, 4, v146
	v_and_b32_e32 v151, 0xf0f0f0f, v147
	v_and_b32_e32 v147, 0xf0f0f0f, v220
	s_waitcnt lgkmcnt(5)
	v_and_b32_e32 v224, 0xf0f0f0f, v152
	v_lshrrev_b32_e32 v220, 4, v152
	s_waitcnt lgkmcnt(3)
	v_and_b32_e32 v227, 0xf0f0f0f, v218
	v_lshrrev_b32_e32 v218, 4, v218
	;; [unrolled: 3-line block ×3, first 2 shown]
	v_and_b32_e32 v223, 0xf0f0f0f, v150
	v_dot4c_i32_i8_e32 v193, v237, v40
	v_and_b32_e32 v233, 0xf0f0f0f, v220
	v_dot4c_i32_i8_e32 v194, v224, v40
	;; [unrolled: 2-line block ×4, first 2 shown]
	v_mov_b32_e32 v197, 0
	v_mov_b32_e32 v198, 0
	v_mov_b32_e32 v199, 0
	v_mov_b32_e32 v200, 0
	v_and_b32_e32 v152, 0xf0f0f0f, v153
	v_lshrrev_b32_e32 v225, 4, v153
	v_lshrrev_b32_e32 v232, 4, v140
	v_and_b32_e32 v221, 0xf0f0f0f, v219
	v_lshrrev_b32_e32 v219, 4, v219
	v_lshrrev_b32_e32 v234, 4, v142
	v_and_b32_e32 v226, 0xf0f0f0f, v229
	v_lshrrev_b32_e32 v229, 4, v229
	v_dot4c_i32_i8_e32 v193, v223, v0
	v_dot4c_i32_i8_e32 v194, v233, v0
	;; [unrolled: 1-line block ×4, first 2 shown]
	v_and_b32_e32 v230, 0xf0f0f0f, v225
	v_and_b32_e32 v225, 0xf0f0f0f, v232
	;; [unrolled: 1-line block ×5, first 2 shown]
	v_dot4c_i32_i8_e32 v193, v149, v41
	v_dot4c_i32_i8_e32 v194, v152, v41
	;; [unrolled: 1-line block ×8, first 2 shown]
	v_and_b32_e32 v146, 0xf0f0f0f, v138
	v_and_b32_e32 v150, 0xf0f0f0f, v140
	;; [unrolled: 1-line block ×3, first 2 shown]
	s_waitcnt lgkmcnt(0)
	v_and_b32_e32 v222, 0xf0f0f0f, v144
	v_lshrrev_b32_e32 v238, 4, v144
	v_dot4c_i32_i8_e32 v193, v151, v1
	v_dot4c_i32_i8_e32 v194, v230, v1
	;; [unrolled: 1-line block ×8, first 2 shown]
	v_mov_b32_e32 v201, 0
	v_mov_b32_e32 v202, 0
	;; [unrolled: 1-line block ×8, first 2 shown]
	v_and_b32_e32 v229, 0xf0f0f0f, v238
	v_dot4c_i32_i8_e32 v193, v146, v42
	v_dot4c_i32_i8_e32 v194, v150, v42
	;; [unrolled: 1-line block ×12, first 2 shown]
	ds_read_b32 v2, v188
	v_dot4c_i32_i8_e32 v197, v151, v9
	v_dot4c_i32_i8_e32 v198, v230, v9
	;; [unrolled: 1-line block ×4, first 2 shown]
	ds_read_b32 v8, v189
	ds_read_b32 v9, v190
	ds_read2_b32 v[0:1], v187 offset1:32
	v_dot4c_i32_i8_e32 v201, v237, v32
	v_dot4c_i32_i8_e32 v202, v224, v32
	;; [unrolled: 1-line block ×32, first 2 shown]
	v_mov_b32_e32 v209, 0
	v_mov_b32_e32 v210, 0
	v_mov_b32_e32 v211, 0
	v_mov_b32_e32 v212, 0
	v_dot4c_i32_i8_e32 v197, v146, v30
	v_dot4c_i32_i8_e32 v198, v150, v30
	;; [unrolled: 1-line block ×12, first 2 shown]
	v_mov_b32_e32 v213, 0
	v_mov_b32_e32 v214, 0
	;; [unrolled: 1-line block ×4, first 2 shown]
	v_dot4c_i32_i8_e32 v197, v147, v10
	v_dot4c_i32_i8_e32 v198, v225, v10
	;; [unrolled: 1-line block ×8, first 2 shown]
	s_waitcnt lgkmcnt(0)
	v_pk_mul_f16 v10, v0, v2
	v_pk_mul_f16 v20, v0, v8
	;; [unrolled: 1-line block ×4, first 2 shown]
	v_dot4c_i32_i8_e32 v205, v147, v18
	v_dot4c_i32_i8_e32 v206, v225, v18
	;; [unrolled: 1-line block ×4, first 2 shown]
	v_pk_mul_f16 v16, v2, v1
	v_pk_mul_f16 v18, v8, v1
	;; [unrolled: 1-line block ×4, first 2 shown]
	ds_read2_b32 v[0:1], v187 offset0:64 offset1:96
	v_dot4c_i32_i8_e32 v209, v237, v44
	v_dot4c_i32_i8_e32 v210, v224, v44
	;; [unrolled: 1-line block ×12, first 2 shown]
	v_mov_b32_e32 v217, 0
	v_mov_b32_e32 v218, 0
	;; [unrolled: 1-line block ×4, first 2 shown]
	v_dot4c_i32_i8_e32 v209, v149, v45
	v_dot4c_i32_i8_e32 v210, v152, v45
	;; [unrolled: 1-line block ×20, first 2 shown]
	v_and_b32_e32 v138, 0xf0f0f0f, v139
	v_and_b32_e32 v140, 0xf0f0f0f, v141
	;; [unrolled: 1-line block ×4, first 2 shown]
	v_dot4c_i32_i8_e32 v209, v146, v46
	v_dot4c_i32_i8_e32 v210, v150, v46
	;; [unrolled: 1-line block ×24, first 2 shown]
	s_waitcnt lgkmcnt(0)
	v_pk_mul_f16 v30, v2, v0
	v_pk_mul_f16 v31, v8, v0
	v_dot4c_i32_i8_e32 v213, v146, v50
	v_dot4c_i32_i8_e32 v214, v150, v50
	v_dot4c_i32_i8_e32 v215, v153, v50
	v_dot4c_i32_i8_e32 v216, v222, v50
	v_pk_mul_f16 v36, v8, v1
	v_dot4c_i32_i8_e32 v217, v149, v53
	v_dot4c_i32_i8_e32 v218, v152, v53
	;; [unrolled: 1-line block ×4, first 2 shown]
	ds_read_b128 v[42:45], v186 offset:7168
	v_dot4c_i32_i8_e32 v201, v138, v35
	v_dot4c_i32_i8_e32 v202, v140, v35
	v_dot4c_i32_i8_e32 v203, v142, v35
	v_dot4c_i32_i8_e32 v204, v144, v35
	v_dot4c_i32_i8_e32 v209, v138, v47
	v_dot4c_i32_i8_e32 v210, v140, v47
	v_dot4c_i32_i8_e32 v211, v142, v47
	v_dot4c_i32_i8_e32 v212, v144, v47
	v_pk_mul_f16 v46, v9, v0
	v_pk_mul_f16 v238, v148, v0
	v_dot4c_i32_i8_e32 v213, v147, v14
	v_dot4c_i32_i8_e32 v214, v225, v14
	;; [unrolled: 1-line block ×4, first 2 shown]
	v_pk_mul_f16 v14, v2, v1
	v_pk_mul_f16 v47, v9, v1
	;; [unrolled: 1-line block ×3, first 2 shown]
	ds_read2_b32 v[0:1], v187 offset0:128 offset1:160
	v_dot4c_i32_i8_e32 v217, v151, v25
	v_dot4c_i32_i8_e32 v218, v230, v25
	;; [unrolled: 1-line block ×4, first 2 shown]
	v_cvt_f32_f16_e32 v25, v29
	v_cvt_f32_f16_e32 v24, v28
	v_cvt_f32_f16_sdwa v33, v29 dst_sel:DWORD dst_unused:UNUSED_PAD src0_sel:WORD_1
	v_cvt_f32_f16_sdwa v32, v28 dst_sel:DWORD dst_unused:UNUSED_PAD src0_sel:WORD_1
	v_cvt_f32_f16_e32 v38, v30
	v_cvt_f32_f16_sdwa v40, v30 dst_sel:DWORD dst_unused:UNUSED_PAD src0_sel:WORD_1
	v_cvt_f32_f16_e32 v35, v36
	v_cvt_f32_f16_e32 v34, v31
	v_cvt_f32_f16_sdwa v37, v36 dst_sel:DWORD dst_unused:UNUSED_PAD src0_sel:WORD_1
	v_cvt_f32_f16_sdwa v36, v31 dst_sel:DWORD dst_unused:UNUSED_PAD src0_sel:WORD_1
	ds_read_b128 v[28:31], v186 offset:7184
	v_mov_b32_e32 v6, 0
	v_dot4c_i32_i8_e32 v217, v146, v54
	v_dot4c_i32_i8_e32 v218, v150, v54
	;; [unrolled: 1-line block ×4, first 2 shown]
	s_waitcnt lgkmcnt(2)
	v_dot4c_i32_i8_e32 v6, v237, v42
	v_dot4c_i32_i8_e32 v205, v138, v39
	v_dot4c_i32_i8_e32 v206, v140, v39
	v_dot4c_i32_i8_e32 v207, v142, v39
	v_dot4c_i32_i8_e32 v208, v144, v39
	v_dot4c_i32_i8_e32 v213, v138, v51
	v_dot4c_i32_i8_e32 v214, v140, v51
	v_dot4c_i32_i8_e32 v215, v142, v51
	v_dot4c_i32_i8_e32 v216, v144, v51
	v_dot4c_i32_i8_e32 v217, v147, v26
	v_dot4c_i32_i8_e32 v218, v225, v26
	v_dot4c_i32_i8_e32 v219, v228, v26
	v_dot4c_i32_i8_e32 v220, v229, v26
	s_waitcnt lgkmcnt(1)
	v_pk_mul_f16 v50, v2, v0
	v_pk_mul_f16 v52, v8, v0
	;; [unrolled: 1-line block ×8, first 2 shown]
	ds_read2_b32 v[0:1], v187 offset0:192 offset1:224
	v_cvt_f32_f16_e32 v39, v14
	v_cvt_f32_f16_sdwa v41, v14 dst_sel:DWORD dst_unused:UNUSED_PAD src0_sel:WORD_1
	s_waitcnt lgkmcnt(1)
	v_dot4c_i32_i8_e32 v6, v223, v28
	v_mov_b32_e32 v14, 0
	v_mov_b32_e32 v26, 0
	;; [unrolled: 1-line block ×3, first 2 shown]
	v_dot4c_i32_i8_e32 v14, v224, v42
	v_dot4c_i32_i8_e32 v26, v227, v42
	;; [unrolled: 1-line block ×15, first 2 shown]
	s_waitcnt lgkmcnt(0)
	v_pk_mul_f16 v243, v2, v0
	v_pk_mul_f16 v244, v2, v1
	v_lshrrev_b32_e32 v2, 4, v139
	v_dot4c_i32_i8_e32 v6, v147, v30
	v_dot4c_i32_i8_e32 v14, v150, v44
	v_dot4c_i32_i8_e32 v26, v153, v44
	v_dot4c_i32_i8_e32 v223, v222, v44
	v_dot4c_i32_i8_e32 v217, v138, v55
	v_dot4c_i32_i8_e32 v218, v140, v55
	v_dot4c_i32_i8_e32 v219, v142, v55
	v_dot4c_i32_i8_e32 v220, v144, v55
	v_lshrrev_b32_e32 v54, 4, v141
	v_lshrrev_b32_e32 v55, 4, v143
	v_lshrrev_b32_e32 v139, 4, v145
	v_dot4c_i32_i8_e32 v6, v138, v45
	v_dot4c_i32_i8_e32 v14, v225, v30
	;; [unrolled: 1-line block ×4, first 2 shown]
	v_and_b32_e32 v224, 0xf0f0f0f, v2
	v_dot4c_i32_i8_e32 v14, v140, v45
	v_dot4c_i32_i8_e32 v26, v142, v45
	;; [unrolled: 1-line block ×3, first 2 shown]
	v_and_b32_e32 v30, 0xf0f0f0f, v54
	v_and_b32_e32 v221, 0xf0f0f0f, v55
	;; [unrolled: 1-line block ×3, first 2 shown]
	v_dot4c_i32_i8_e32 v193, v224, v3
	v_dot4c_i32_i8_e32 v197, v224, v11
	;; [unrolled: 1-line block ×6, first 2 shown]
	v_pk_mul_f16 v245, v8, v0
	v_pk_mul_f16 v246, v8, v1
	v_pk_mul_f16 v247, v9, v0
	v_pk_mul_f16 v248, v9, v1
	v_pk_mul_f16 v249, v148, v0
	v_pk_mul_f16 v250, v148, v1
	v_cvt_f32_f16_e32 v5, v16
	v_cvt_f32_f16_e32 v4, v10
	v_cvt_f32_f16_sdwa v17, v16 dst_sel:DWORD dst_unused:UNUSED_PAD src0_sel:WORD_1
	v_cvt_f32_f16_sdwa v16, v10 dst_sel:DWORD dst_unused:UNUSED_PAD src0_sel:WORD_1
	v_dot4c_i32_i8_e32 v194, v30, v3
	v_dot4c_i32_i8_e32 v195, v221, v3
	;; [unrolled: 1-line block ×6, first 2 shown]
	v_cvt_f32_f16_e32 v149, v244
	v_cvt_f32_f16_e32 v148, v243
	v_cvt_f32_f16_sdwa v151, v244 dst_sel:DWORD dst_unused:UNUSED_PAD src0_sel:WORD_1
	v_cvt_f32_f16_sdwa v150, v243 dst_sel:DWORD dst_unused:UNUSED_PAD src0_sel:WORD_1
	v_dot4c_i32_i8_e32 v202, v30, v23
	v_dot4c_i32_i8_e32 v203, v221, v23
	;; [unrolled: 1-line block ×20, first 2 shown]
	v_cvt_f32_i32_e32 v31, v197
	v_cvt_f32_i32_e32 v30, v193
	;; [unrolled: 1-line block ×6, first 2 shown]
	v_cvt_f32_f16_e32 v1, v18
	v_cvt_f32_f16_e32 v0, v20
	v_cvt_f32_f16_sdwa v9, v18 dst_sel:DWORD dst_unused:UNUSED_PAD src0_sel:WORD_1
	v_cvt_f32_f16_sdwa v8, v20 dst_sel:DWORD dst_unused:UNUSED_PAD src0_sel:WORD_1
	v_cvt_f32_f16_e32 v13, v21
	v_cvt_f32_f16_e32 v12, v22
	v_cvt_f32_f16_sdwa v21, v21 dst_sel:DWORD dst_unused:UNUSED_PAD src0_sel:WORD_1
	v_cvt_f32_f16_sdwa v20, v22 dst_sel:DWORD dst_unused:UNUSED_PAD src0_sel:WORD_1
	;; [unrolled: 4-line block ×11, first 2 shown]
	v_cvt_f32_i32_e32 v227, v213
	v_cvt_f32_i32_e32 v226, v209
	;; [unrolled: 1-line block ×26, first 2 shown]
	v_pk_fma_f32 v[4:5], v[4:5], v[30:31], v[16:17]
	v_pk_fma_f32 v[16:17], v[224:225], v[38:39], v[40:41]
	;; [unrolled: 1-line block ×3, first 2 shown]
	s_add_i32 s0, s0, 4
	v_pk_fma_f32 v[30:31], v[226:227], v[48:49], v[50:51]
	v_pk_add_f32 v[92:93], v[92:93], v[4:5]
	v_pk_fma_f32 v[0:1], v[0:1], v[228:229], v[8:9]
	v_pk_fma_f32 v[4:5], v[12:13], v[198:199], v[20:21]
	;; [unrolled: 1-line block ×3, first 2 shown]
	v_pk_add_f32 v[110:111], v[110:111], v[16:17]
	v_pk_fma_f32 v[12:13], v[196:197], v[34:35], v[36:37]
	v_pk_fma_f32 v[16:17], v[200:201], v[28:29], v[42:43]
	;; [unrolled: 1-line block ×6, first 2 shown]
	v_pk_add_f32 v[94:95], v[94:95], v[6:7]
	v_pk_fma_f32 v[6:7], v[14:15], v[22:23], v[142:143]
	v_pk_fma_f32 v[14:15], v[26:27], v[144:145], v[146:147]
	;; [unrolled: 1-line block ×3, first 2 shown]
	v_add_u32_e32 v192, 16, v192
	v_add_u32_e32 v191, 4, v191
	;; [unrolled: 1-line block ×7, first 2 shown]
	s_cmp_lt_u32 s0, 12
	v_pk_add_f32 v[100:101], v[100:101], v[30:31]
	v_pk_add_f32 v[126:127], v[126:127], v[0:1]
	;; [unrolled: 1-line block ×13, first 2 shown]
	s_cbranch_scc1 .LBB139_9
; %bb.10:                               ;   in Loop: Header=BB139_7 Depth=1
	s_and_b32 s0, s9, -4
	s_cmp_eq_u32 s0, 4
	s_barrier
	s_cbranch_scc1 .LBB139_6
; %bb.11:                               ;   in Loop: Header=BB139_7 Depth=1
	v_add_u32_e32 v14, s14, v161
	v_add_u32_e32 v0, v14, v117
	;; [unrolled: 1-line block ×6, first 2 shown]
	v_mad_i64_i32 v[0:1], s[0:1], v0, 36, v[90:91]
	v_mad_i64_i32 v[2:3], s[0:1], v2, 36, v[90:91]
	;; [unrolled: 1-line block ×4, first 2 shown]
	v_add_u32_e32 v8, v14, v156
	v_add_u32_e32 v10, v14, v157
	;; [unrolled: 1-line block ×4, first 2 shown]
	v_mad_u64_u32 v[16:17], s[0:1], v16, 36, s[2:3]
	v_mad_i64_i32 v[8:9], s[0:1], v8, 36, v[90:91]
	v_mad_i64_i32 v[10:11], s[0:1], v10, 36, v[90:91]
	;; [unrolled: 1-line block ×4, first 2 shown]
	global_load_dword v16, v[16:17], off
	s_nop 0
	global_load_dword v0, v[0:1], off offset:4
	s_nop 0
	global_load_dword v1, v[2:3], off offset:4
	;; [unrolled: 2-line block ×3, first 2 shown]
	global_load_dword v3, v[6:7], off offset:4
	s_nop 0
	global_load_dword v4, v[8:9], off offset:4
	global_load_dword v5, v[10:11], off offset:4
                                        ; kill: killed $vgpr8_vgpr9
                                        ; kill: killed $vgpr10_vgpr11
	global_load_dword v6, v[12:13], off offset:4
	global_load_dword v7, v[14:15], off offset:4
	s_mov_b32 s0, 12
	v_mov_b32_e32 v10, v167
	v_mov_b32_e32 v11, v169
	;; [unrolled: 1-line block ×6, first 2 shown]
	s_waitcnt vmcnt(8)
	ds_write_b32 v89, v16
	s_waitcnt vmcnt(7)
	ds_write_b32 v177, v0
	;; [unrolled: 2-line block ×9, first 2 shown]
	v_mov_b32_e32 v16, v171
	s_waitcnt lgkmcnt(0)
	s_barrier
.LBB139_12:                             ;   Parent Loop BB139_7 Depth=1
                                        ; =>  This Inner Loop Header: Depth=2
	ds_read_b128 v[0:3], v11
	ds_read_b128 v[4:7], v11 offset:16
	ds_read2_b32 v[8:9], v10 offset1:32
	ds_read_b32 v17, v12
	ds_read2_b32 v[22:23], v16 offset1:1
	ds_read2_b32 v[24:25], v16 offset0:2 offset1:3
	v_add_u32_e32 v36, 0x2108, v16
	v_add_u32_e32 v41, 0x3180, v16
	v_mov_b32_e32 v53, 0
	s_waitcnt lgkmcnt(1)
	v_lshrrev_b32_e32 v20, 4, v23
	v_and_b32_e32 v18, 0xf0f0f0f, v22
	v_lshrrev_b32_e32 v19, 4, v22
	v_and_b32_e32 v22, 0xf0f0f0f, v20
	s_waitcnt lgkmcnt(0)
	v_lshrrev_b32_e32 v20, 4, v24
	v_and_b32_e32 v31, 0xf0f0f0f, v20
	v_lshrrev_b32_e32 v20, 4, v25
	v_and_b32_e32 v21, 0xf0f0f0f, v23
	v_and_b32_e32 v30, 0xf0f0f0f, v24
	;; [unrolled: 1-line block ×4, first 2 shown]
	v_add_u32_e32 v23, 0x1080, v16
	ds_read_b32 v20, v13
	ds_read2_b32 v[24:25], v23 offset1:1
	v_mov_b32_e32 v142, 0
	v_mov_b32_e32 v144, 0
	;; [unrolled: 1-line block ×3, first 2 shown]
	v_and_b32_e32 v19, 0xf0f0f0f, v19
	s_waitcnt lgkmcnt(0)
	v_and_b32_e32 v26, 0xf0f0f0f, v25
	v_lshrrev_b32_e32 v25, 4, v25
	v_and_b32_e32 v27, 0xf0f0f0f, v25
	v_add_u32_e32 v25, 0x1088, v16
	ds_read2_b32 v[28:29], v25 offset1:1
	v_and_b32_e32 v23, 0xf0f0f0f, v24
	v_lshrrev_b32_e32 v24, 4, v24
	v_dot4c_i32_i8_e32 v53, v18, v0
	v_and_b32_e32 v24, 0xf0f0f0f, v24
	s_waitcnt lgkmcnt(0)
	v_lshrrev_b32_e32 v25, 4, v28
	v_and_b32_e32 v38, 0xf0f0f0f, v25
	v_lshrrev_b32_e32 v25, 4, v29
	v_and_b32_e32 v37, 0xf0f0f0f, v28
	v_and_b32_e32 v40, 0xf0f0f0f, v25
	v_add_u32_e32 v28, 0x2100, v16
	ds_read_b32 v25, v14
	ds_read2_b32 v[34:35], v28 offset1:1
	ds_read2_b32 v[48:49], v36 offset1:1
	v_and_b32_e32 v39, 0xf0f0f0f, v29
	v_dot4c_i32_i8_e32 v142, v23, v0
	v_dot4c_i32_i8_e32 v53, v19, v4
	s_waitcnt lgkmcnt(1)
	v_and_b32_e32 v28, 0xf0f0f0f, v34
	s_waitcnt lgkmcnt(0)
	v_lshrrev_b32_e32 v36, 4, v48
	v_and_b32_e32 v45, 0xf0f0f0f, v36
	v_lshrrev_b32_e32 v36, 4, v49
	v_and_b32_e32 v43, 0xf0f0f0f, v48
	v_and_b32_e32 v48, 0xf0f0f0f, v36
	ds_read_b32 v36, v15
	ds_read2_b32 v[50:51], v41 offset1:1
	v_lshrrev_b32_e32 v29, 4, v34
	v_and_b32_e32 v29, 0xf0f0f0f, v29
	v_dot4c_i32_i8_e32 v144, v28, v0
	v_dot4c_i32_i8_e32 v142, v24, v4
	s_waitcnt lgkmcnt(0)
	v_and_b32_e32 v41, 0xf0f0f0f, v50
	v_lshrrev_b32_e32 v42, 4, v50
	v_and_b32_e32 v42, 0xf0f0f0f, v42
	v_dot4c_i32_i8_e32 v146, v41, v0
	v_lshrrev_b32_e32 v0, 4, v51
	v_dot4c_i32_i8_e32 v144, v29, v4
	v_and_b32_e32 v34, 0xf0f0f0f, v35
	v_dot4c_i32_i8_e32 v146, v42, v4
	v_and_b32_e32 v44, 0xf0f0f0f, v51
	v_and_b32_e32 v46, 0xf0f0f0f, v0
	v_add_u32_e32 v0, 0x3188, v16
	v_dot4c_i32_i8_e32 v53, v21, v1
	v_dot4c_i32_i8_e32 v142, v26, v1
	;; [unrolled: 1-line block ×4, first 2 shown]
	ds_read2_b32 v[0:1], v0 offset1:1
	v_lshrrev_b32_e32 v35, 4, v35
	v_and_b32_e32 v35, 0xf0f0f0f, v35
	v_dot4c_i32_i8_e32 v53, v22, v5
	v_dot4c_i32_i8_e32 v142, v27, v5
	v_dot4c_i32_i8_e32 v144, v35, v5
	v_and_b32_e32 v47, 0xf0f0f0f, v49
	v_dot4c_i32_i8_e32 v146, v46, v5
	s_waitcnt lgkmcnt(0)
	v_and_b32_e32 v49, 0xf0f0f0f, v0
	v_lshrrev_b32_e32 v0, 4, v0
	v_dot4c_i32_i8_e32 v53, v30, v2
	v_dot4c_i32_i8_e32 v142, v37, v2
	;; [unrolled: 1-line block ×3, first 2 shown]
	v_and_b32_e32 v50, 0xf0f0f0f, v0
	v_dot4c_i32_i8_e32 v146, v49, v2
	v_dot4c_i32_i8_e32 v53, v31, v6
	;; [unrolled: 1-line block ×5, first 2 shown]
	v_and_b32_e32 v51, 0xf0f0f0f, v1
	v_lshrrev_b32_e32 v0, 4, v1
	v_dot4c_i32_i8_e32 v53, v32, v3
	v_dot4c_i32_i8_e32 v142, v39, v3
	;; [unrolled: 1-line block ×3, first 2 shown]
	v_and_b32_e32 v52, 0xf0f0f0f, v0
	v_dot4c_i32_i8_e32 v146, v51, v3
	v_dot4c_i32_i8_e32 v53, v33, v7
	;; [unrolled: 1-line block ×5, first 2 shown]
	ds_read_b128 v[0:3], v11 offset:1024
	ds_read_b128 v[4:7], v11 offset:1040
	v_mov_b32_e32 v140, 0
	v_pk_mul_f16 v138, v8, v17
	v_pk_mul_f16 v139, v17, v9
	s_waitcnt lgkmcnt(1)
	v_dot4c_i32_i8_e32 v140, v18, v0
	s_waitcnt lgkmcnt(0)
	v_dot4c_i32_i8_e32 v140, v19, v4
	v_dot4c_i32_i8_e32 v140, v21, v1
	;; [unrolled: 1-line block ×7, first 2 shown]
	v_cvt_f32_f16_e32 v55, v139
	v_cvt_f32_f16_e32 v54, v138
	v_cvt_f32_f16_sdwa v139, v139 dst_sel:DWORD dst_unused:UNUSED_PAD src0_sel:WORD_1
	v_cvt_f32_i32_e32 v141, v140
	v_cvt_f32_i32_e32 v140, v53
	v_mov_b32_e32 v53, 0
	v_dot4c_i32_i8_e32 v53, v23, v0
	v_dot4c_i32_i8_e32 v53, v24, v4
	;; [unrolled: 1-line block ×4, first 2 shown]
	v_cvt_f32_f16_sdwa v138, v138 dst_sel:DWORD dst_unused:UNUSED_PAD src0_sel:WORD_1
	v_dot4c_i32_i8_e32 v53, v37, v2
	v_dot4c_i32_i8_e32 v53, v38, v6
	v_dot4c_i32_i8_e32 v53, v39, v3
	v_dot4c_i32_i8_e32 v53, v40, v7
	v_pk_fma_f32 v[54:55], v[54:55], v[140:141], v[138:139]
	v_pk_mul_f16 v143, v8, v20
	v_pk_mul_f16 v138, v20, v9
	v_cvt_f32_i32_e32 v141, v53
	v_mov_b32_e32 v53, 0
	v_dot4c_i32_i8_e32 v53, v28, v0
	v_dot4c_i32_i8_e32 v53, v29, v4
	;; [unrolled: 1-line block ×4, first 2 shown]
	v_pk_add_f32 v[92:93], v[92:93], v[54:55]
	v_cvt_f32_f16_e32 v55, v138
	v_cvt_f32_f16_e32 v54, v143
	v_cvt_f32_f16_sdwa v139, v138 dst_sel:DWORD dst_unused:UNUSED_PAD src0_sel:WORD_1
	v_cvt_f32_f16_sdwa v138, v143 dst_sel:DWORD dst_unused:UNUSED_PAD src0_sel:WORD_1
	v_cvt_f32_i32_e32 v140, v142
	v_dot4c_i32_i8_e32 v53, v43, v2
	v_dot4c_i32_i8_e32 v53, v45, v6
	;; [unrolled: 1-line block ×4, first 2 shown]
	v_pk_fma_f32 v[54:55], v[54:55], v[140:141], v[138:139]
	v_pk_mul_f16 v145, v8, v25
	v_pk_mul_f16 v8, v8, v36
	v_cvt_f32_i32_e32 v141, v53
	v_mov_b32_e32 v53, 0
	v_dot4c_i32_i8_e32 v53, v41, v0
	v_dot4c_i32_i8_e32 v53, v42, v4
	;; [unrolled: 1-line block ×8, first 2 shown]
	v_pk_mul_f16 v2, v36, v9
	v_cvt_f32_f16_e32 v0, v8
	v_cvt_f32_f16_e32 v1, v2
	v_cvt_f32_f16_sdwa v3, v2 dst_sel:DWORD dst_unused:UNUSED_PAD src0_sel:WORD_1
	v_cvt_f32_f16_sdwa v2, v8 dst_sel:DWORD dst_unused:UNUSED_PAD src0_sel:WORD_1
	v_cvt_f32_i32_e32 v5, v53
	v_cvt_f32_i32_e32 v4, v146
	v_pk_mul_f16 v138, v25, v9
	v_cvt_f32_i32_e32 v140, v144
	v_mov_b32_e32 v53, 0
	v_pk_fma_f32 v[0:1], v[0:1], v[4:5], v[2:3]
	v_mov_b32_e32 v142, 0
	v_pk_add_f32 v[136:137], v[136:137], v[0:1]
	ds_read_b128 v[0:3], v11 offset:2048
	ds_read_b128 v[4:7], v11 offset:2064
	ds_read2_b32 v[8:9], v10 offset0:64 offset1:96
	v_mov_b32_e32 v144, 0
	v_mov_b32_e32 v146, 0
	s_waitcnt lgkmcnt(2)
	v_dot4c_i32_i8_e32 v53, v18, v0
	v_dot4c_i32_i8_e32 v142, v23, v0
	;; [unrolled: 1-line block ×4, first 2 shown]
	s_waitcnt lgkmcnt(1)
	v_dot4c_i32_i8_e32 v53, v19, v4
	v_dot4c_i32_i8_e32 v142, v24, v4
	v_dot4c_i32_i8_e32 v144, v29, v4
	v_dot4c_i32_i8_e32 v146, v42, v4
	v_dot4c_i32_i8_e32 v53, v21, v1
	v_dot4c_i32_i8_e32 v142, v26, v1
	v_dot4c_i32_i8_e32 v144, v34, v1
	v_dot4c_i32_i8_e32 v146, v44, v1
	v_dot4c_i32_i8_e32 v53, v22, v5
	v_dot4c_i32_i8_e32 v142, v27, v5
	v_dot4c_i32_i8_e32 v144, v35, v5
	v_dot4c_i32_i8_e32 v146, v46, v5
	v_dot4c_i32_i8_e32 v53, v30, v2
	v_dot4c_i32_i8_e32 v142, v37, v2
	v_dot4c_i32_i8_e32 v144, v43, v2
	v_dot4c_i32_i8_e32 v146, v49, v2
	v_dot4c_i32_i8_e32 v53, v31, v6
	v_dot4c_i32_i8_e32 v142, v38, v6
	v_dot4c_i32_i8_e32 v144, v45, v6
	v_dot4c_i32_i8_e32 v146, v50, v6
	v_pk_add_f32 v[126:127], v[126:127], v[54:55]
	v_cvt_f32_f16_e32 v55, v138
	v_cvt_f32_f16_e32 v54, v145
	v_cvt_f32_f16_sdwa v139, v138 dst_sel:DWORD dst_unused:UNUSED_PAD src0_sel:WORD_1
	v_cvt_f32_f16_sdwa v138, v145 dst_sel:DWORD dst_unused:UNUSED_PAD src0_sel:WORD_1
	v_dot4c_i32_i8_e32 v53, v32, v3
	v_dot4c_i32_i8_e32 v142, v39, v3
	;; [unrolled: 1-line block ×8, first 2 shown]
	ds_read_b128 v[0:3], v11 offset:3072
	ds_read_b128 v[4:7], v11 offset:3088
	v_pk_fma_f32 v[54:55], v[54:55], v[140:141], v[138:139]
	v_mov_b32_e32 v140, 0
	s_waitcnt lgkmcnt(2)
	v_pk_mul_f16 v138, v17, v8
	s_waitcnt lgkmcnt(1)
	v_dot4c_i32_i8_e32 v140, v18, v0
	s_waitcnt lgkmcnt(0)
	v_dot4c_i32_i8_e32 v140, v19, v4
	v_dot4c_i32_i8_e32 v140, v21, v1
	v_dot4c_i32_i8_e32 v140, v22, v5
	v_dot4c_i32_i8_e32 v140, v30, v2
	v_dot4c_i32_i8_e32 v140, v31, v6
	v_dot4c_i32_i8_e32 v140, v32, v3
	v_dot4c_i32_i8_e32 v140, v33, v7
	v_pk_mul_f16 v139, v17, v9
	v_pk_add_f32 v[132:133], v[132:133], v[54:55]
	v_cvt_f32_f16_e32 v55, v139
	v_cvt_f32_i32_e32 v141, v140
	v_cvt_f32_i32_e32 v140, v53
	v_mov_b32_e32 v53, 0
	v_dot4c_i32_i8_e32 v53, v23, v0
	v_dot4c_i32_i8_e32 v53, v24, v4
	;; [unrolled: 1-line block ×4, first 2 shown]
	v_cvt_f32_f16_e32 v54, v138
	v_cvt_f32_f16_sdwa v139, v139 dst_sel:DWORD dst_unused:UNUSED_PAD src0_sel:WORD_1
	v_cvt_f32_f16_sdwa v138, v138 dst_sel:DWORD dst_unused:UNUSED_PAD src0_sel:WORD_1
	v_dot4c_i32_i8_e32 v53, v37, v2
	v_dot4c_i32_i8_e32 v53, v38, v6
	;; [unrolled: 1-line block ×4, first 2 shown]
	v_pk_fma_f32 v[54:55], v[140:141], v[54:55], v[138:139]
	v_pk_mul_f16 v143, v20, v8
	v_pk_mul_f16 v138, v20, v9
	v_cvt_f32_i32_e32 v141, v53
	v_mov_b32_e32 v53, 0
	v_dot4c_i32_i8_e32 v53, v28, v0
	v_dot4c_i32_i8_e32 v53, v29, v4
	;; [unrolled: 1-line block ×4, first 2 shown]
	v_pk_add_f32 v[110:111], v[110:111], v[54:55]
	v_cvt_f32_f16_e32 v55, v138
	v_cvt_f32_f16_e32 v54, v143
	v_cvt_f32_f16_sdwa v139, v138 dst_sel:DWORD dst_unused:UNUSED_PAD src0_sel:WORD_1
	v_cvt_f32_f16_sdwa v138, v143 dst_sel:DWORD dst_unused:UNUSED_PAD src0_sel:WORD_1
	v_cvt_f32_i32_e32 v140, v142
	v_dot4c_i32_i8_e32 v53, v43, v2
	v_dot4c_i32_i8_e32 v53, v45, v6
	;; [unrolled: 1-line block ×4, first 2 shown]
	v_pk_fma_f32 v[54:55], v[140:141], v[54:55], v[138:139]
	v_pk_mul_f16 v145, v25, v8
	v_pk_mul_f16 v8, v36, v8
	v_cvt_f32_i32_e32 v141, v53
	v_mov_b32_e32 v53, 0
	v_dot4c_i32_i8_e32 v53, v41, v0
	v_dot4c_i32_i8_e32 v53, v42, v4
	;; [unrolled: 1-line block ×8, first 2 shown]
	v_pk_mul_f16 v2, v36, v9
	v_cvt_f32_f16_e32 v0, v8
	v_cvt_f32_f16_e32 v1, v2
	v_cvt_f32_f16_sdwa v3, v2 dst_sel:DWORD dst_unused:UNUSED_PAD src0_sel:WORD_1
	v_cvt_f32_f16_sdwa v2, v8 dst_sel:DWORD dst_unused:UNUSED_PAD src0_sel:WORD_1
	v_cvt_f32_i32_e32 v5, v53
	v_cvt_f32_i32_e32 v4, v146
	v_pk_mul_f16 v138, v25, v9
	v_cvt_f32_i32_e32 v140, v144
	v_mov_b32_e32 v53, 0
	v_pk_fma_f32 v[0:1], v[4:5], v[0:1], v[2:3]
	v_mov_b32_e32 v142, 0
	v_pk_add_f32 v[134:135], v[134:135], v[0:1]
	ds_read_b128 v[0:3], v11 offset:4096
	ds_read_b128 v[4:7], v11 offset:4112
	ds_read2_b32 v[8:9], v10 offset0:128 offset1:160
	v_mov_b32_e32 v144, 0
	v_mov_b32_e32 v146, 0
	s_waitcnt lgkmcnt(2)
	v_dot4c_i32_i8_e32 v53, v18, v0
	v_dot4c_i32_i8_e32 v142, v23, v0
	;; [unrolled: 1-line block ×4, first 2 shown]
	s_waitcnt lgkmcnt(1)
	v_dot4c_i32_i8_e32 v53, v19, v4
	v_dot4c_i32_i8_e32 v142, v24, v4
	;; [unrolled: 1-line block ×20, first 2 shown]
	v_pk_add_f32 v[120:121], v[120:121], v[54:55]
	v_cvt_f32_f16_e32 v55, v138
	v_cvt_f32_f16_e32 v54, v145
	v_cvt_f32_f16_sdwa v139, v138 dst_sel:DWORD dst_unused:UNUSED_PAD src0_sel:WORD_1
	v_cvt_f32_f16_sdwa v138, v145 dst_sel:DWORD dst_unused:UNUSED_PAD src0_sel:WORD_1
	v_dot4c_i32_i8_e32 v53, v32, v3
	v_dot4c_i32_i8_e32 v142, v39, v3
	;; [unrolled: 1-line block ×8, first 2 shown]
	ds_read_b128 v[0:3], v11 offset:5120
	ds_read_b128 v[4:7], v11 offset:5136
	v_pk_fma_f32 v[54:55], v[140:141], v[54:55], v[138:139]
	v_mov_b32_e32 v140, 0
	s_waitcnt lgkmcnt(2)
	v_pk_mul_f16 v138, v17, v8
	s_waitcnt lgkmcnt(1)
	v_dot4c_i32_i8_e32 v140, v18, v0
	s_waitcnt lgkmcnt(0)
	v_dot4c_i32_i8_e32 v140, v19, v4
	v_dot4c_i32_i8_e32 v140, v21, v1
	;; [unrolled: 1-line block ×7, first 2 shown]
	v_pk_mul_f16 v139, v17, v9
	v_pk_add_f32 v[128:129], v[128:129], v[54:55]
	v_cvt_f32_f16_e32 v55, v139
	v_cvt_f32_i32_e32 v141, v140
	v_cvt_f32_i32_e32 v140, v53
	v_mov_b32_e32 v53, 0
	v_dot4c_i32_i8_e32 v53, v23, v0
	v_dot4c_i32_i8_e32 v53, v24, v4
	;; [unrolled: 1-line block ×4, first 2 shown]
	v_cvt_f32_f16_e32 v54, v138
	v_cvt_f32_f16_sdwa v139, v139 dst_sel:DWORD dst_unused:UNUSED_PAD src0_sel:WORD_1
	v_cvt_f32_f16_sdwa v138, v138 dst_sel:DWORD dst_unused:UNUSED_PAD src0_sel:WORD_1
	v_dot4c_i32_i8_e32 v53, v37, v2
	v_dot4c_i32_i8_e32 v53, v38, v6
	;; [unrolled: 1-line block ×4, first 2 shown]
	v_pk_fma_f32 v[54:55], v[140:141], v[54:55], v[138:139]
	v_pk_mul_f16 v143, v20, v8
	v_pk_mul_f16 v138, v20, v9
	v_cvt_f32_i32_e32 v141, v53
	v_mov_b32_e32 v53, 0
	v_dot4c_i32_i8_e32 v53, v28, v0
	v_dot4c_i32_i8_e32 v53, v29, v4
	;; [unrolled: 1-line block ×4, first 2 shown]
	v_pk_add_f32 v[100:101], v[100:101], v[54:55]
	v_cvt_f32_f16_e32 v55, v138
	v_cvt_f32_f16_e32 v54, v143
	v_cvt_f32_f16_sdwa v139, v138 dst_sel:DWORD dst_unused:UNUSED_PAD src0_sel:WORD_1
	v_cvt_f32_f16_sdwa v138, v143 dst_sel:DWORD dst_unused:UNUSED_PAD src0_sel:WORD_1
	v_cvt_f32_i32_e32 v140, v142
	v_dot4c_i32_i8_e32 v53, v43, v2
	v_dot4c_i32_i8_e32 v53, v45, v6
	;; [unrolled: 1-line block ×4, first 2 shown]
	v_pk_fma_f32 v[54:55], v[140:141], v[54:55], v[138:139]
	v_pk_mul_f16 v145, v25, v8
	v_pk_mul_f16 v8, v36, v8
	v_cvt_f32_i32_e32 v141, v53
	v_mov_b32_e32 v53, 0
	v_dot4c_i32_i8_e32 v53, v41, v0
	v_dot4c_i32_i8_e32 v53, v42, v4
	;; [unrolled: 1-line block ×8, first 2 shown]
	v_pk_mul_f16 v2, v36, v9
	v_cvt_f32_f16_e32 v0, v8
	v_cvt_f32_f16_e32 v1, v2
	v_cvt_f32_f16_sdwa v3, v2 dst_sel:DWORD dst_unused:UNUSED_PAD src0_sel:WORD_1
	v_cvt_f32_f16_sdwa v2, v8 dst_sel:DWORD dst_unused:UNUSED_PAD src0_sel:WORD_1
	v_cvt_f32_i32_e32 v5, v53
	v_cvt_f32_i32_e32 v4, v146
	v_pk_mul_f16 v138, v25, v9
	v_pk_add_f32 v[112:113], v[112:113], v[54:55]
	v_cvt_f32_f16_e32 v55, v138
	v_cvt_f32_f16_e32 v54, v145
	v_cvt_f32_f16_sdwa v139, v138 dst_sel:DWORD dst_unused:UNUSED_PAD src0_sel:WORD_1
	v_cvt_f32_f16_sdwa v138, v145 dst_sel:DWORD dst_unused:UNUSED_PAD src0_sel:WORD_1
	v_cvt_f32_i32_e32 v140, v144
	v_pk_fma_f32 v[0:1], v[4:5], v[0:1], v[2:3]
	v_mov_b32_e32 v53, 0
	v_pk_add_f32 v[130:131], v[130:131], v[0:1]
	ds_read_b128 v[0:3], v11 offset:6144
	ds_read_b128 v[4:7], v11 offset:6160
	ds_read2_b32 v[8:9], v10 offset0:192 offset1:224
	v_pk_fma_f32 v[54:55], v[140:141], v[54:55], v[138:139]
	v_mov_b32_e32 v139, 0
	v_pk_add_f32 v[122:123], v[122:123], v[54:55]
	v_mov_b32_e32 v55, 0
	v_mov_b32_e32 v141, 0
	s_waitcnt lgkmcnt(2)
	v_dot4c_i32_i8_e32 v53, v18, v0
	v_dot4c_i32_i8_e32 v55, v23, v0
	;; [unrolled: 1-line block ×4, first 2 shown]
	s_waitcnt lgkmcnt(1)
	v_dot4c_i32_i8_e32 v53, v19, v4
	v_dot4c_i32_i8_e32 v55, v24, v4
	;; [unrolled: 1-line block ×28, first 2 shown]
	ds_read_b128 v[0:3], v11 offset:7168
	ds_read_b128 v[4:7], v11 offset:7184
	v_mov_b32_e32 v142, 0
	s_waitcnt lgkmcnt(2)
	v_pk_mul_f16 v54, v17, v8
	v_pk_mul_f16 v17, v17, v9
	s_waitcnt lgkmcnt(1)
	v_dot4c_i32_i8_e32 v142, v18, v0
	s_waitcnt lgkmcnt(0)
	v_dot4c_i32_i8_e32 v142, v19, v4
	v_dot4c_i32_i8_e32 v142, v21, v1
	;; [unrolled: 1-line block ×5, first 2 shown]
	v_cvt_f32_f16_e32 v19, v17
	v_cvt_f32_f16_sdwa v31, v17 dst_sel:DWORD dst_unused:UNUSED_PAD src0_sel:WORD_1
	v_mov_b32_e32 v17, 0
	v_dot4c_i32_i8_e32 v17, v23, v0
	v_dot4c_i32_i8_e32 v17, v24, v4
	;; [unrolled: 1-line block ×10, first 2 shown]
	v_cvt_f32_f16_e32 v18, v54
	v_cvt_f32_f16_sdwa v30, v54 dst_sel:DWORD dst_unused:UNUSED_PAD src0_sel:WORD_1
	v_cvt_f32_i32_e32 v33, v142
	v_cvt_f32_i32_e32 v32, v53
	;; [unrolled: 1-line block ×3, first 2 shown]
	v_mov_b32_e32 v17, 0
	v_dot4c_i32_i8_e32 v17, v28, v0
	v_dot4c_i32_i8_e32 v17, v29, v4
	;; [unrolled: 1-line block ×3, first 2 shown]
	v_pk_mul_f16 v138, v20, v8
	v_pk_fma_f32 v[18:19], v[32:33], v[18:19], v[30:31]
	v_pk_mul_f16 v20, v20, v9
	v_dot4c_i32_i8_e32 v17, v35, v5
	v_pk_add_f32 v[94:95], v[94:95], v[18:19]
	v_cvt_f32_f16_e32 v19, v20
	v_cvt_f32_f16_e32 v18, v138
	v_cvt_f32_f16_sdwa v21, v20 dst_sel:DWORD dst_unused:UNUSED_PAD src0_sel:WORD_1
	v_cvt_f32_f16_sdwa v20, v138 dst_sel:DWORD dst_unused:UNUSED_PAD src0_sel:WORD_1
	v_cvt_f32_i32_e32 v22, v55
	v_dot4c_i32_i8_e32 v17, v43, v2
	v_dot4c_i32_i8_e32 v17, v45, v6
	;; [unrolled: 1-line block ×4, first 2 shown]
	v_pk_fma_f32 v[18:19], v[22:23], v[18:19], v[20:21]
	v_pk_mul_f16 v140, v25, v8
	v_pk_mul_f16 v8, v36, v8
	v_cvt_f32_i32_e32 v23, v17
	v_mov_b32_e32 v17, 0
	v_dot4c_i32_i8_e32 v17, v41, v0
	v_dot4c_i32_i8_e32 v17, v42, v4
	;; [unrolled: 1-line block ×7, first 2 shown]
	v_pk_mul_f16 v20, v25, v9
	v_dot4c_i32_i8_e32 v17, v52, v7
	v_pk_mul_f16 v2, v36, v9
	v_pk_add_f32 v[102:103], v[102:103], v[18:19]
	v_cvt_f32_f16_e32 v19, v20
	v_cvt_f32_f16_e32 v18, v140
	v_cvt_f32_f16_sdwa v21, v20 dst_sel:DWORD dst_unused:UNUSED_PAD src0_sel:WORD_1
	v_cvt_f32_f16_sdwa v20, v140 dst_sel:DWORD dst_unused:UNUSED_PAD src0_sel:WORD_1
	v_cvt_f32_i32_e32 v22, v139
	v_cvt_f32_f16_e32 v1, v2
	v_cvt_f32_f16_e32 v0, v8
	v_cvt_f32_f16_sdwa v3, v2 dst_sel:DWORD dst_unused:UNUSED_PAD src0_sel:WORD_1
	v_cvt_f32_f16_sdwa v2, v8 dst_sel:DWORD dst_unused:UNUSED_PAD src0_sel:WORD_1
	v_cvt_f32_i32_e32 v5, v17
	v_cvt_f32_i32_e32 v4, v141
	v_pk_fma_f32 v[18:19], v[22:23], v[18:19], v[20:21]
	s_add_i32 s0, s0, 4
	v_pk_add_f32 v[114:115], v[114:115], v[18:19]
	v_pk_fma_f32 v[0:1], v[4:5], v[0:1], v[2:3]
	v_add_u32_e32 v16, 16, v16
	v_pk_add_f32 v[124:125], v[124:125], v[0:1]
	v_add_u32_e32 v15, 4, v15
	v_add_u32_e32 v14, 4, v14
	v_add_u32_e32 v13, 4, v13
	v_add_u32_e32 v12, 4, v12
	v_add_u32_e32 v11, 32, v11
	v_add_u32_e32 v10, 4, v10
	s_cmp_lt_u32 s0, 28
	s_cbranch_scc1 .LBB139_12
; %bb.13:                               ;   in Loop: Header=BB139_7 Depth=1
	s_barrier
	s_branch .LBB139_6
.LBB139_14:
	v_cvt_pk_f16_f32 v20, v92, v93
	v_cvt_pk_f16_f32 v19, v126, v127
	;; [unrolled: 1-line block ×16, first 2 shown]
	v_mov_b32_e32 v4, v61
	v_cmp_gt_u32_e32 vcc, s8, v63
	s_and_saveexec_b64 s[0:1], vcc
	s_cbranch_execz .LBB139_3
.LBB139_15:
	v_add_u32_e32 v5, s4, v57
	v_mul_lo_u32 v21, v63, s10
	v_cmp_gt_u32_e32 vcc, s10, v5
	s_and_saveexec_b64 s[0:1], vcc
	s_cbranch_execz .LBB139_17
; %bb.16:
	v_add_u32_e32 v6, v5, v21
	v_mov_b32_e32 v7, 0
	s_waitcnt lgkmcnt(0)
	v_lshl_add_u64 v[6:7], v[6:7], 1, s[12:13]
	global_store_short v[6:7], v20, off
.LBB139_17:
	s_or_b64 exec, exec, s[0:1]
	v_add_u32_e32 v6, 32, v5
	v_cmp_gt_u32_e64 s[0:1], s10, v6
	s_and_saveexec_b64 s[2:3], s[0:1]
	s_cbranch_execz .LBB139_19
; %bb.18:
	v_add_u32_e32 v22, v6, v21
	v_mov_b32_e32 v23, 0
	s_waitcnt lgkmcnt(0)
	v_lshl_add_u64 v[22:23], v[22:23], 1, s[12:13]
	global_store_short v[22:23], v19, off
.LBB139_19:
	s_or_b64 exec, exec, s[2:3]
	v_add_u32_e32 v7, 64, v5
	v_cmp_gt_u32_e64 s[2:3], s10, v7
	s_and_saveexec_b64 s[4:5], s[2:3]
	;; [unrolled: 12-line block ×3, first 2 shown]
	s_cbranch_execz .LBB139_23
; %bb.22:
	v_add_u32_e32 v22, v8, v21
	v_mov_b32_e32 v23, 0
	s_waitcnt lgkmcnt(0)
	v_lshl_add_u64 v[22:23], v[22:23], 1, s[12:13]
	global_store_short v[22:23], v17, off
.LBB139_23:
	s_or_b64 exec, exec, s[6:7]
	v_add3_u32 v21, v4, s11, 8
	v_cmp_gt_u32_e64 s[6:7], s8, v21
	s_and_b64 exec, exec, s[6:7]
	s_cbranch_execz .LBB139_3
; %bb.24:
	v_mul_lo_u32 v21, v21, s10
	s_and_saveexec_b64 s[6:7], vcc
	s_cbranch_execnz .LBB139_64
; %bb.25:
	s_or_b64 exec, exec, s[6:7]
	s_and_saveexec_b64 s[6:7], s[0:1]
	s_cbranch_execnz .LBB139_65
.LBB139_26:
	s_or_b64 exec, exec, s[6:7]
	s_and_saveexec_b64 s[6:7], s[2:3]
	s_cbranch_execnz .LBB139_66
.LBB139_27:
	s_or_b64 exec, exec, s[6:7]
	s_and_saveexec_b64 s[6:7], s[4:5]
	s_cbranch_execz .LBB139_29
.LBB139_28:
	v_add_u32_e32 v18, v21, v8
	v_mov_b32_e32 v19, 0
	s_waitcnt lgkmcnt(0)
	v_lshl_add_u64 v[18:19], v[18:19], 1, s[12:13]
	global_store_short_d16_hi v[18:19], v17, off
.LBB139_29:
	s_or_b64 exec, exec, s[6:7]
	v_add3_u32 v17, v4, s11, 16
	v_cmp_gt_u32_e64 s[6:7], s8, v17
	s_and_b64 exec, exec, s[6:7]
	s_cbranch_execz .LBB139_3
; %bb.30:
	v_mul_lo_u32 v17, v17, s10
	s_and_saveexec_b64 s[6:7], vcc
	s_cbranch_execnz .LBB139_67
; %bb.31:
	s_or_b64 exec, exec, s[6:7]
	s_and_saveexec_b64 s[6:7], s[0:1]
	s_cbranch_execnz .LBB139_68
.LBB139_32:
	s_or_b64 exec, exec, s[6:7]
	s_and_saveexec_b64 s[6:7], s[2:3]
	s_cbranch_execnz .LBB139_69
.LBB139_33:
	s_or_b64 exec, exec, s[6:7]
	s_and_saveexec_b64 s[6:7], s[4:5]
	s_cbranch_execz .LBB139_35
.LBB139_34:
	v_add_u32_e32 v18, v17, v8
	v_mov_b32_e32 v19, 0
	s_waitcnt lgkmcnt(0)
	v_lshl_add_u64 v[18:19], v[18:19], 1, s[12:13]
	global_store_short v[18:19], v13, off
.LBB139_35:
	s_or_b64 exec, exec, s[6:7]
	v_add3_u32 v17, v4, s11, 24
	v_cmp_gt_u32_e64 s[6:7], s8, v17
	s_and_b64 exec, exec, s[6:7]
	s_cbranch_execz .LBB139_3
; %bb.36:
	v_mul_lo_u32 v17, v17, s10
	s_and_saveexec_b64 s[6:7], vcc
	s_cbranch_execnz .LBB139_70
; %bb.37:
	s_or_b64 exec, exec, s[6:7]
	s_and_saveexec_b64 s[6:7], s[0:1]
	s_cbranch_execnz .LBB139_71
.LBB139_38:
	s_or_b64 exec, exec, s[6:7]
	s_and_saveexec_b64 s[6:7], s[2:3]
	s_cbranch_execnz .LBB139_72
.LBB139_39:
	s_or_b64 exec, exec, s[6:7]
	s_and_saveexec_b64 s[6:7], s[4:5]
	s_cbranch_execz .LBB139_41
.LBB139_40:
	v_add_u32_e32 v14, v17, v8
	v_mov_b32_e32 v15, 0
	s_waitcnt lgkmcnt(0)
	v_lshl_add_u64 v[14:15], v[14:15], 1, s[12:13]
	global_store_short_d16_hi v[14:15], v13, off
.LBB139_41:
	s_or_b64 exec, exec, s[6:7]
	v_add3_u32 v13, v4, s11, 32
	v_cmp_gt_u32_e64 s[6:7], s8, v13
	s_and_b64 exec, exec, s[6:7]
	s_cbranch_execz .LBB139_3
; %bb.42:
	v_mul_lo_u32 v13, v13, s10
	s_and_saveexec_b64 s[6:7], vcc
	s_cbranch_execnz .LBB139_73
; %bb.43:
	s_or_b64 exec, exec, s[6:7]
	s_and_saveexec_b64 s[6:7], s[0:1]
	s_cbranch_execnz .LBB139_74
.LBB139_44:
	s_or_b64 exec, exec, s[6:7]
	s_and_saveexec_b64 s[6:7], s[2:3]
	s_cbranch_execnz .LBB139_75
.LBB139_45:
	s_or_b64 exec, exec, s[6:7]
	s_and_saveexec_b64 s[6:7], s[4:5]
	s_cbranch_execz .LBB139_47
.LBB139_46:
	v_add_u32_e32 v14, v13, v8
	v_mov_b32_e32 v15, 0
	s_waitcnt lgkmcnt(0)
	v_lshl_add_u64 v[14:15], v[14:15], 1, s[12:13]
	global_store_short v[14:15], v9, off
.LBB139_47:
	s_or_b64 exec, exec, s[6:7]
	v_add3_u32 v13, v4, s11, 40
	v_cmp_gt_u32_e64 s[6:7], s8, v13
	s_and_b64 exec, exec, s[6:7]
	s_cbranch_execz .LBB139_3
; %bb.48:
	v_mul_lo_u32 v13, v13, s10
	s_and_saveexec_b64 s[6:7], vcc
	s_cbranch_execnz .LBB139_76
; %bb.49:
	s_or_b64 exec, exec, s[6:7]
	s_and_saveexec_b64 s[6:7], s[0:1]
	s_cbranch_execnz .LBB139_77
.LBB139_50:
	s_or_b64 exec, exec, s[6:7]
	s_and_saveexec_b64 s[6:7], s[2:3]
	s_cbranch_execnz .LBB139_78
.LBB139_51:
	s_or_b64 exec, exec, s[6:7]
	s_and_saveexec_b64 s[6:7], s[4:5]
	s_cbranch_execz .LBB139_53
.LBB139_52:
	v_add_u32_e32 v10, v13, v8
	v_mov_b32_e32 v11, 0
	s_waitcnt lgkmcnt(0)
	v_lshl_add_u64 v[10:11], v[10:11], 1, s[12:13]
	global_store_short_d16_hi v[10:11], v9, off
.LBB139_53:
	s_or_b64 exec, exec, s[6:7]
	v_add3_u32 v9, v4, s11, 48
	v_cmp_gt_u32_e64 s[6:7], s8, v9
	s_and_b64 exec, exec, s[6:7]
	s_cbranch_execz .LBB139_3
; %bb.54:
	v_mul_lo_u32 v9, v9, s10
	s_and_saveexec_b64 s[6:7], vcc
	s_cbranch_execnz .LBB139_79
; %bb.55:
	s_or_b64 exec, exec, s[6:7]
	s_and_saveexec_b64 s[6:7], s[0:1]
	s_cbranch_execnz .LBB139_80
.LBB139_56:
	s_or_b64 exec, exec, s[6:7]
	s_and_saveexec_b64 s[6:7], s[2:3]
	s_cbranch_execnz .LBB139_81
.LBB139_57:
	s_or_b64 exec, exec, s[6:7]
	s_and_saveexec_b64 s[6:7], s[4:5]
	s_cbranch_execz .LBB139_59
.LBB139_58:
	v_add_u32_e32 v10, v9, v8
	v_mov_b32_e32 v11, 0
	s_waitcnt lgkmcnt(0)
	v_lshl_add_u64 v[10:11], v[10:11], 1, s[12:13]
	global_store_short v[10:11], v0, off
.LBB139_59:
	s_or_b64 exec, exec, s[6:7]
	v_add3_u32 v4, v4, s11, 56
	v_cmp_gt_u32_e64 s[6:7], s8, v4
	s_and_b64 exec, exec, s[6:7]
	s_cbranch_execz .LBB139_3
; %bb.60:
	v_mul_lo_u32 v4, v4, s10
	s_and_saveexec_b64 s[6:7], vcc
	s_cbranch_execnz .LBB139_82
; %bb.61:
	s_or_b64 exec, exec, s[6:7]
	s_and_saveexec_b64 s[6:7], s[0:1]
	s_cbranch_execnz .LBB139_83
.LBB139_62:
	s_or_b64 exec, exec, s[6:7]
	s_and_saveexec_b64 s[0:1], s[2:3]
	s_cbranch_execnz .LBB139_84
.LBB139_63:
	s_or_b64 exec, exec, s[0:1]
	s_and_b64 exec, exec, s[4:5]
	s_cbranch_execz .LBB139_3
	s_branch .LBB139_85
.LBB139_64:
	v_add_u32_e32 v22, v21, v5
	v_mov_b32_e32 v23, 0
	s_waitcnt lgkmcnt(0)
	v_lshl_add_u64 v[22:23], v[22:23], 1, s[12:13]
	global_store_short_d16_hi v[22:23], v20, off
	s_or_b64 exec, exec, s[6:7]
	s_and_saveexec_b64 s[6:7], s[0:1]
	s_cbranch_execz .LBB139_26
.LBB139_65:
	v_add_u32_e32 v22, v21, v6
	v_mov_b32_e32 v23, 0
	s_waitcnt lgkmcnt(0)
	v_lshl_add_u64 v[22:23], v[22:23], 1, s[12:13]
	global_store_short_d16_hi v[22:23], v19, off
	s_or_b64 exec, exec, s[6:7]
	s_and_saveexec_b64 s[6:7], s[2:3]
	s_cbranch_execz .LBB139_27
.LBB139_66:
	v_add_u32_e32 v22, v21, v7
	v_mov_b32_e32 v23, 0
	s_waitcnt lgkmcnt(0)
	v_lshl_add_u64 v[22:23], v[22:23], 1, s[12:13]
	global_store_short_d16_hi v[22:23], v18, off
	s_or_b64 exec, exec, s[6:7]
	s_and_saveexec_b64 s[6:7], s[4:5]
	s_cbranch_execnz .LBB139_28
	s_branch .LBB139_29
.LBB139_67:
	v_add_u32_e32 v18, v17, v5
	v_mov_b32_e32 v19, 0
	s_waitcnt lgkmcnt(0)
	v_lshl_add_u64 v[18:19], v[18:19], 1, s[12:13]
	global_store_short v[18:19], v16, off
	s_or_b64 exec, exec, s[6:7]
	s_and_saveexec_b64 s[6:7], s[0:1]
	s_cbranch_execz .LBB139_32
.LBB139_68:
	v_add_u32_e32 v18, v17, v6
	v_mov_b32_e32 v19, 0
	s_waitcnt lgkmcnt(0)
	v_lshl_add_u64 v[18:19], v[18:19], 1, s[12:13]
	global_store_short v[18:19], v15, off
	s_or_b64 exec, exec, s[6:7]
	s_and_saveexec_b64 s[6:7], s[2:3]
	s_cbranch_execz .LBB139_33
.LBB139_69:
	v_add_u32_e32 v18, v17, v7
	v_mov_b32_e32 v19, 0
	s_waitcnt lgkmcnt(0)
	v_lshl_add_u64 v[18:19], v[18:19], 1, s[12:13]
	global_store_short v[18:19], v14, off
	s_or_b64 exec, exec, s[6:7]
	s_and_saveexec_b64 s[6:7], s[4:5]
	s_cbranch_execnz .LBB139_34
	s_branch .LBB139_35
.LBB139_70:
	v_add_u32_e32 v18, v17, v5
	v_mov_b32_e32 v19, 0
	s_waitcnt lgkmcnt(0)
	v_lshl_add_u64 v[18:19], v[18:19], 1, s[12:13]
	global_store_short_d16_hi v[18:19], v16, off
	s_or_b64 exec, exec, s[6:7]
	s_and_saveexec_b64 s[6:7], s[0:1]
	s_cbranch_execz .LBB139_38
.LBB139_71:
	v_add_u32_e32 v18, v17, v6
	v_mov_b32_e32 v19, 0
	s_waitcnt lgkmcnt(0)
	v_lshl_add_u64 v[18:19], v[18:19], 1, s[12:13]
	global_store_short_d16_hi v[18:19], v15, off
	s_or_b64 exec, exec, s[6:7]
	s_and_saveexec_b64 s[6:7], s[2:3]
	s_cbranch_execz .LBB139_39
.LBB139_72:
	v_add_u32_e32 v18, v17, v7
	v_mov_b32_e32 v19, 0
	s_waitcnt lgkmcnt(0)
	v_lshl_add_u64 v[18:19], v[18:19], 1, s[12:13]
	global_store_short_d16_hi v[18:19], v14, off
	s_or_b64 exec, exec, s[6:7]
	s_and_saveexec_b64 s[6:7], s[4:5]
	s_cbranch_execnz .LBB139_40
	s_branch .LBB139_41
.LBB139_73:
	v_add_u32_e32 v14, v13, v5
	v_mov_b32_e32 v15, 0
	s_waitcnt lgkmcnt(0)
	v_lshl_add_u64 v[14:15], v[14:15], 1, s[12:13]
	global_store_short v[14:15], v12, off
	s_or_b64 exec, exec, s[6:7]
	s_and_saveexec_b64 s[6:7], s[0:1]
	s_cbranch_execz .LBB139_44
.LBB139_74:
	v_add_u32_e32 v14, v13, v6
	v_mov_b32_e32 v15, 0
	s_waitcnt lgkmcnt(0)
	v_lshl_add_u64 v[14:15], v[14:15], 1, s[12:13]
	global_store_short v[14:15], v11, off
	s_or_b64 exec, exec, s[6:7]
	s_and_saveexec_b64 s[6:7], s[2:3]
	s_cbranch_execz .LBB139_45
.LBB139_75:
	v_add_u32_e32 v14, v13, v7
	v_mov_b32_e32 v15, 0
	s_waitcnt lgkmcnt(0)
	v_lshl_add_u64 v[14:15], v[14:15], 1, s[12:13]
	global_store_short v[14:15], v10, off
	s_or_b64 exec, exec, s[6:7]
	s_and_saveexec_b64 s[6:7], s[4:5]
	s_cbranch_execnz .LBB139_46
	s_branch .LBB139_47
.LBB139_76:
	v_add_u32_e32 v14, v13, v5
	v_mov_b32_e32 v15, 0
	s_waitcnt lgkmcnt(0)
	v_lshl_add_u64 v[14:15], v[14:15], 1, s[12:13]
	global_store_short_d16_hi v[14:15], v12, off
	s_or_b64 exec, exec, s[6:7]
	s_and_saveexec_b64 s[6:7], s[0:1]
	s_cbranch_execz .LBB139_50
.LBB139_77:
	v_add_u32_e32 v14, v13, v6
	v_mov_b32_e32 v15, 0
	s_waitcnt lgkmcnt(0)
	v_lshl_add_u64 v[14:15], v[14:15], 1, s[12:13]
	global_store_short_d16_hi v[14:15], v11, off
	s_or_b64 exec, exec, s[6:7]
	s_and_saveexec_b64 s[6:7], s[2:3]
	s_cbranch_execz .LBB139_51
.LBB139_78:
	v_add_u32_e32 v14, v13, v7
	v_mov_b32_e32 v15, 0
	s_waitcnt lgkmcnt(0)
	v_lshl_add_u64 v[14:15], v[14:15], 1, s[12:13]
	global_store_short_d16_hi v[14:15], v10, off
	s_or_b64 exec, exec, s[6:7]
	s_and_saveexec_b64 s[6:7], s[4:5]
	s_cbranch_execnz .LBB139_52
	s_branch .LBB139_53
.LBB139_79:
	v_add_u32_e32 v10, v9, v5
	v_mov_b32_e32 v11, 0
	s_waitcnt lgkmcnt(0)
	v_lshl_add_u64 v[10:11], v[10:11], 1, s[12:13]
	global_store_short v[10:11], v3, off
	s_or_b64 exec, exec, s[6:7]
	s_and_saveexec_b64 s[6:7], s[0:1]
	s_cbranch_execz .LBB139_56
.LBB139_80:
	v_add_u32_e32 v10, v9, v6
	v_mov_b32_e32 v11, 0
	s_waitcnt lgkmcnt(0)
	v_lshl_add_u64 v[10:11], v[10:11], 1, s[12:13]
	global_store_short v[10:11], v2, off
	s_or_b64 exec, exec, s[6:7]
	s_and_saveexec_b64 s[6:7], s[2:3]
	s_cbranch_execz .LBB139_57
.LBB139_81:
	v_add_u32_e32 v10, v9, v7
	v_mov_b32_e32 v11, 0
	s_waitcnt lgkmcnt(0)
	v_lshl_add_u64 v[10:11], v[10:11], 1, s[12:13]
	global_store_short v[10:11], v1, off
	s_or_b64 exec, exec, s[6:7]
	s_and_saveexec_b64 s[6:7], s[4:5]
	s_cbranch_execnz .LBB139_58
	s_branch .LBB139_59
.LBB139_82:
	v_add_u32_e32 v10, v4, v5
	v_mov_b32_e32 v11, 0
	s_waitcnt lgkmcnt(0)
	v_lshl_add_u64 v[10:11], v[10:11], 1, s[12:13]
	global_store_short_d16_hi v[10:11], v3, off
	s_or_b64 exec, exec, s[6:7]
	s_and_saveexec_b64 s[6:7], s[0:1]
	s_cbranch_execz .LBB139_62
.LBB139_83:
	v_add_u32_e32 v10, v4, v6
	v_mov_b32_e32 v11, 0
	s_waitcnt lgkmcnt(0)
	v_lshl_add_u64 v[10:11], v[10:11], 1, s[12:13]
	global_store_short_d16_hi v[10:11], v2, off
	s_or_b64 exec, exec, s[6:7]
	s_and_saveexec_b64 s[0:1], s[2:3]
	s_cbranch_execz .LBB139_63
.LBB139_84:
	v_add_u32_e32 v2, v4, v7
	v_mov_b32_e32 v3, 0
	s_waitcnt lgkmcnt(0)
	v_lshl_add_u64 v[2:3], v[2:3], 1, s[12:13]
	global_store_short_d16_hi v[2:3], v1, off
	s_or_b64 exec, exec, s[0:1]
	s_and_b64 exec, exec, s[4:5]
	s_cbranch_execz .LBB139_3
.LBB139_85:
	v_add_u32_e32 v2, v4, v8
	v_mov_b32_e32 v3, 0
	s_waitcnt lgkmcnt(0)
	v_lshl_add_u64 v[2:3], v[2:3], 1, s[12:13]
	global_store_short_d16_hi v[2:3], v0, off
	s_endpgm
	.section	.rodata,"a",@progbits
	.p2align	6, 0x0
	.amdhsa_kernel _ZL12mul_mat_q4_1IN3c104HalfELb0EEvPKvS3_PT_iiiii
		.amdhsa_group_segment_fixed_size 30336
		.amdhsa_private_segment_fixed_size 0
		.amdhsa_kernarg_size 44
		.amdhsa_user_sgpr_count 2
		.amdhsa_user_sgpr_dispatch_ptr 0
		.amdhsa_user_sgpr_queue_ptr 0
		.amdhsa_user_sgpr_kernarg_segment_ptr 1
		.amdhsa_user_sgpr_dispatch_id 0
		.amdhsa_user_sgpr_kernarg_preload_length 0
		.amdhsa_user_sgpr_kernarg_preload_offset 0
		.amdhsa_user_sgpr_private_segment_size 0
		.amdhsa_uses_dynamic_stack 0
		.amdhsa_enable_private_segment 0
		.amdhsa_system_sgpr_workgroup_id_x 1
		.amdhsa_system_sgpr_workgroup_id_y 1
		.amdhsa_system_sgpr_workgroup_id_z 0
		.amdhsa_system_sgpr_workgroup_info 0
		.amdhsa_system_vgpr_workitem_id 1
		.amdhsa_next_free_vgpr 251
		.amdhsa_next_free_sgpr 96
		.amdhsa_accum_offset 252
		.amdhsa_reserve_vcc 1
		.amdhsa_float_round_mode_32 0
		.amdhsa_float_round_mode_16_64 0
		.amdhsa_float_denorm_mode_32 3
		.amdhsa_float_denorm_mode_16_64 3
		.amdhsa_dx10_clamp 1
		.amdhsa_ieee_mode 1
		.amdhsa_fp16_overflow 0
		.amdhsa_tg_split 0
		.amdhsa_exception_fp_ieee_invalid_op 0
		.amdhsa_exception_fp_denorm_src 0
		.amdhsa_exception_fp_ieee_div_zero 0
		.amdhsa_exception_fp_ieee_overflow 0
		.amdhsa_exception_fp_ieee_underflow 0
		.amdhsa_exception_fp_ieee_inexact 0
		.amdhsa_exception_int_div_zero 0
	.end_amdhsa_kernel
	.section	.text._ZL12mul_mat_q4_1IN3c104HalfELb0EEvPKvS3_PT_iiiii,"axG",@progbits,_ZL12mul_mat_q4_1IN3c104HalfELb0EEvPKvS3_PT_iiiii,comdat
.Lfunc_end139:
	.size	_ZL12mul_mat_q4_1IN3c104HalfELb0EEvPKvS3_PT_iiiii, .Lfunc_end139-_ZL12mul_mat_q4_1IN3c104HalfELb0EEvPKvS3_PT_iiiii
                                        ; -- End function
	.set _ZL12mul_mat_q4_1IN3c104HalfELb0EEvPKvS3_PT_iiiii.num_vgpr, 251
	.set _ZL12mul_mat_q4_1IN3c104HalfELb0EEvPKvS3_PT_iiiii.num_agpr, 0
	.set _ZL12mul_mat_q4_1IN3c104HalfELb0EEvPKvS3_PT_iiiii.numbered_sgpr, 19
	.set _ZL12mul_mat_q4_1IN3c104HalfELb0EEvPKvS3_PT_iiiii.num_named_barrier, 0
	.set _ZL12mul_mat_q4_1IN3c104HalfELb0EEvPKvS3_PT_iiiii.private_seg_size, 0
	.set _ZL12mul_mat_q4_1IN3c104HalfELb0EEvPKvS3_PT_iiiii.uses_vcc, 1
	.set _ZL12mul_mat_q4_1IN3c104HalfELb0EEvPKvS3_PT_iiiii.uses_flat_scratch, 0
	.set _ZL12mul_mat_q4_1IN3c104HalfELb0EEvPKvS3_PT_iiiii.has_dyn_sized_stack, 0
	.set _ZL12mul_mat_q4_1IN3c104HalfELb0EEvPKvS3_PT_iiiii.has_recursion, 0
	.set _ZL12mul_mat_q4_1IN3c104HalfELb0EEvPKvS3_PT_iiiii.has_indirect_call, 0
	.section	.AMDGPU.csdata,"",@progbits
; Kernel info:
; codeLenInByte = 10564
; TotalNumSgprs: 25
; NumVgprs: 251
; NumAgprs: 0
; TotalNumVgprs: 251
; ScratchSize: 0
; MemoryBound: 0
; FloatMode: 240
; IeeeMode: 1
; LDSByteSize: 30336 bytes/workgroup (compile time only)
; SGPRBlocks: 12
; VGPRBlocks: 31
; NumSGPRsForWavesPerEU: 102
; NumVGPRsForWavesPerEU: 251
; AccumOffset: 252
; Occupancy: 2
; WaveLimiterHint : 0
; COMPUTE_PGM_RSRC2:SCRATCH_EN: 0
; COMPUTE_PGM_RSRC2:USER_SGPR: 2
; COMPUTE_PGM_RSRC2:TRAP_HANDLER: 0
; COMPUTE_PGM_RSRC2:TGID_X_EN: 1
; COMPUTE_PGM_RSRC2:TGID_Y_EN: 1
; COMPUTE_PGM_RSRC2:TGID_Z_EN: 0
; COMPUTE_PGM_RSRC2:TIDIG_COMP_CNT: 1
; COMPUTE_PGM_RSRC3_GFX90A:ACCUM_OFFSET: 62
; COMPUTE_PGM_RSRC3_GFX90A:TG_SPLIT: 0
	.section	.text._ZL12mul_mat_q4_1IN3c104HalfELb1EEvPKvS3_PT_iiiii,"axG",@progbits,_ZL12mul_mat_q4_1IN3c104HalfELb1EEvPKvS3_PT_iiiii,comdat
	.globl	_ZL12mul_mat_q4_1IN3c104HalfELb1EEvPKvS3_PT_iiiii ; -- Begin function _ZL12mul_mat_q4_1IN3c104HalfELb1EEvPKvS3_PT_iiiii
	.p2align	8
	.type	_ZL12mul_mat_q4_1IN3c104HalfELb1EEvPKvS3_PT_iiiii,@function
_ZL12mul_mat_q4_1IN3c104HalfELb1EEvPKvS3_PT_iiiii: ; @_ZL12mul_mat_q4_1IN3c104HalfELb1EEvPKvS3_PT_iiiii
; %bb.0:
	s_load_dwordx4 s[8:11], s[0:1], 0x18
	s_load_dword s14, s[0:1], 0x28
	s_lshl_b32 s15, s3, 6
	v_bfe_u32 v91, v0, 10, 10
	s_waitcnt lgkmcnt(0)
	s_cmp_gt_i32 s8, 31
	s_cbranch_scc1 .LBB140_4
; %bb.1:
	v_bfe_u32 v4, v0, 10, 10
	v_and_b32_e32 v57, 0x3ff, v0
	v_add_u32_e32 v61, s15, v4
	s_load_dwordx2 s[12:13], s[0:1], 0x10
	s_lshl_b32 s4, s2, 7
	s_cbranch_execz .LBB140_5
; %bb.2:
	v_mov_b32_e32 v0, 0
	v_mov_b32_e32 v9, 0
	;; [unrolled: 1-line block ×16, first 2 shown]
	v_cmp_gt_u32_e32 vcc, s10, v61
	s_and_saveexec_b64 s[0:1], vcc
	s_cbranch_execnz .LBB140_15
.LBB140_3:
	s_endpgm
.LBB140_4:
                                        ; implicit-def: $vgpr4
                                        ; implicit-def: $vgpr57
                                        ; implicit-def: $vgpr61
	s_load_dwordx2 s[12:13], s[0:1], 0x10
	s_lshl_b32 s4, s2, 7
.LBB140_5:
	s_ashr_i32 s5, s8, 31
	s_load_dwordx4 s[0:3], s[0:1], 0x0
	s_lshr_b32 s5, s5, 27
	s_ashr_i32 s6, s11, 31
	s_add_i32 s5, s8, s5
	s_lshr_b32 s6, s6, 27
	s_ashr_i32 s5, s5, 5
	s_add_i32 s6, s11, s6
	s_ashr_i32 s11, s6, 5
	s_mul_i32 s6, s5, s4
	s_mul_hi_i32 s7, s6, 20
	s_mul_i32 s6, s6, 20
	s_waitcnt lgkmcnt(0)
	s_add_u32 s6, s0, s6
	s_addc_u32 s7, s1, s7
	s_not_b32 s0, s4
	s_add_i32 s1, s9, s0
	v_add_u32_e32 v1, 64, v91
	v_min_i32_e32 v22, s1, v1
	v_add_u32_e32 v1, 0x48, v91
	v_min_i32_e32 v23, s1, v1
	;; [unrolled: 2-line block ×3, first 2 shown]
	v_add_u32_e32 v1, 0x58, v91
	v_and_b32_e32 v57, 0x3ff, v0
	v_add_u32_e32 v8, 8, v91
	v_min_i32_e32 v25, s1, v1
	v_add_u32_e32 v1, 0x60, v91
	v_lshlrev_b32_e32 v2, 2, v57
	v_min_i32_e32 v3, s1, v91
	s_movk_i32 s0, 0x84
	v_min_i32_e32 v9, s1, v8
	v_min_i32_e32 v26, s1, v1
	v_add_u32_e32 v1, 0x68, v91
	v_mad_u64_u32 v[62:63], s[8:9], v9, s0, v[2:3]
	v_min_i32_e32 v27, s1, v1
	v_add_u32_e32 v1, 0x70, v91
	v_min_i32_e32 v28, s1, v1
	v_add_u32_e32 v1, 0x78, v91
	v_bfe_u32 v63, v0, 3, 7
	v_min_i32_e32 v29, s1, v1
	v_lshl_add_u32 v1, v91, 2, v63
	v_min_i32_e32 v30, s1, v1
	v_add_u32_e32 v10, 16, v91
	v_add_u32_e32 v12, 24, v91
	;; [unrolled: 1-line block ×6, first 2 shown]
	v_ashrrev_i32_e32 v4, 31, v30
	v_min_i32_e32 v11, s1, v10
	v_min_i32_e32 v13, s1, v12
	;; [unrolled: 1-line block ×6, first 2 shown]
	v_lshrrev_b32_e32 v4, 30, v4
	v_mad_u64_u32 v[60:61], s[8:9], v3, s0, v[2:3]
	v_mad_u64_u32 v[64:65], s[8:9], v11, s0, v[2:3]
	;; [unrolled: 1-line block ×14, first 2 shown]
	v_and_b32_e32 v90, 7, v0
	v_add_u32_e32 v4, v30, v4
	v_and_b32_e32 v4, -4, v4
	v_lshlrev_b32_e32 v5, 2, v90
	s_movk_i32 s8, 0x6200
	v_add3_u32 v31, v4, v5, s8
	v_add_u32_e32 v4, 32, v1
	v_min_i32_e32 v33, s1, v4
	v_ashrrev_i32_e32 v4, 31, v33
	v_lshrrev_b32_e32 v4, 30, v4
	v_add_u32_e32 v4, v33, v4
	v_and_b32_e32 v4, -4, v4
	v_add3_u32 v34, v4, v5, s8
	v_add_u32_e32 v4, 64, v1
	v_add_u32_e32 v1, 0x60, v1
	v_bfe_u32 v56, v0, 2, 8
	v_min_i32_e32 v35, s1, v4
	v_min_i32_e32 v37, s1, v1
	v_and_b32_e32 v6, 31, v0
	v_mov_b32_e32 v7, 0x4200
	v_ashrrev_i32_e32 v4, 31, v35
	v_ashrrev_i32_e32 v1, 31, v37
	v_lshl_or_b32 v38, v6, 2, v7
	v_lshl_add_u32 v6, v91, 3, v56
	v_lshrrev_b32_e32 v4, 30, v4
	v_lshrrev_b32_e32 v1, 30, v1
	v_and_b32_e32 v7, 63, v6
	v_add_u32_e32 v4, v35, v4
	v_add_u32_e32 v1, v37, v1
	s_add_i32 s1, s10, -1
	v_or_b32_e32 v39, s15, v7
	v_and_b32_e32 v4, -4, v4
	v_and_b32_e32 v1, -4, v1
	v_and_b32_e32 v6, 3, v0
	v_min_i32_e32 v39, s1, v39
	v_add3_u32 v36, v4, v5, s8
	v_add3_u32 v1, v1, v5, s8
	v_add_u32_e32 v61, s15, v91
	v_mad_u64_u32 v[92:93], s[8:9], v39, s11, v[6:7]
	v_lshlrev_b32_e32 v6, 2, v6
	v_cvt_f64_i32_e32 v[4:5], s1
	v_lshl_or_b32 v39, v7, 4, v6
	v_cvt_f64_u32_e32 v[6:7], v61
	v_min_f64 v[6:7], v[6:7], v[4:5]
	v_cvt_i32_f64_e32 v40, v[6:7]
	v_add_u32_e32 v6, 8, v61
	v_cvt_f64_u32_e32 v[6:7], v6
	v_min_f64 v[6:7], v[6:7], v[4:5]
	v_cvt_i32_f64_e32 v41, v[6:7]
	v_add_u32_e32 v6, 16, v61
	;; [unrolled: 4-line block ×8, first 2 shown]
	v_add_u32_e32 v6, 64, v57
	v_add_u32_e32 v7, 0x60, v57
	v_lshlrev_b32_e32 v47, 5, v57
	v_and_b32_e32 v7, 0x1fc, v7
	v_and_b32_e32 v6, 0x1fc, v6
	;; [unrolled: 1-line block ×4, first 2 shown]
	v_add_u32_e32 v7, v47, v7
	v_add_u32_e32 v6, v47, v6
	;; [unrolled: 1-line block ×4, first 2 shown]
	v_lshlrev_b32_e32 v0, 5, v33
	v_mov_b32_e32 v59, 0
	v_add_u32_e32 v67, v34, v0
	v_lshlrev_b32_e32 v0, 5, v37
	v_add_u32_e32 v71, v1, v0
	v_and_b32_e32 v0, 28, v2
	v_mov_b32_e32 v1, v59
	v_lshlrev_b32_e32 v32, 5, v30
	v_mad_u64_u32 v[94:95], s[8:9], v29, s0, v[2:3]
	v_lshl_add_u64 v[96:97], s[2:3], 0, v[0:1]
	v_mov_b32_e32 v0, 0x7280
	v_and_b32_e32 v58, 12, v2
	v_add_u32_e32 v65, v31, v32
	v_lshlrev_b32_e32 v31, 5, v35
	v_lshlrev_b32_e32 v2, 7, v8
	;; [unrolled: 1-line block ×7, first 2 shown]
	v_mul_lo_u32 v89, s11, v4
	v_lshlrev_b32_e32 v4, 7, v20
	v_lshl_add_u32 v95, v91, 4, v0
	v_lshlrev_b32_e32 v0, 7, v91
	v_mov_b32_e32 v98, v59
	v_mov_b32_e32 v99, v59
	v_add_u32_e32 v69, v36, v31
	v_add_u32_e32 v73, 0x7280, v39
	s_add_i32 s8, s5, 3
	v_mul_lo_u32 v75, s11, v40
	v_mul_lo_u32 v77, s11, v41
	;; [unrolled: 1-line block ×7, first 2 shown]
	v_lshrrev_b32_e32 v93, 3, v5
	v_add_u32_e32 v101, v38, v2
	v_add_u32_e32 v103, v38, v8
	;; [unrolled: 1-line block ×17, first 2 shown]
	s_mov_b32 s9, 0
	v_mul_lo_u32 v100, v3, s5
	v_mul_lo_u32 v102, v9, s5
	;; [unrolled: 1-line block ×20, first 2 shown]
	v_mul_u32_u24_e32 v141, 0x84, v57
	v_mad_u32_u24 v143, v57, s0, 64
	v_mov_b64_e32 v[146:147], v[98:99]
	v_mov_b64_e32 v[136:137], v[98:99]
	;; [unrolled: 1-line block ×15, first 2 shown]
	s_branch .LBB140_7
.LBB140_6:                              ;   in Loop: Header=BB140_7 Depth=1
	s_add_i32 s9, s9, 8
	s_add_i32 s8, s8, -8
	s_cmp_ge_i32 s9, s5
	s_cbranch_scc1 .LBB140_14
.LBB140_7:                              ; =>This Loop Header: Depth=1
                                        ;     Child Loop BB140_9 Depth 2
                                        ;     Child Loop BB140_12 Depth 2
	s_mul_i32 s0, s9, 20
	s_mul_hi_u32 s1, s9, 20
	s_add_u32 s0, s6, s0
	s_addc_u32 s1, s7, s1
	v_mad_u64_u32 v[0:1], s[16:17], v56, 20, s[0:1]
	v_mad_i64_i32 v[2:3], s[16:17], v100, 20, v[0:1]
	v_lshl_add_u64 v[2:3], v[2:3], 0, v[58:59]
	global_load_dword v2, v[2:3], off offset:4
	s_cmp_gt_u32 s8, 3
	s_waitcnt vmcnt(0)
	ds_write_b32 v60, v2
	v_mad_i64_i32 v[2:3], s[16:17], v102, 20, v[0:1]
	v_lshl_add_u64 v[2:3], v[2:3], 0, v[58:59]
	global_load_dword v2, v[2:3], off offset:4
	s_waitcnt vmcnt(0)
	ds_write_b32 v62, v2
	v_mad_i64_i32 v[2:3], s[16:17], v104, 20, v[0:1]
	v_lshl_add_u64 v[2:3], v[2:3], 0, v[58:59]
	global_load_dword v2, v[2:3], off offset:4
	s_waitcnt vmcnt(0)
	ds_write_b32 v64, v2
	v_mad_i64_i32 v[2:3], s[16:17], v106, 20, v[0:1]
	v_lshl_add_u64 v[2:3], v[2:3], 0, v[58:59]
	global_load_dword v2, v[2:3], off offset:4
	s_waitcnt vmcnt(0)
	ds_write_b32 v66, v2
	v_mad_i64_i32 v[2:3], s[16:17], v108, 20, v[0:1]
	v_lshl_add_u64 v[2:3], v[2:3], 0, v[58:59]
	global_load_dword v2, v[2:3], off offset:4
	s_waitcnt vmcnt(0)
	ds_write_b32 v68, v2
	v_mad_i64_i32 v[2:3], s[16:17], v110, 20, v[0:1]
	v_lshl_add_u64 v[2:3], v[2:3], 0, v[58:59]
	global_load_dword v2, v[2:3], off offset:4
	s_waitcnt vmcnt(0)
	ds_write_b32 v70, v2
	v_mad_i64_i32 v[2:3], s[16:17], v112, 20, v[0:1]
	v_lshl_add_u64 v[2:3], v[2:3], 0, v[58:59]
	global_load_dword v2, v[2:3], off offset:4
	s_waitcnt vmcnt(0)
	ds_write_b32 v72, v2
	v_mad_i64_i32 v[2:3], s[16:17], v114, 20, v[0:1]
	v_lshl_add_u64 v[2:3], v[2:3], 0, v[58:59]
	global_load_dword v2, v[2:3], off offset:4
	s_waitcnt vmcnt(0)
	ds_write_b32 v74, v2
	v_mad_i64_i32 v[2:3], s[16:17], v116, 20, v[0:1]
	v_lshl_add_u64 v[2:3], v[2:3], 0, v[58:59]
	global_load_dword v2, v[2:3], off offset:4
	s_waitcnt vmcnt(0)
	ds_write_b32 v76, v2
	v_mad_i64_i32 v[2:3], s[16:17], v118, 20, v[0:1]
	v_lshl_add_u64 v[2:3], v[2:3], 0, v[58:59]
	global_load_dword v2, v[2:3], off offset:4
	s_waitcnt vmcnt(0)
	ds_write_b32 v78, v2
	v_mad_i64_i32 v[2:3], s[16:17], v120, 20, v[0:1]
	v_lshl_add_u64 v[2:3], v[2:3], 0, v[58:59]
	global_load_dword v2, v[2:3], off offset:4
	s_waitcnt vmcnt(0)
	ds_write_b32 v80, v2
	v_mad_i64_i32 v[2:3], s[16:17], v122, 20, v[0:1]
	v_lshl_add_u64 v[2:3], v[2:3], 0, v[58:59]
	global_load_dword v2, v[2:3], off offset:4
	s_waitcnt vmcnt(0)
	ds_write_b32 v82, v2
	v_mad_i64_i32 v[2:3], s[16:17], v124, 20, v[0:1]
	v_lshl_add_u64 v[2:3], v[2:3], 0, v[58:59]
	global_load_dword v2, v[2:3], off offset:4
	s_waitcnt vmcnt(0)
	ds_write_b32 v84, v2
	v_mad_i64_i32 v[2:3], s[16:17], v126, 20, v[0:1]
	v_lshl_add_u64 v[2:3], v[2:3], 0, v[58:59]
	global_load_dword v2, v[2:3], off offset:4
	s_waitcnt vmcnt(0)
	ds_write_b32 v86, v2
	v_mad_i64_i32 v[2:3], s[16:17], v130, 20, v[0:1]
	v_mad_i64_i32 v[0:1], s[16:17], v132, 20, v[0:1]
	v_lshl_add_u64 v[2:3], v[2:3], 0, v[58:59]
	v_lshl_add_u64 v[0:1], v[0:1], 0, v[58:59]
	global_load_dword v2, v[2:3], off offset:4
	s_nop 0
	global_load_dword v0, v[0:1], off offset:4
	s_waitcnt vmcnt(1)
	ds_write_b32 v88, v2
	s_waitcnt vmcnt(0)
	ds_write_b32 v94, v0
	v_mad_u64_u32 v[0:1], s[0:1], v90, 20, s[0:1]
	v_mad_i64_i32 v[2:3], s[0:1], v134, 20, v[0:1]
	global_load_dword v2, v[2:3], off
	s_waitcnt vmcnt(0)
	ds_write_b32 v65, v2
	v_mad_i64_i32 v[2:3], s[0:1], v140, 20, v[0:1]
	global_load_dword v2, v[2:3], off
	s_waitcnt vmcnt(0)
	ds_write_b32 v67, v2
	v_mad_i64_i32 v[2:3], s[0:1], v142, 20, v[0:1]
	v_mad_i64_i32 v[0:1], s[0:1], v144, 20, v[0:1]
	global_load_dword v2, v[2:3], off
	s_nop 0
	global_load_dword v0, v[0:1], off
	s_waitcnt vmcnt(1)
	ds_write_b32 v69, v2
	s_waitcnt vmcnt(0)
	ds_write_b32 v71, v0
	s_cbranch_scc0 .LBB140_6
; %bb.8:                                ;   in Loop: Header=BB140_7 Depth=1
	v_add_u32_e32 v2, s9, v63
	v_add_u32_e32 v0, v2, v75
	v_mad_i64_i32 v[0:1], s[0:1], v0, 36, v[96:97]
	global_load_dword v0, v[0:1], off offset:4
	v_add_u32_e32 v145, s9, v92
	v_mov_b32_e32 v186, v117
	v_mov_b32_e32 v187, v95
	;; [unrolled: 1-line block ×7, first 2 shown]
	s_waitcnt vmcnt(0)
	ds_write_b32 v115, v0
	v_add_u32_e32 v0, v2, v77
	v_mad_i64_i32 v[0:1], s[0:1], v0, 36, v[96:97]
	global_load_dword v0, v[0:1], off offset:4
	s_waitcnt vmcnt(0)
	ds_write_b32 v101, v0
	v_add_u32_e32 v0, v2, v79
	v_mad_i64_i32 v[0:1], s[0:1], v0, 36, v[96:97]
	global_load_dword v0, v[0:1], off offset:4
	;; [unrolled: 5-line block ×7, first 2 shown]
	s_waitcnt vmcnt(0)
	ds_write_b32 v113, v0
	v_mad_u64_u32 v[0:1], s[0:1], v145, 36, s[2:3]
	global_load_dword v0, v[0:1], off
	s_mov_b32 s0, -4
	s_waitcnt vmcnt(0)
	ds_write_b32 v73, v0
	s_waitcnt lgkmcnt(0)
	s_barrier
.LBB140_9:                              ;   Parent Loop BB140_7 Depth=1
                                        ; =>  This Inner Loop Header: Depth=2
	ds_read_b128 v[40:43], v186
	ds_read_b128 v[0:3], v186 offset:16
	ds_read2_b32 v[170:171], v192 offset0:2 offset1:3
	v_add_u32_e32 v172, 0x1080, v192
	v_add_u32_e32 v173, 0x1088, v192
	;; [unrolled: 1-line block ×5, first 2 shown]
	ds_read2_b32 v[178:179], v192 offset1:1
	ds_read_b32 v180, v191
	v_add_u32_e32 v177, 0x3188, v192
	ds_read_b128 v[28:31], v186 offset:1024
	ds_read_b128 v[8:11], v186 offset:1040
	;; [unrolled: 1-line block ×12, first 2 shown]
	ds_read2_b32 v[184:185], v172 offset1:1
	ds_read2_b32 v[172:173], v173 offset1:1
	;; [unrolled: 1-line block ×6, first 2 shown]
	s_waitcnt lgkmcnt(14)
	v_and_b32_e32 v181, 0xf0f0f0f, v179
	v_lshrrev_b32_e32 v179, 4, v179
	v_lshrrev_b32_e32 v220, 4, v170
	v_mov_b32_e32 v193, 0
	v_mov_b32_e32 v194, 0
	v_mov_b32_e32 v195, 0
	v_mov_b32_e32 v196, 0
	v_and_b32_e32 v237, 0xf0f0f0f, v178
	v_lshrrev_b32_e32 v182, 4, v178
	v_and_b32_e32 v183, 0xf0f0f0f, v179
	v_and_b32_e32 v179, 0xf0f0f0f, v220
	s_waitcnt lgkmcnt(5)
	v_and_b32_e32 v224, 0xf0f0f0f, v184
	v_lshrrev_b32_e32 v220, 4, v184
	s_waitcnt lgkmcnt(3)
	v_and_b32_e32 v227, 0xf0f0f0f, v218
	v_lshrrev_b32_e32 v218, 4, v218
	;; [unrolled: 3-line block ×3, first 2 shown]
	v_and_b32_e32 v223, 0xf0f0f0f, v182
	v_dot4c_i32_i8_e32 v193, v237, v40
	v_and_b32_e32 v233, 0xf0f0f0f, v220
	v_dot4c_i32_i8_e32 v194, v224, v40
	;; [unrolled: 2-line block ×4, first 2 shown]
	v_mov_b32_e32 v197, 0
	v_mov_b32_e32 v198, 0
	;; [unrolled: 1-line block ×4, first 2 shown]
	v_and_b32_e32 v184, 0xf0f0f0f, v185
	v_lshrrev_b32_e32 v225, 4, v185
	v_lshrrev_b32_e32 v232, 4, v172
	v_and_b32_e32 v221, 0xf0f0f0f, v219
	v_lshrrev_b32_e32 v219, 4, v219
	v_lshrrev_b32_e32 v234, 4, v174
	v_and_b32_e32 v226, 0xf0f0f0f, v229
	v_lshrrev_b32_e32 v229, 4, v229
	v_dot4c_i32_i8_e32 v193, v223, v0
	v_dot4c_i32_i8_e32 v194, v233, v0
	;; [unrolled: 1-line block ×4, first 2 shown]
	v_and_b32_e32 v230, 0xf0f0f0f, v225
	v_and_b32_e32 v225, 0xf0f0f0f, v232
	;; [unrolled: 1-line block ×5, first 2 shown]
	v_dot4c_i32_i8_e32 v193, v181, v41
	v_dot4c_i32_i8_e32 v194, v184, v41
	v_dot4c_i32_i8_e32 v195, v221, v41
	v_dot4c_i32_i8_e32 v196, v226, v41
	v_dot4c_i32_i8_e32 v197, v237, v28
	v_dot4c_i32_i8_e32 v198, v224, v28
	v_dot4c_i32_i8_e32 v199, v227, v28
	v_dot4c_i32_i8_e32 v200, v231, v28
	v_and_b32_e32 v178, 0xf0f0f0f, v170
	v_and_b32_e32 v182, 0xf0f0f0f, v172
	v_and_b32_e32 v185, 0xf0f0f0f, v174
	s_waitcnt lgkmcnt(0)
	v_and_b32_e32 v222, 0xf0f0f0f, v176
	v_lshrrev_b32_e32 v238, 4, v176
	v_dot4c_i32_i8_e32 v193, v183, v1
	v_dot4c_i32_i8_e32 v194, v230, v1
	;; [unrolled: 1-line block ×8, first 2 shown]
	v_mov_b32_e32 v201, 0
	v_mov_b32_e32 v202, 0
	;; [unrolled: 1-line block ×8, first 2 shown]
	v_and_b32_e32 v229, 0xf0f0f0f, v238
	v_dot4c_i32_i8_e32 v193, v178, v42
	v_dot4c_i32_i8_e32 v194, v182, v42
	;; [unrolled: 1-line block ×12, first 2 shown]
	ds_read_b32 v2, v188
	v_dot4c_i32_i8_e32 v197, v183, v9
	v_dot4c_i32_i8_e32 v198, v230, v9
	;; [unrolled: 1-line block ×4, first 2 shown]
	ds_read_b32 v8, v189
	ds_read_b32 v9, v190
	ds_read2_b32 v[0:1], v187 offset1:32
	v_dot4c_i32_i8_e32 v201, v237, v32
	v_dot4c_i32_i8_e32 v202, v224, v32
	;; [unrolled: 1-line block ×32, first 2 shown]
	v_mov_b32_e32 v209, 0
	v_mov_b32_e32 v210, 0
	;; [unrolled: 1-line block ×4, first 2 shown]
	v_dot4c_i32_i8_e32 v197, v178, v30
	v_dot4c_i32_i8_e32 v198, v182, v30
	;; [unrolled: 1-line block ×12, first 2 shown]
	v_mov_b32_e32 v213, 0
	v_mov_b32_e32 v214, 0
	;; [unrolled: 1-line block ×4, first 2 shown]
	v_dot4c_i32_i8_e32 v197, v179, v10
	v_dot4c_i32_i8_e32 v198, v225, v10
	;; [unrolled: 1-line block ×8, first 2 shown]
	s_waitcnt lgkmcnt(0)
	v_pk_mul_f16 v10, v0, v2
	v_pk_mul_f16 v20, v0, v8
	;; [unrolled: 1-line block ×4, first 2 shown]
	v_dot4c_i32_i8_e32 v205, v179, v18
	v_dot4c_i32_i8_e32 v206, v225, v18
	;; [unrolled: 1-line block ×4, first 2 shown]
	v_pk_mul_f16 v16, v2, v1
	v_pk_mul_f16 v18, v8, v1
	;; [unrolled: 1-line block ×4, first 2 shown]
	ds_read2_b32 v[0:1], v187 offset0:64 offset1:96
	v_dot4c_i32_i8_e32 v209, v237, v44
	v_dot4c_i32_i8_e32 v210, v224, v44
	;; [unrolled: 1-line block ×12, first 2 shown]
	v_mov_b32_e32 v217, 0
	v_mov_b32_e32 v218, 0
	;; [unrolled: 1-line block ×4, first 2 shown]
	v_dot4c_i32_i8_e32 v209, v181, v45
	v_dot4c_i32_i8_e32 v210, v184, v45
	;; [unrolled: 1-line block ×20, first 2 shown]
	v_and_b32_e32 v170, 0xf0f0f0f, v171
	v_and_b32_e32 v172, 0xf0f0f0f, v173
	;; [unrolled: 1-line block ×4, first 2 shown]
	v_dot4c_i32_i8_e32 v209, v178, v46
	v_dot4c_i32_i8_e32 v210, v182, v46
	;; [unrolled: 1-line block ×24, first 2 shown]
	s_waitcnt lgkmcnt(0)
	v_pk_mul_f16 v30, v2, v0
	v_pk_mul_f16 v31, v8, v0
	v_dot4c_i32_i8_e32 v213, v178, v50
	v_dot4c_i32_i8_e32 v214, v182, v50
	;; [unrolled: 1-line block ×4, first 2 shown]
	v_pk_mul_f16 v36, v8, v1
	v_dot4c_i32_i8_e32 v217, v181, v53
	v_dot4c_i32_i8_e32 v218, v184, v53
	;; [unrolled: 1-line block ×4, first 2 shown]
	ds_read_b128 v[42:45], v186 offset:7168
	v_dot4c_i32_i8_e32 v201, v170, v35
	v_dot4c_i32_i8_e32 v202, v172, v35
	;; [unrolled: 1-line block ×8, first 2 shown]
	v_pk_mul_f16 v46, v9, v0
	v_pk_mul_f16 v238, v180, v0
	v_dot4c_i32_i8_e32 v213, v179, v14
	v_dot4c_i32_i8_e32 v214, v225, v14
	;; [unrolled: 1-line block ×4, first 2 shown]
	v_pk_mul_f16 v14, v2, v1
	v_pk_mul_f16 v47, v9, v1
	;; [unrolled: 1-line block ×3, first 2 shown]
	ds_read2_b32 v[0:1], v187 offset0:128 offset1:160
	v_dot4c_i32_i8_e32 v217, v183, v25
	v_dot4c_i32_i8_e32 v218, v230, v25
	;; [unrolled: 1-line block ×4, first 2 shown]
	v_cvt_f32_f16_e32 v25, v29
	v_cvt_f32_f16_e32 v24, v28
	v_cvt_f32_f16_sdwa v33, v29 dst_sel:DWORD dst_unused:UNUSED_PAD src0_sel:WORD_1
	v_cvt_f32_f16_sdwa v32, v28 dst_sel:DWORD dst_unused:UNUSED_PAD src0_sel:WORD_1
	v_cvt_f32_f16_e32 v38, v30
	v_cvt_f32_f16_sdwa v40, v30 dst_sel:DWORD dst_unused:UNUSED_PAD src0_sel:WORD_1
	v_cvt_f32_f16_e32 v35, v36
	v_cvt_f32_f16_e32 v34, v31
	v_cvt_f32_f16_sdwa v37, v36 dst_sel:DWORD dst_unused:UNUSED_PAD src0_sel:WORD_1
	v_cvt_f32_f16_sdwa v36, v31 dst_sel:DWORD dst_unused:UNUSED_PAD src0_sel:WORD_1
	ds_read_b128 v[28:31], v186 offset:7184
	v_mov_b32_e32 v6, 0
	v_dot4c_i32_i8_e32 v217, v178, v54
	v_dot4c_i32_i8_e32 v218, v182, v54
	;; [unrolled: 1-line block ×4, first 2 shown]
	s_waitcnt lgkmcnt(2)
	v_dot4c_i32_i8_e32 v6, v237, v42
	v_dot4c_i32_i8_e32 v205, v170, v39
	;; [unrolled: 1-line block ×13, first 2 shown]
	s_waitcnt lgkmcnt(1)
	v_pk_mul_f16 v50, v2, v0
	v_pk_mul_f16 v52, v8, v0
	;; [unrolled: 1-line block ×8, first 2 shown]
	ds_read2_b32 v[0:1], v187 offset0:192 offset1:224
	v_cvt_f32_f16_e32 v39, v14
	v_cvt_f32_f16_sdwa v41, v14 dst_sel:DWORD dst_unused:UNUSED_PAD src0_sel:WORD_1
	s_waitcnt lgkmcnt(1)
	v_dot4c_i32_i8_e32 v6, v223, v28
	v_mov_b32_e32 v14, 0
	v_mov_b32_e32 v26, 0
	;; [unrolled: 1-line block ×3, first 2 shown]
	v_dot4c_i32_i8_e32 v14, v224, v42
	v_dot4c_i32_i8_e32 v26, v227, v42
	;; [unrolled: 1-line block ×15, first 2 shown]
	s_waitcnt lgkmcnt(0)
	v_pk_mul_f16 v243, v2, v0
	v_pk_mul_f16 v244, v2, v1
	v_lshrrev_b32_e32 v2, 4, v171
	v_dot4c_i32_i8_e32 v6, v179, v30
	v_dot4c_i32_i8_e32 v14, v182, v44
	;; [unrolled: 1-line block ×8, first 2 shown]
	v_lshrrev_b32_e32 v54, 4, v173
	v_lshrrev_b32_e32 v55, 4, v175
	;; [unrolled: 1-line block ×3, first 2 shown]
	v_dot4c_i32_i8_e32 v6, v170, v45
	v_dot4c_i32_i8_e32 v14, v225, v30
	;; [unrolled: 1-line block ×4, first 2 shown]
	v_and_b32_e32 v224, 0xf0f0f0f, v2
	v_dot4c_i32_i8_e32 v14, v172, v45
	v_dot4c_i32_i8_e32 v26, v174, v45
	;; [unrolled: 1-line block ×3, first 2 shown]
	v_and_b32_e32 v30, 0xf0f0f0f, v54
	v_and_b32_e32 v221, 0xf0f0f0f, v55
	;; [unrolled: 1-line block ×3, first 2 shown]
	v_dot4c_i32_i8_e32 v193, v224, v3
	v_dot4c_i32_i8_e32 v197, v224, v11
	;; [unrolled: 1-line block ×6, first 2 shown]
	v_pk_mul_f16 v245, v8, v0
	v_pk_mul_f16 v246, v8, v1
	;; [unrolled: 1-line block ×6, first 2 shown]
	v_cvt_f32_f16_e32 v5, v16
	v_cvt_f32_f16_e32 v4, v10
	v_cvt_f32_f16_sdwa v17, v16 dst_sel:DWORD dst_unused:UNUSED_PAD src0_sel:WORD_1
	v_cvt_f32_f16_sdwa v16, v10 dst_sel:DWORD dst_unused:UNUSED_PAD src0_sel:WORD_1
	v_dot4c_i32_i8_e32 v194, v30, v3
	v_dot4c_i32_i8_e32 v195, v221, v3
	;; [unrolled: 1-line block ×6, first 2 shown]
	v_cvt_f32_f16_e32 v181, v244
	v_cvt_f32_f16_e32 v180, v243
	v_cvt_f32_f16_sdwa v183, v244 dst_sel:DWORD dst_unused:UNUSED_PAD src0_sel:WORD_1
	v_cvt_f32_f16_sdwa v182, v243 dst_sel:DWORD dst_unused:UNUSED_PAD src0_sel:WORD_1
	v_dot4c_i32_i8_e32 v202, v30, v23
	v_dot4c_i32_i8_e32 v203, v221, v23
	;; [unrolled: 1-line block ×20, first 2 shown]
	v_cvt_f32_i32_e32 v31, v197
	v_cvt_f32_i32_e32 v30, v193
	;; [unrolled: 1-line block ×6, first 2 shown]
	v_cvt_f32_f16_e32 v1, v18
	v_cvt_f32_f16_e32 v0, v20
	v_cvt_f32_f16_sdwa v9, v18 dst_sel:DWORD dst_unused:UNUSED_PAD src0_sel:WORD_1
	v_cvt_f32_f16_sdwa v8, v20 dst_sel:DWORD dst_unused:UNUSED_PAD src0_sel:WORD_1
	v_cvt_f32_f16_e32 v13, v21
	v_cvt_f32_f16_e32 v12, v22
	v_cvt_f32_f16_sdwa v21, v21 dst_sel:DWORD dst_unused:UNUSED_PAD src0_sel:WORD_1
	v_cvt_f32_f16_sdwa v20, v22 dst_sel:DWORD dst_unused:UNUSED_PAD src0_sel:WORD_1
	v_cvt_f32_f16_e32 v29, v47
	v_cvt_f32_f16_e32 v28, v46
	v_cvt_f32_f16_sdwa v43, v47 dst_sel:DWORD dst_unused:UNUSED_PAD src0_sel:WORD_1
	v_cvt_f32_f16_sdwa v42, v46 dst_sel:DWORD dst_unused:UNUSED_PAD src0_sel:WORD_1
	v_cvt_f32_f16_e32 v45, v48
	v_cvt_f32_f16_e32 v44, v238
	v_cvt_f32_f16_sdwa v47, v48 dst_sel:DWORD dst_unused:UNUSED_PAD src0_sel:WORD_1
	v_cvt_f32_f16_sdwa v46, v238 dst_sel:DWORD dst_unused:UNUSED_PAD src0_sel:WORD_1
	v_cvt_f32_f16_e32 v49, v51
	v_cvt_f32_f16_e32 v48, v50
	v_cvt_f32_f16_sdwa v51, v51 dst_sel:DWORD dst_unused:UNUSED_PAD src0_sel:WORD_1
	v_cvt_f32_f16_sdwa v50, v50 dst_sel:DWORD dst_unused:UNUSED_PAD src0_sel:WORD_1
	v_cvt_f32_f16_e32 v3, v53
	v_cvt_f32_f16_e32 v2, v52
	v_cvt_f32_f16_sdwa v53, v53 dst_sel:DWORD dst_unused:UNUSED_PAD src0_sel:WORD_1
	v_cvt_f32_f16_sdwa v52, v52 dst_sel:DWORD dst_unused:UNUSED_PAD src0_sel:WORD_1
	v_cvt_f32_f16_e32 v55, v241
	v_cvt_f32_f16_e32 v54, v239
	v_cvt_f32_f16_sdwa v171, v241 dst_sel:DWORD dst_unused:UNUSED_PAD src0_sel:WORD_1
	v_cvt_f32_f16_sdwa v170, v239 dst_sel:DWORD dst_unused:UNUSED_PAD src0_sel:WORD_1
	v_cvt_f32_f16_e32 v11, v242
	v_cvt_f32_f16_e32 v10, v240
	v_cvt_f32_f16_sdwa v173, v242 dst_sel:DWORD dst_unused:UNUSED_PAD src0_sel:WORD_1
	v_cvt_f32_f16_sdwa v172, v240 dst_sel:DWORD dst_unused:UNUSED_PAD src0_sel:WORD_1
	v_cvt_f32_f16_e32 v23, v246
	v_cvt_f32_f16_e32 v22, v245
	v_cvt_f32_f16_sdwa v175, v246 dst_sel:DWORD dst_unused:UNUSED_PAD src0_sel:WORD_1
	v_cvt_f32_f16_sdwa v174, v245 dst_sel:DWORD dst_unused:UNUSED_PAD src0_sel:WORD_1
	v_cvt_f32_f16_e32 v177, v248
	v_cvt_f32_f16_e32 v176, v247
	v_cvt_f32_f16_sdwa v179, v248 dst_sel:DWORD dst_unused:UNUSED_PAD src0_sel:WORD_1
	v_cvt_f32_f16_sdwa v178, v247 dst_sel:DWORD dst_unused:UNUSED_PAD src0_sel:WORD_1
	v_cvt_f32_f16_e32 v19, v250
	v_cvt_f32_f16_e32 v18, v249
	v_cvt_f32_f16_sdwa v185, v250 dst_sel:DWORD dst_unused:UNUSED_PAD src0_sel:WORD_1
	v_cvt_f32_f16_sdwa v184, v249 dst_sel:DWORD dst_unused:UNUSED_PAD src0_sel:WORD_1
	v_cvt_f32_i32_e32 v227, v213
	v_cvt_f32_i32_e32 v226, v209
	v_cvt_f32_i32_e32 v229, v198
	v_cvt_f32_i32_e32 v228, v194
	v_cvt_f32_i32_e32 v199, v199
	v_cvt_f32_i32_e32 v198, v195
	v_cvt_f32_i32_e32 v195, v200
	v_cvt_f32_i32_e32 v194, v196
	v_cvt_f32_i32_e32 v197, v206
	v_cvt_f32_i32_e32 v196, v202
	v_cvt_f32_i32_e32 v201, v207
	v_cvt_f32_i32_e32 v200, v203
	v_cvt_f32_i32_e32 v203, v208
	v_cvt_f32_i32_e32 v202, v204
	v_cvt_f32_i32_e32 v205, v214
	v_cvt_f32_i32_e32 v204, v210
	v_cvt_f32_i32_e32 v207, v215
	v_cvt_f32_i32_e32 v206, v211
	v_cvt_f32_i32_e32 v209, v216
	v_cvt_f32_i32_e32 v208, v212
	v_cvt_f32_i32_e32 v15, v14
	v_cvt_f32_i32_e32 v14, v218
	v_cvt_f32_i32_e32 v27, v26
	v_cvt_f32_i32_e32 v26, v219
	v_cvt_f32_i32_e32 v211, v223
	v_cvt_f32_i32_e32 v210, v220
	v_pk_fma_f32 v[4:5], v[4:5], v[30:31], v[16:17]
	v_pk_fma_f32 v[16:17], v[224:225], v[38:39], v[40:41]
	;; [unrolled: 1-line block ×3, first 2 shown]
	s_add_i32 s0, s0, 4
	v_pk_fma_f32 v[30:31], v[226:227], v[48:49], v[50:51]
	v_pk_add_f32 v[98:99], v[98:99], v[4:5]
	v_pk_fma_f32 v[0:1], v[0:1], v[228:229], v[8:9]
	v_pk_fma_f32 v[4:5], v[12:13], v[198:199], v[20:21]
	;; [unrolled: 1-line block ×3, first 2 shown]
	v_pk_add_f32 v[146:147], v[146:147], v[16:17]
	v_pk_fma_f32 v[12:13], v[196:197], v[34:35], v[36:37]
	v_pk_fma_f32 v[16:17], v[200:201], v[28:29], v[42:43]
	;; [unrolled: 1-line block ×6, first 2 shown]
	v_pk_add_f32 v[128:129], v[128:129], v[6:7]
	v_pk_fma_f32 v[6:7], v[14:15], v[22:23], v[174:175]
	v_pk_fma_f32 v[14:15], v[26:27], v[176:177], v[178:179]
	;; [unrolled: 1-line block ×3, first 2 shown]
	v_add_u32_e32 v192, 16, v192
	v_add_u32_e32 v191, 4, v191
	v_add_u32_e32 v190, 4, v190
	v_add_u32_e32 v189, 4, v189
	v_add_u32_e32 v188, 4, v188
	v_add_u32_e32 v187, 4, v187
	v_add_u32_e32 v186, 32, v186
	s_cmp_lt_u32 s0, 12
	v_pk_add_f32 v[136:137], v[136:137], v[30:31]
	v_pk_add_f32 v[158:159], v[158:159], v[0:1]
	;; [unrolled: 1-line block ×13, first 2 shown]
	s_cbranch_scc1 .LBB140_9
; %bb.10:                               ;   in Loop: Header=BB140_7 Depth=1
	s_and_b32 s0, s8, -4
	s_cmp_eq_u32 s0, 4
	s_barrier
	s_cbranch_scc1 .LBB140_6
; %bb.11:                               ;   in Loop: Header=BB140_7 Depth=1
	v_add_u32_e32 v14, s9, v93
	v_add_u32_e32 v0, v14, v75
	;; [unrolled: 1-line block ×6, first 2 shown]
	v_mad_i64_i32 v[0:1], s[0:1], v0, 36, v[96:97]
	v_mad_i64_i32 v[2:3], s[0:1], v2, 36, v[96:97]
	;; [unrolled: 1-line block ×4, first 2 shown]
	v_add_u32_e32 v8, v14, v83
	v_add_u32_e32 v10, v14, v85
	;; [unrolled: 1-line block ×4, first 2 shown]
	v_mad_u64_u32 v[16:17], s[0:1], v16, 36, s[2:3]
	v_mad_i64_i32 v[8:9], s[0:1], v8, 36, v[96:97]
	v_mad_i64_i32 v[10:11], s[0:1], v10, 36, v[96:97]
	;; [unrolled: 1-line block ×4, first 2 shown]
	global_load_dword v16, v[16:17], off
	s_nop 0
	global_load_dword v0, v[0:1], off offset:4
	s_nop 0
	global_load_dword v1, v[2:3], off offset:4
	;; [unrolled: 2-line block ×3, first 2 shown]
	global_load_dword v3, v[6:7], off offset:4
	s_nop 0
	global_load_dword v4, v[8:9], off offset:4
	global_load_dword v5, v[10:11], off offset:4
                                        ; kill: killed $vgpr8_vgpr9
                                        ; kill: killed $vgpr10_vgpr11
	global_load_dword v6, v[12:13], off offset:4
	global_load_dword v7, v[14:15], off offset:4
	s_mov_b32 s0, 12
	v_mov_b32_e32 v10, v95
	v_mov_b32_e32 v11, v117
	;; [unrolled: 1-line block ×6, first 2 shown]
	s_waitcnt vmcnt(8)
	ds_write_b32 v73, v16
	s_waitcnt vmcnt(7)
	ds_write_b32 v115, v0
	s_waitcnt vmcnt(6)
	ds_write_b32 v101, v1
	s_waitcnt vmcnt(5)
	ds_write_b32 v103, v2
	s_waitcnt vmcnt(4)
	ds_write_b32 v105, v3
	s_waitcnt vmcnt(3)
	ds_write_b32 v107, v4
	s_waitcnt vmcnt(2)
	ds_write_b32 v109, v5
	s_waitcnt vmcnt(1)
	ds_write_b32 v111, v6
	s_waitcnt vmcnt(0)
	ds_write_b32 v113, v7
	v_mov_b32_e32 v16, v143
	s_waitcnt lgkmcnt(0)
	s_barrier
.LBB140_12:                             ;   Parent Loop BB140_7 Depth=1
                                        ; =>  This Inner Loop Header: Depth=2
	ds_read_b128 v[0:3], v11
	ds_read_b128 v[4:7], v11 offset:16
	ds_read2_b32 v[8:9], v10 offset1:32
	ds_read_b32 v17, v12
	ds_read2_b32 v[22:23], v16 offset1:1
	ds_read2_b32 v[24:25], v16 offset0:2 offset1:3
	v_add_u32_e32 v36, 0x2108, v16
	v_add_u32_e32 v41, 0x3180, v16
	v_mov_b32_e32 v53, 0
	s_waitcnt lgkmcnt(1)
	v_lshrrev_b32_e32 v20, 4, v23
	v_and_b32_e32 v18, 0xf0f0f0f, v22
	v_lshrrev_b32_e32 v19, 4, v22
	v_and_b32_e32 v22, 0xf0f0f0f, v20
	s_waitcnt lgkmcnt(0)
	v_lshrrev_b32_e32 v20, 4, v24
	v_and_b32_e32 v31, 0xf0f0f0f, v20
	v_lshrrev_b32_e32 v20, 4, v25
	v_and_b32_e32 v21, 0xf0f0f0f, v23
	v_and_b32_e32 v30, 0xf0f0f0f, v24
	;; [unrolled: 1-line block ×4, first 2 shown]
	v_add_u32_e32 v23, 0x1080, v16
	ds_read_b32 v20, v13
	ds_read2_b32 v[24:25], v23 offset1:1
	v_mov_b32_e32 v174, 0
	v_mov_b32_e32 v176, 0
	;; [unrolled: 1-line block ×3, first 2 shown]
	v_and_b32_e32 v19, 0xf0f0f0f, v19
	s_waitcnt lgkmcnt(0)
	v_and_b32_e32 v26, 0xf0f0f0f, v25
	v_lshrrev_b32_e32 v25, 4, v25
	v_and_b32_e32 v27, 0xf0f0f0f, v25
	v_add_u32_e32 v25, 0x1088, v16
	ds_read2_b32 v[28:29], v25 offset1:1
	v_and_b32_e32 v23, 0xf0f0f0f, v24
	v_lshrrev_b32_e32 v24, 4, v24
	v_dot4c_i32_i8_e32 v53, v18, v0
	v_and_b32_e32 v24, 0xf0f0f0f, v24
	s_waitcnt lgkmcnt(0)
	v_lshrrev_b32_e32 v25, 4, v28
	v_and_b32_e32 v38, 0xf0f0f0f, v25
	v_lshrrev_b32_e32 v25, 4, v29
	v_and_b32_e32 v37, 0xf0f0f0f, v28
	v_and_b32_e32 v40, 0xf0f0f0f, v25
	v_add_u32_e32 v28, 0x2100, v16
	ds_read_b32 v25, v14
	ds_read2_b32 v[34:35], v28 offset1:1
	ds_read2_b32 v[48:49], v36 offset1:1
	v_and_b32_e32 v39, 0xf0f0f0f, v29
	v_dot4c_i32_i8_e32 v174, v23, v0
	v_dot4c_i32_i8_e32 v53, v19, v4
	s_waitcnt lgkmcnt(1)
	v_and_b32_e32 v28, 0xf0f0f0f, v34
	s_waitcnt lgkmcnt(0)
	v_lshrrev_b32_e32 v36, 4, v48
	v_and_b32_e32 v45, 0xf0f0f0f, v36
	v_lshrrev_b32_e32 v36, 4, v49
	v_and_b32_e32 v43, 0xf0f0f0f, v48
	v_and_b32_e32 v48, 0xf0f0f0f, v36
	ds_read_b32 v36, v15
	ds_read2_b32 v[50:51], v41 offset1:1
	v_lshrrev_b32_e32 v29, 4, v34
	v_and_b32_e32 v29, 0xf0f0f0f, v29
	v_dot4c_i32_i8_e32 v176, v28, v0
	v_dot4c_i32_i8_e32 v174, v24, v4
	s_waitcnt lgkmcnt(0)
	v_and_b32_e32 v41, 0xf0f0f0f, v50
	v_lshrrev_b32_e32 v42, 4, v50
	v_and_b32_e32 v42, 0xf0f0f0f, v42
	v_dot4c_i32_i8_e32 v178, v41, v0
	v_lshrrev_b32_e32 v0, 4, v51
	v_dot4c_i32_i8_e32 v176, v29, v4
	v_and_b32_e32 v34, 0xf0f0f0f, v35
	v_dot4c_i32_i8_e32 v178, v42, v4
	v_and_b32_e32 v44, 0xf0f0f0f, v51
	v_and_b32_e32 v46, 0xf0f0f0f, v0
	v_add_u32_e32 v0, 0x3188, v16
	v_dot4c_i32_i8_e32 v53, v21, v1
	v_dot4c_i32_i8_e32 v174, v26, v1
	;; [unrolled: 1-line block ×4, first 2 shown]
	ds_read2_b32 v[0:1], v0 offset1:1
	v_lshrrev_b32_e32 v35, 4, v35
	v_and_b32_e32 v35, 0xf0f0f0f, v35
	v_dot4c_i32_i8_e32 v53, v22, v5
	v_dot4c_i32_i8_e32 v174, v27, v5
	;; [unrolled: 1-line block ×3, first 2 shown]
	v_and_b32_e32 v47, 0xf0f0f0f, v49
	v_dot4c_i32_i8_e32 v178, v46, v5
	s_waitcnt lgkmcnt(0)
	v_and_b32_e32 v49, 0xf0f0f0f, v0
	v_lshrrev_b32_e32 v0, 4, v0
	v_dot4c_i32_i8_e32 v53, v30, v2
	v_dot4c_i32_i8_e32 v174, v37, v2
	;; [unrolled: 1-line block ×3, first 2 shown]
	v_and_b32_e32 v50, 0xf0f0f0f, v0
	v_dot4c_i32_i8_e32 v178, v49, v2
	v_dot4c_i32_i8_e32 v53, v31, v6
	;; [unrolled: 1-line block ×5, first 2 shown]
	v_and_b32_e32 v51, 0xf0f0f0f, v1
	v_lshrrev_b32_e32 v0, 4, v1
	v_dot4c_i32_i8_e32 v53, v32, v3
	v_dot4c_i32_i8_e32 v174, v39, v3
	;; [unrolled: 1-line block ×3, first 2 shown]
	v_and_b32_e32 v52, 0xf0f0f0f, v0
	v_dot4c_i32_i8_e32 v178, v51, v3
	v_dot4c_i32_i8_e32 v53, v33, v7
	v_dot4c_i32_i8_e32 v174, v40, v7
	v_dot4c_i32_i8_e32 v176, v48, v7
	v_dot4c_i32_i8_e32 v178, v52, v7
	ds_read_b128 v[0:3], v11 offset:1024
	ds_read_b128 v[4:7], v11 offset:1040
	v_mov_b32_e32 v172, 0
	v_pk_mul_f16 v145, v8, v17
	v_pk_mul_f16 v170, v17, v9
	s_waitcnt lgkmcnt(1)
	v_dot4c_i32_i8_e32 v172, v18, v0
	s_waitcnt lgkmcnt(0)
	v_dot4c_i32_i8_e32 v172, v19, v4
	v_dot4c_i32_i8_e32 v172, v21, v1
	;; [unrolled: 1-line block ×7, first 2 shown]
	v_cvt_f32_f16_e32 v55, v170
	v_cvt_f32_f16_e32 v54, v145
	v_cvt_f32_f16_sdwa v171, v170 dst_sel:DWORD dst_unused:UNUSED_PAD src0_sel:WORD_1
	v_cvt_f32_i32_e32 v173, v172
	v_cvt_f32_i32_e32 v172, v53
	v_mov_b32_e32 v53, 0
	v_dot4c_i32_i8_e32 v53, v23, v0
	v_dot4c_i32_i8_e32 v53, v24, v4
	;; [unrolled: 1-line block ×4, first 2 shown]
	v_cvt_f32_f16_sdwa v170, v145 dst_sel:DWORD dst_unused:UNUSED_PAD src0_sel:WORD_1
	v_dot4c_i32_i8_e32 v53, v37, v2
	v_dot4c_i32_i8_e32 v53, v38, v6
	v_dot4c_i32_i8_e32 v53, v39, v3
	v_dot4c_i32_i8_e32 v53, v40, v7
	v_pk_fma_f32 v[54:55], v[54:55], v[172:173], v[170:171]
	v_pk_mul_f16 v175, v8, v20
	v_pk_mul_f16 v145, v20, v9
	v_cvt_f32_i32_e32 v173, v53
	v_mov_b32_e32 v53, 0
	v_dot4c_i32_i8_e32 v53, v28, v0
	v_dot4c_i32_i8_e32 v53, v29, v4
	;; [unrolled: 1-line block ×4, first 2 shown]
	v_pk_add_f32 v[98:99], v[98:99], v[54:55]
	v_cvt_f32_f16_e32 v55, v145
	v_cvt_f32_f16_e32 v54, v175
	v_cvt_f32_f16_sdwa v171, v145 dst_sel:DWORD dst_unused:UNUSED_PAD src0_sel:WORD_1
	v_cvt_f32_f16_sdwa v170, v175 dst_sel:DWORD dst_unused:UNUSED_PAD src0_sel:WORD_1
	v_cvt_f32_i32_e32 v172, v174
	v_dot4c_i32_i8_e32 v53, v43, v2
	v_dot4c_i32_i8_e32 v53, v45, v6
	;; [unrolled: 1-line block ×4, first 2 shown]
	v_pk_fma_f32 v[54:55], v[54:55], v[172:173], v[170:171]
	v_pk_mul_f16 v177, v8, v25
	v_pk_mul_f16 v8, v8, v36
	v_cvt_f32_i32_e32 v173, v53
	v_mov_b32_e32 v53, 0
	v_dot4c_i32_i8_e32 v53, v41, v0
	v_dot4c_i32_i8_e32 v53, v42, v4
	;; [unrolled: 1-line block ×8, first 2 shown]
	v_pk_mul_f16 v2, v36, v9
	v_cvt_f32_f16_e32 v0, v8
	v_cvt_f32_f16_e32 v1, v2
	v_cvt_f32_f16_sdwa v3, v2 dst_sel:DWORD dst_unused:UNUSED_PAD src0_sel:WORD_1
	v_cvt_f32_f16_sdwa v2, v8 dst_sel:DWORD dst_unused:UNUSED_PAD src0_sel:WORD_1
	v_cvt_f32_i32_e32 v5, v53
	v_cvt_f32_i32_e32 v4, v178
	v_pk_mul_f16 v145, v25, v9
	v_cvt_f32_i32_e32 v172, v176
	v_mov_b32_e32 v53, 0
	v_pk_fma_f32 v[0:1], v[0:1], v[4:5], v[2:3]
	v_mov_b32_e32 v174, 0
	v_pk_add_f32 v[168:169], v[168:169], v[0:1]
	ds_read_b128 v[0:3], v11 offset:2048
	ds_read_b128 v[4:7], v11 offset:2064
	ds_read2_b32 v[8:9], v10 offset0:64 offset1:96
	v_mov_b32_e32 v176, 0
	v_mov_b32_e32 v178, 0
	s_waitcnt lgkmcnt(2)
	v_dot4c_i32_i8_e32 v53, v18, v0
	v_dot4c_i32_i8_e32 v174, v23, v0
	;; [unrolled: 1-line block ×4, first 2 shown]
	s_waitcnt lgkmcnt(1)
	v_dot4c_i32_i8_e32 v53, v19, v4
	v_dot4c_i32_i8_e32 v174, v24, v4
	;; [unrolled: 1-line block ×20, first 2 shown]
	v_pk_add_f32 v[158:159], v[158:159], v[54:55]
	v_cvt_f32_f16_e32 v55, v145
	v_cvt_f32_f16_e32 v54, v177
	v_cvt_f32_f16_sdwa v171, v145 dst_sel:DWORD dst_unused:UNUSED_PAD src0_sel:WORD_1
	v_cvt_f32_f16_sdwa v170, v177 dst_sel:DWORD dst_unused:UNUSED_PAD src0_sel:WORD_1
	v_dot4c_i32_i8_e32 v53, v32, v3
	v_dot4c_i32_i8_e32 v174, v39, v3
	;; [unrolled: 1-line block ×8, first 2 shown]
	ds_read_b128 v[0:3], v11 offset:3072
	ds_read_b128 v[4:7], v11 offset:3088
	v_pk_fma_f32 v[54:55], v[54:55], v[172:173], v[170:171]
	v_mov_b32_e32 v172, 0
	s_waitcnt lgkmcnt(2)
	v_pk_mul_f16 v145, v17, v8
	s_waitcnt lgkmcnt(1)
	v_dot4c_i32_i8_e32 v172, v18, v0
	s_waitcnt lgkmcnt(0)
	v_dot4c_i32_i8_e32 v172, v19, v4
	v_dot4c_i32_i8_e32 v172, v21, v1
	;; [unrolled: 1-line block ×7, first 2 shown]
	v_pk_mul_f16 v170, v17, v9
	v_pk_add_f32 v[164:165], v[164:165], v[54:55]
	v_cvt_f32_f16_e32 v55, v170
	v_cvt_f32_i32_e32 v173, v172
	v_cvt_f32_i32_e32 v172, v53
	v_mov_b32_e32 v53, 0
	v_dot4c_i32_i8_e32 v53, v23, v0
	v_dot4c_i32_i8_e32 v53, v24, v4
	;; [unrolled: 1-line block ×4, first 2 shown]
	v_cvt_f32_f16_e32 v54, v145
	v_cvt_f32_f16_sdwa v171, v170 dst_sel:DWORD dst_unused:UNUSED_PAD src0_sel:WORD_1
	v_cvt_f32_f16_sdwa v170, v145 dst_sel:DWORD dst_unused:UNUSED_PAD src0_sel:WORD_1
	v_dot4c_i32_i8_e32 v53, v37, v2
	v_dot4c_i32_i8_e32 v53, v38, v6
	v_dot4c_i32_i8_e32 v53, v39, v3
	v_dot4c_i32_i8_e32 v53, v40, v7
	v_pk_fma_f32 v[54:55], v[172:173], v[54:55], v[170:171]
	v_pk_mul_f16 v175, v20, v8
	v_pk_mul_f16 v145, v20, v9
	v_cvt_f32_i32_e32 v173, v53
	v_mov_b32_e32 v53, 0
	v_dot4c_i32_i8_e32 v53, v28, v0
	v_dot4c_i32_i8_e32 v53, v29, v4
	;; [unrolled: 1-line block ×4, first 2 shown]
	v_pk_add_f32 v[146:147], v[146:147], v[54:55]
	v_cvt_f32_f16_e32 v55, v145
	v_cvt_f32_f16_e32 v54, v175
	v_cvt_f32_f16_sdwa v171, v145 dst_sel:DWORD dst_unused:UNUSED_PAD src0_sel:WORD_1
	v_cvt_f32_f16_sdwa v170, v175 dst_sel:DWORD dst_unused:UNUSED_PAD src0_sel:WORD_1
	v_cvt_f32_i32_e32 v172, v174
	v_dot4c_i32_i8_e32 v53, v43, v2
	v_dot4c_i32_i8_e32 v53, v45, v6
	;; [unrolled: 1-line block ×4, first 2 shown]
	v_pk_fma_f32 v[54:55], v[172:173], v[54:55], v[170:171]
	v_pk_mul_f16 v177, v25, v8
	v_pk_mul_f16 v8, v36, v8
	v_cvt_f32_i32_e32 v173, v53
	v_mov_b32_e32 v53, 0
	v_dot4c_i32_i8_e32 v53, v41, v0
	v_dot4c_i32_i8_e32 v53, v42, v4
	;; [unrolled: 1-line block ×8, first 2 shown]
	v_pk_mul_f16 v2, v36, v9
	v_cvt_f32_f16_e32 v0, v8
	v_cvt_f32_f16_e32 v1, v2
	v_cvt_f32_f16_sdwa v3, v2 dst_sel:DWORD dst_unused:UNUSED_PAD src0_sel:WORD_1
	v_cvt_f32_f16_sdwa v2, v8 dst_sel:DWORD dst_unused:UNUSED_PAD src0_sel:WORD_1
	v_cvt_f32_i32_e32 v5, v53
	v_cvt_f32_i32_e32 v4, v178
	v_pk_mul_f16 v145, v25, v9
	v_cvt_f32_i32_e32 v172, v176
	v_mov_b32_e32 v53, 0
	v_pk_fma_f32 v[0:1], v[4:5], v[0:1], v[2:3]
	v_mov_b32_e32 v174, 0
	v_pk_add_f32 v[166:167], v[166:167], v[0:1]
	ds_read_b128 v[0:3], v11 offset:4096
	ds_read_b128 v[4:7], v11 offset:4112
	ds_read2_b32 v[8:9], v10 offset0:128 offset1:160
	v_mov_b32_e32 v176, 0
	v_mov_b32_e32 v178, 0
	s_waitcnt lgkmcnt(2)
	v_dot4c_i32_i8_e32 v53, v18, v0
	v_dot4c_i32_i8_e32 v174, v23, v0
	;; [unrolled: 1-line block ×4, first 2 shown]
	s_waitcnt lgkmcnt(1)
	v_dot4c_i32_i8_e32 v53, v19, v4
	v_dot4c_i32_i8_e32 v174, v24, v4
	;; [unrolled: 1-line block ×20, first 2 shown]
	v_pk_add_f32 v[152:153], v[152:153], v[54:55]
	v_cvt_f32_f16_e32 v55, v145
	v_cvt_f32_f16_e32 v54, v177
	v_cvt_f32_f16_sdwa v171, v145 dst_sel:DWORD dst_unused:UNUSED_PAD src0_sel:WORD_1
	v_cvt_f32_f16_sdwa v170, v177 dst_sel:DWORD dst_unused:UNUSED_PAD src0_sel:WORD_1
	v_dot4c_i32_i8_e32 v53, v32, v3
	v_dot4c_i32_i8_e32 v174, v39, v3
	;; [unrolled: 1-line block ×8, first 2 shown]
	ds_read_b128 v[0:3], v11 offset:5120
	ds_read_b128 v[4:7], v11 offset:5136
	v_pk_fma_f32 v[54:55], v[172:173], v[54:55], v[170:171]
	v_mov_b32_e32 v172, 0
	s_waitcnt lgkmcnt(2)
	v_pk_mul_f16 v145, v17, v8
	s_waitcnt lgkmcnt(1)
	v_dot4c_i32_i8_e32 v172, v18, v0
	s_waitcnt lgkmcnt(0)
	v_dot4c_i32_i8_e32 v172, v19, v4
	v_dot4c_i32_i8_e32 v172, v21, v1
	;; [unrolled: 1-line block ×7, first 2 shown]
	v_pk_mul_f16 v170, v17, v9
	v_pk_add_f32 v[160:161], v[160:161], v[54:55]
	v_cvt_f32_f16_e32 v55, v170
	v_cvt_f32_i32_e32 v173, v172
	v_cvt_f32_i32_e32 v172, v53
	v_mov_b32_e32 v53, 0
	v_dot4c_i32_i8_e32 v53, v23, v0
	v_dot4c_i32_i8_e32 v53, v24, v4
	;; [unrolled: 1-line block ×4, first 2 shown]
	v_cvt_f32_f16_e32 v54, v145
	v_cvt_f32_f16_sdwa v171, v170 dst_sel:DWORD dst_unused:UNUSED_PAD src0_sel:WORD_1
	v_cvt_f32_f16_sdwa v170, v145 dst_sel:DWORD dst_unused:UNUSED_PAD src0_sel:WORD_1
	v_dot4c_i32_i8_e32 v53, v37, v2
	v_dot4c_i32_i8_e32 v53, v38, v6
	;; [unrolled: 1-line block ×4, first 2 shown]
	v_pk_fma_f32 v[54:55], v[172:173], v[54:55], v[170:171]
	v_pk_mul_f16 v175, v20, v8
	v_pk_mul_f16 v145, v20, v9
	v_cvt_f32_i32_e32 v173, v53
	v_mov_b32_e32 v53, 0
	v_dot4c_i32_i8_e32 v53, v28, v0
	v_dot4c_i32_i8_e32 v53, v29, v4
	;; [unrolled: 1-line block ×4, first 2 shown]
	v_pk_add_f32 v[136:137], v[136:137], v[54:55]
	v_cvt_f32_f16_e32 v55, v145
	v_cvt_f32_f16_e32 v54, v175
	v_cvt_f32_f16_sdwa v171, v145 dst_sel:DWORD dst_unused:UNUSED_PAD src0_sel:WORD_1
	v_cvt_f32_f16_sdwa v170, v175 dst_sel:DWORD dst_unused:UNUSED_PAD src0_sel:WORD_1
	v_cvt_f32_i32_e32 v172, v174
	v_dot4c_i32_i8_e32 v53, v43, v2
	v_dot4c_i32_i8_e32 v53, v45, v6
	;; [unrolled: 1-line block ×4, first 2 shown]
	v_pk_fma_f32 v[54:55], v[172:173], v[54:55], v[170:171]
	v_pk_mul_f16 v177, v25, v8
	v_pk_mul_f16 v8, v36, v8
	v_cvt_f32_i32_e32 v173, v53
	v_mov_b32_e32 v53, 0
	v_dot4c_i32_i8_e32 v53, v41, v0
	v_dot4c_i32_i8_e32 v53, v42, v4
	;; [unrolled: 1-line block ×8, first 2 shown]
	v_pk_mul_f16 v2, v36, v9
	v_cvt_f32_f16_e32 v0, v8
	v_cvt_f32_f16_e32 v1, v2
	v_cvt_f32_f16_sdwa v3, v2 dst_sel:DWORD dst_unused:UNUSED_PAD src0_sel:WORD_1
	v_cvt_f32_f16_sdwa v2, v8 dst_sel:DWORD dst_unused:UNUSED_PAD src0_sel:WORD_1
	v_cvt_f32_i32_e32 v5, v53
	v_cvt_f32_i32_e32 v4, v178
	v_pk_mul_f16 v145, v25, v9
	v_pk_add_f32 v[148:149], v[148:149], v[54:55]
	v_cvt_f32_f16_e32 v55, v145
	v_cvt_f32_f16_e32 v54, v177
	v_cvt_f32_f16_sdwa v171, v145 dst_sel:DWORD dst_unused:UNUSED_PAD src0_sel:WORD_1
	v_cvt_f32_f16_sdwa v170, v177 dst_sel:DWORD dst_unused:UNUSED_PAD src0_sel:WORD_1
	v_cvt_f32_i32_e32 v172, v176
	v_pk_fma_f32 v[0:1], v[4:5], v[0:1], v[2:3]
	v_mov_b32_e32 v53, 0
	v_pk_add_f32 v[162:163], v[162:163], v[0:1]
	ds_read_b128 v[0:3], v11 offset:6144
	ds_read_b128 v[4:7], v11 offset:6160
	ds_read2_b32 v[8:9], v10 offset0:192 offset1:224
	v_pk_fma_f32 v[54:55], v[172:173], v[54:55], v[170:171]
	v_mov_b32_e32 v170, 0
	v_pk_add_f32 v[154:155], v[154:155], v[54:55]
	v_mov_b32_e32 v55, 0
	v_mov_b32_e32 v172, 0
	s_waitcnt lgkmcnt(2)
	v_dot4c_i32_i8_e32 v53, v18, v0
	v_dot4c_i32_i8_e32 v55, v23, v0
	;; [unrolled: 1-line block ×4, first 2 shown]
	s_waitcnt lgkmcnt(1)
	v_dot4c_i32_i8_e32 v53, v19, v4
	v_dot4c_i32_i8_e32 v55, v24, v4
	;; [unrolled: 1-line block ×28, first 2 shown]
	ds_read_b128 v[0:3], v11 offset:7168
	ds_read_b128 v[4:7], v11 offset:7184
	v_mov_b32_e32 v173, 0
	s_waitcnt lgkmcnt(2)
	v_pk_mul_f16 v54, v17, v8
	v_pk_mul_f16 v17, v17, v9
	s_waitcnt lgkmcnt(1)
	v_dot4c_i32_i8_e32 v173, v18, v0
	s_waitcnt lgkmcnt(0)
	v_dot4c_i32_i8_e32 v173, v19, v4
	v_dot4c_i32_i8_e32 v173, v21, v1
	;; [unrolled: 1-line block ×5, first 2 shown]
	v_cvt_f32_f16_e32 v19, v17
	v_cvt_f32_f16_sdwa v31, v17 dst_sel:DWORD dst_unused:UNUSED_PAD src0_sel:WORD_1
	v_mov_b32_e32 v17, 0
	v_dot4c_i32_i8_e32 v17, v23, v0
	v_dot4c_i32_i8_e32 v17, v24, v4
	;; [unrolled: 1-line block ×10, first 2 shown]
	v_cvt_f32_f16_e32 v18, v54
	v_cvt_f32_f16_sdwa v30, v54 dst_sel:DWORD dst_unused:UNUSED_PAD src0_sel:WORD_1
	v_cvt_f32_i32_e32 v33, v173
	v_cvt_f32_i32_e32 v32, v53
	;; [unrolled: 1-line block ×3, first 2 shown]
	v_mov_b32_e32 v17, 0
	v_dot4c_i32_i8_e32 v17, v28, v0
	v_dot4c_i32_i8_e32 v17, v29, v4
	;; [unrolled: 1-line block ×3, first 2 shown]
	v_pk_mul_f16 v145, v20, v8
	v_pk_fma_f32 v[18:19], v[32:33], v[18:19], v[30:31]
	v_pk_mul_f16 v20, v20, v9
	v_dot4c_i32_i8_e32 v17, v35, v5
	v_pk_add_f32 v[128:129], v[128:129], v[18:19]
	v_cvt_f32_f16_e32 v19, v20
	v_cvt_f32_f16_e32 v18, v145
	v_cvt_f32_f16_sdwa v21, v20 dst_sel:DWORD dst_unused:UNUSED_PAD src0_sel:WORD_1
	v_cvt_f32_f16_sdwa v20, v145 dst_sel:DWORD dst_unused:UNUSED_PAD src0_sel:WORD_1
	v_cvt_f32_i32_e32 v22, v55
	v_dot4c_i32_i8_e32 v17, v43, v2
	v_dot4c_i32_i8_e32 v17, v45, v6
	;; [unrolled: 1-line block ×4, first 2 shown]
	v_pk_fma_f32 v[18:19], v[22:23], v[18:19], v[20:21]
	v_pk_mul_f16 v171, v25, v8
	v_pk_mul_f16 v8, v36, v8
	v_cvt_f32_i32_e32 v23, v17
	v_mov_b32_e32 v17, 0
	v_dot4c_i32_i8_e32 v17, v41, v0
	v_dot4c_i32_i8_e32 v17, v42, v4
	;; [unrolled: 1-line block ×7, first 2 shown]
	v_pk_mul_f16 v20, v25, v9
	v_dot4c_i32_i8_e32 v17, v52, v7
	v_pk_mul_f16 v2, v36, v9
	v_pk_add_f32 v[138:139], v[138:139], v[18:19]
	v_cvt_f32_f16_e32 v19, v20
	v_cvt_f32_f16_e32 v18, v171
	v_cvt_f32_f16_sdwa v21, v20 dst_sel:DWORD dst_unused:UNUSED_PAD src0_sel:WORD_1
	v_cvt_f32_f16_sdwa v20, v171 dst_sel:DWORD dst_unused:UNUSED_PAD src0_sel:WORD_1
	v_cvt_f32_i32_e32 v22, v170
	v_cvt_f32_f16_e32 v1, v2
	v_cvt_f32_f16_e32 v0, v8
	v_cvt_f32_f16_sdwa v3, v2 dst_sel:DWORD dst_unused:UNUSED_PAD src0_sel:WORD_1
	v_cvt_f32_f16_sdwa v2, v8 dst_sel:DWORD dst_unused:UNUSED_PAD src0_sel:WORD_1
	v_cvt_f32_i32_e32 v5, v17
	v_cvt_f32_i32_e32 v4, v172
	v_pk_fma_f32 v[18:19], v[22:23], v[18:19], v[20:21]
	s_add_i32 s0, s0, 4
	v_pk_add_f32 v[150:151], v[150:151], v[18:19]
	v_pk_fma_f32 v[0:1], v[4:5], v[0:1], v[2:3]
	v_add_u32_e32 v16, 16, v16
	v_pk_add_f32 v[156:157], v[156:157], v[0:1]
	v_add_u32_e32 v15, 4, v15
	v_add_u32_e32 v14, 4, v14
	;; [unrolled: 1-line block ×6, first 2 shown]
	s_cmp_lt_u32 s0, 28
	s_cbranch_scc1 .LBB140_12
; %bb.13:                               ;   in Loop: Header=BB140_7 Depth=1
	s_barrier
	s_branch .LBB140_6
.LBB140_14:
	v_cvt_pk_f16_f32 v20, v98, v99
	v_cvt_pk_f16_f32 v19, v158, v159
	;; [unrolled: 1-line block ×16, first 2 shown]
	v_mov_b32_e32 v4, v91
	v_cmp_gt_u32_e32 vcc, s10, v61
	s_and_saveexec_b64 s[0:1], vcc
	s_cbranch_execz .LBB140_3
.LBB140_15:
	v_add_u32_e32 v5, s4, v57
	v_mul_lo_u32 v21, v61, s14
	v_cmp_gt_u32_e32 vcc, s14, v5
	s_and_saveexec_b64 s[0:1], vcc
	s_cbranch_execz .LBB140_17
; %bb.16:
	v_add_u32_e32 v6, v5, v21
	v_mov_b32_e32 v7, 0
	s_waitcnt lgkmcnt(0)
	v_lshl_add_u64 v[6:7], v[6:7], 1, s[12:13]
	global_store_short v[6:7], v20, off
.LBB140_17:
	s_or_b64 exec, exec, s[0:1]
	v_add_u32_e32 v6, 32, v5
	v_cmp_gt_u32_e64 s[0:1], s14, v6
	s_and_saveexec_b64 s[2:3], s[0:1]
	s_cbranch_execz .LBB140_19
; %bb.18:
	v_add_u32_e32 v22, v6, v21
	v_mov_b32_e32 v23, 0
	s_waitcnt lgkmcnt(0)
	v_lshl_add_u64 v[22:23], v[22:23], 1, s[12:13]
	global_store_short v[22:23], v19, off
.LBB140_19:
	s_or_b64 exec, exec, s[2:3]
	v_add_u32_e32 v7, 64, v5
	v_cmp_gt_u32_e64 s[2:3], s14, v7
	s_and_saveexec_b64 s[4:5], s[2:3]
	;; [unrolled: 12-line block ×3, first 2 shown]
	s_cbranch_execz .LBB140_23
; %bb.22:
	v_add_u32_e32 v22, v8, v21
	v_mov_b32_e32 v23, 0
	s_waitcnt lgkmcnt(0)
	v_lshl_add_u64 v[22:23], v[22:23], 1, s[12:13]
	global_store_short v[22:23], v17, off
.LBB140_23:
	s_or_b64 exec, exec, s[6:7]
	v_add3_u32 v21, v4, s15, 8
	v_cmp_gt_u32_e64 s[6:7], s10, v21
	s_and_b64 exec, exec, s[6:7]
	s_cbranch_execz .LBB140_3
; %bb.24:
	v_mul_lo_u32 v21, v21, s14
	s_and_saveexec_b64 s[6:7], vcc
	s_cbranch_execnz .LBB140_64
; %bb.25:
	s_or_b64 exec, exec, s[6:7]
	s_and_saveexec_b64 s[6:7], s[0:1]
	s_cbranch_execnz .LBB140_65
.LBB140_26:
	s_or_b64 exec, exec, s[6:7]
	s_and_saveexec_b64 s[6:7], s[2:3]
	s_cbranch_execnz .LBB140_66
.LBB140_27:
	s_or_b64 exec, exec, s[6:7]
	s_and_saveexec_b64 s[6:7], s[4:5]
	s_cbranch_execz .LBB140_29
.LBB140_28:
	v_add_u32_e32 v18, v21, v8
	v_mov_b32_e32 v19, 0
	s_waitcnt lgkmcnt(0)
	v_lshl_add_u64 v[18:19], v[18:19], 1, s[12:13]
	global_store_short_d16_hi v[18:19], v17, off
.LBB140_29:
	s_or_b64 exec, exec, s[6:7]
	v_add3_u32 v17, v4, s15, 16
	v_cmp_gt_u32_e64 s[6:7], s10, v17
	s_and_b64 exec, exec, s[6:7]
	s_cbranch_execz .LBB140_3
; %bb.30:
	v_mul_lo_u32 v17, v17, s14
	s_and_saveexec_b64 s[6:7], vcc
	s_cbranch_execnz .LBB140_67
; %bb.31:
	s_or_b64 exec, exec, s[6:7]
	s_and_saveexec_b64 s[6:7], s[0:1]
	s_cbranch_execnz .LBB140_68
.LBB140_32:
	s_or_b64 exec, exec, s[6:7]
	s_and_saveexec_b64 s[6:7], s[2:3]
	s_cbranch_execnz .LBB140_69
.LBB140_33:
	s_or_b64 exec, exec, s[6:7]
	s_and_saveexec_b64 s[6:7], s[4:5]
	s_cbranch_execz .LBB140_35
.LBB140_34:
	v_add_u32_e32 v18, v17, v8
	v_mov_b32_e32 v19, 0
	s_waitcnt lgkmcnt(0)
	v_lshl_add_u64 v[18:19], v[18:19], 1, s[12:13]
	global_store_short v[18:19], v13, off
.LBB140_35:
	s_or_b64 exec, exec, s[6:7]
	v_add3_u32 v17, v4, s15, 24
	v_cmp_gt_u32_e64 s[6:7], s10, v17
	s_and_b64 exec, exec, s[6:7]
	s_cbranch_execz .LBB140_3
; %bb.36:
	v_mul_lo_u32 v17, v17, s14
	s_and_saveexec_b64 s[6:7], vcc
	s_cbranch_execnz .LBB140_70
; %bb.37:
	s_or_b64 exec, exec, s[6:7]
	s_and_saveexec_b64 s[6:7], s[0:1]
	s_cbranch_execnz .LBB140_71
.LBB140_38:
	s_or_b64 exec, exec, s[6:7]
	s_and_saveexec_b64 s[6:7], s[2:3]
	s_cbranch_execnz .LBB140_72
.LBB140_39:
	s_or_b64 exec, exec, s[6:7]
	s_and_saveexec_b64 s[6:7], s[4:5]
	s_cbranch_execz .LBB140_41
.LBB140_40:
	v_add_u32_e32 v14, v17, v8
	v_mov_b32_e32 v15, 0
	s_waitcnt lgkmcnt(0)
	v_lshl_add_u64 v[14:15], v[14:15], 1, s[12:13]
	global_store_short_d16_hi v[14:15], v13, off
.LBB140_41:
	s_or_b64 exec, exec, s[6:7]
	v_add3_u32 v13, v4, s15, 32
	v_cmp_gt_u32_e64 s[6:7], s10, v13
	s_and_b64 exec, exec, s[6:7]
	s_cbranch_execz .LBB140_3
; %bb.42:
	v_mul_lo_u32 v13, v13, s14
	s_and_saveexec_b64 s[6:7], vcc
	s_cbranch_execnz .LBB140_73
; %bb.43:
	s_or_b64 exec, exec, s[6:7]
	s_and_saveexec_b64 s[6:7], s[0:1]
	s_cbranch_execnz .LBB140_74
.LBB140_44:
	s_or_b64 exec, exec, s[6:7]
	s_and_saveexec_b64 s[6:7], s[2:3]
	s_cbranch_execnz .LBB140_75
.LBB140_45:
	s_or_b64 exec, exec, s[6:7]
	s_and_saveexec_b64 s[6:7], s[4:5]
	s_cbranch_execz .LBB140_47
.LBB140_46:
	v_add_u32_e32 v14, v13, v8
	v_mov_b32_e32 v15, 0
	s_waitcnt lgkmcnt(0)
	v_lshl_add_u64 v[14:15], v[14:15], 1, s[12:13]
	global_store_short v[14:15], v9, off
.LBB140_47:
	s_or_b64 exec, exec, s[6:7]
	v_add3_u32 v13, v4, s15, 40
	v_cmp_gt_u32_e64 s[6:7], s10, v13
	s_and_b64 exec, exec, s[6:7]
	s_cbranch_execz .LBB140_3
; %bb.48:
	v_mul_lo_u32 v13, v13, s14
	s_and_saveexec_b64 s[6:7], vcc
	s_cbranch_execnz .LBB140_76
; %bb.49:
	s_or_b64 exec, exec, s[6:7]
	s_and_saveexec_b64 s[6:7], s[0:1]
	s_cbranch_execnz .LBB140_77
.LBB140_50:
	s_or_b64 exec, exec, s[6:7]
	s_and_saveexec_b64 s[6:7], s[2:3]
	s_cbranch_execnz .LBB140_78
.LBB140_51:
	s_or_b64 exec, exec, s[6:7]
	s_and_saveexec_b64 s[6:7], s[4:5]
	s_cbranch_execz .LBB140_53
.LBB140_52:
	v_add_u32_e32 v10, v13, v8
	v_mov_b32_e32 v11, 0
	s_waitcnt lgkmcnt(0)
	v_lshl_add_u64 v[10:11], v[10:11], 1, s[12:13]
	global_store_short_d16_hi v[10:11], v9, off
.LBB140_53:
	s_or_b64 exec, exec, s[6:7]
	v_add3_u32 v9, v4, s15, 48
	v_cmp_gt_u32_e64 s[6:7], s10, v9
	s_and_b64 exec, exec, s[6:7]
	s_cbranch_execz .LBB140_3
; %bb.54:
	v_mul_lo_u32 v9, v9, s14
	s_and_saveexec_b64 s[6:7], vcc
	s_cbranch_execnz .LBB140_79
; %bb.55:
	s_or_b64 exec, exec, s[6:7]
	s_and_saveexec_b64 s[6:7], s[0:1]
	s_cbranch_execnz .LBB140_80
.LBB140_56:
	s_or_b64 exec, exec, s[6:7]
	s_and_saveexec_b64 s[6:7], s[2:3]
	s_cbranch_execnz .LBB140_81
.LBB140_57:
	s_or_b64 exec, exec, s[6:7]
	s_and_saveexec_b64 s[6:7], s[4:5]
	s_cbranch_execz .LBB140_59
.LBB140_58:
	v_add_u32_e32 v10, v9, v8
	v_mov_b32_e32 v11, 0
	s_waitcnt lgkmcnt(0)
	v_lshl_add_u64 v[10:11], v[10:11], 1, s[12:13]
	global_store_short v[10:11], v0, off
.LBB140_59:
	s_or_b64 exec, exec, s[6:7]
	v_add3_u32 v4, v4, s15, 56
	v_cmp_gt_u32_e64 s[6:7], s10, v4
	s_and_b64 exec, exec, s[6:7]
	s_cbranch_execz .LBB140_3
; %bb.60:
	v_mul_lo_u32 v4, v4, s14
	s_and_saveexec_b64 s[6:7], vcc
	s_cbranch_execnz .LBB140_82
; %bb.61:
	s_or_b64 exec, exec, s[6:7]
	s_and_saveexec_b64 s[6:7], s[0:1]
	s_cbranch_execnz .LBB140_83
.LBB140_62:
	s_or_b64 exec, exec, s[6:7]
	s_and_saveexec_b64 s[0:1], s[2:3]
	s_cbranch_execnz .LBB140_84
.LBB140_63:
	s_or_b64 exec, exec, s[0:1]
	s_and_b64 exec, exec, s[4:5]
	s_cbranch_execz .LBB140_3
	s_branch .LBB140_85
.LBB140_64:
	v_add_u32_e32 v22, v21, v5
	v_mov_b32_e32 v23, 0
	s_waitcnt lgkmcnt(0)
	v_lshl_add_u64 v[22:23], v[22:23], 1, s[12:13]
	global_store_short_d16_hi v[22:23], v20, off
	s_or_b64 exec, exec, s[6:7]
	s_and_saveexec_b64 s[6:7], s[0:1]
	s_cbranch_execz .LBB140_26
.LBB140_65:
	v_add_u32_e32 v22, v21, v6
	v_mov_b32_e32 v23, 0
	s_waitcnt lgkmcnt(0)
	v_lshl_add_u64 v[22:23], v[22:23], 1, s[12:13]
	global_store_short_d16_hi v[22:23], v19, off
	s_or_b64 exec, exec, s[6:7]
	s_and_saveexec_b64 s[6:7], s[2:3]
	s_cbranch_execz .LBB140_27
.LBB140_66:
	v_add_u32_e32 v22, v21, v7
	v_mov_b32_e32 v23, 0
	s_waitcnt lgkmcnt(0)
	v_lshl_add_u64 v[22:23], v[22:23], 1, s[12:13]
	global_store_short_d16_hi v[22:23], v18, off
	s_or_b64 exec, exec, s[6:7]
	s_and_saveexec_b64 s[6:7], s[4:5]
	s_cbranch_execnz .LBB140_28
	s_branch .LBB140_29
.LBB140_67:
	v_add_u32_e32 v18, v17, v5
	v_mov_b32_e32 v19, 0
	s_waitcnt lgkmcnt(0)
	v_lshl_add_u64 v[18:19], v[18:19], 1, s[12:13]
	global_store_short v[18:19], v16, off
	s_or_b64 exec, exec, s[6:7]
	s_and_saveexec_b64 s[6:7], s[0:1]
	s_cbranch_execz .LBB140_32
.LBB140_68:
	v_add_u32_e32 v18, v17, v6
	v_mov_b32_e32 v19, 0
	s_waitcnt lgkmcnt(0)
	v_lshl_add_u64 v[18:19], v[18:19], 1, s[12:13]
	global_store_short v[18:19], v15, off
	s_or_b64 exec, exec, s[6:7]
	s_and_saveexec_b64 s[6:7], s[2:3]
	s_cbranch_execz .LBB140_33
.LBB140_69:
	v_add_u32_e32 v18, v17, v7
	v_mov_b32_e32 v19, 0
	s_waitcnt lgkmcnt(0)
	v_lshl_add_u64 v[18:19], v[18:19], 1, s[12:13]
	global_store_short v[18:19], v14, off
	s_or_b64 exec, exec, s[6:7]
	s_and_saveexec_b64 s[6:7], s[4:5]
	s_cbranch_execnz .LBB140_34
	s_branch .LBB140_35
.LBB140_70:
	v_add_u32_e32 v18, v17, v5
	v_mov_b32_e32 v19, 0
	s_waitcnt lgkmcnt(0)
	v_lshl_add_u64 v[18:19], v[18:19], 1, s[12:13]
	global_store_short_d16_hi v[18:19], v16, off
	s_or_b64 exec, exec, s[6:7]
	s_and_saveexec_b64 s[6:7], s[0:1]
	s_cbranch_execz .LBB140_38
.LBB140_71:
	v_add_u32_e32 v18, v17, v6
	v_mov_b32_e32 v19, 0
	s_waitcnt lgkmcnt(0)
	v_lshl_add_u64 v[18:19], v[18:19], 1, s[12:13]
	global_store_short_d16_hi v[18:19], v15, off
	s_or_b64 exec, exec, s[6:7]
	s_and_saveexec_b64 s[6:7], s[2:3]
	s_cbranch_execz .LBB140_39
.LBB140_72:
	v_add_u32_e32 v18, v17, v7
	v_mov_b32_e32 v19, 0
	s_waitcnt lgkmcnt(0)
	v_lshl_add_u64 v[18:19], v[18:19], 1, s[12:13]
	global_store_short_d16_hi v[18:19], v14, off
	s_or_b64 exec, exec, s[6:7]
	s_and_saveexec_b64 s[6:7], s[4:5]
	s_cbranch_execnz .LBB140_40
	s_branch .LBB140_41
.LBB140_73:
	v_add_u32_e32 v14, v13, v5
	v_mov_b32_e32 v15, 0
	s_waitcnt lgkmcnt(0)
	v_lshl_add_u64 v[14:15], v[14:15], 1, s[12:13]
	global_store_short v[14:15], v12, off
	s_or_b64 exec, exec, s[6:7]
	s_and_saveexec_b64 s[6:7], s[0:1]
	s_cbranch_execz .LBB140_44
.LBB140_74:
	v_add_u32_e32 v14, v13, v6
	v_mov_b32_e32 v15, 0
	s_waitcnt lgkmcnt(0)
	v_lshl_add_u64 v[14:15], v[14:15], 1, s[12:13]
	global_store_short v[14:15], v11, off
	s_or_b64 exec, exec, s[6:7]
	s_and_saveexec_b64 s[6:7], s[2:3]
	s_cbranch_execz .LBB140_45
.LBB140_75:
	v_add_u32_e32 v14, v13, v7
	v_mov_b32_e32 v15, 0
	s_waitcnt lgkmcnt(0)
	v_lshl_add_u64 v[14:15], v[14:15], 1, s[12:13]
	global_store_short v[14:15], v10, off
	s_or_b64 exec, exec, s[6:7]
	s_and_saveexec_b64 s[6:7], s[4:5]
	s_cbranch_execnz .LBB140_46
	s_branch .LBB140_47
.LBB140_76:
	v_add_u32_e32 v14, v13, v5
	v_mov_b32_e32 v15, 0
	s_waitcnt lgkmcnt(0)
	v_lshl_add_u64 v[14:15], v[14:15], 1, s[12:13]
	global_store_short_d16_hi v[14:15], v12, off
	s_or_b64 exec, exec, s[6:7]
	s_and_saveexec_b64 s[6:7], s[0:1]
	s_cbranch_execz .LBB140_50
.LBB140_77:
	v_add_u32_e32 v14, v13, v6
	v_mov_b32_e32 v15, 0
	s_waitcnt lgkmcnt(0)
	v_lshl_add_u64 v[14:15], v[14:15], 1, s[12:13]
	global_store_short_d16_hi v[14:15], v11, off
	s_or_b64 exec, exec, s[6:7]
	s_and_saveexec_b64 s[6:7], s[2:3]
	s_cbranch_execz .LBB140_51
.LBB140_78:
	v_add_u32_e32 v14, v13, v7
	v_mov_b32_e32 v15, 0
	s_waitcnt lgkmcnt(0)
	v_lshl_add_u64 v[14:15], v[14:15], 1, s[12:13]
	global_store_short_d16_hi v[14:15], v10, off
	s_or_b64 exec, exec, s[6:7]
	s_and_saveexec_b64 s[6:7], s[4:5]
	s_cbranch_execnz .LBB140_52
	s_branch .LBB140_53
.LBB140_79:
	v_add_u32_e32 v10, v9, v5
	v_mov_b32_e32 v11, 0
	s_waitcnt lgkmcnt(0)
	v_lshl_add_u64 v[10:11], v[10:11], 1, s[12:13]
	global_store_short v[10:11], v3, off
	s_or_b64 exec, exec, s[6:7]
	s_and_saveexec_b64 s[6:7], s[0:1]
	s_cbranch_execz .LBB140_56
.LBB140_80:
	v_add_u32_e32 v10, v9, v6
	v_mov_b32_e32 v11, 0
	s_waitcnt lgkmcnt(0)
	v_lshl_add_u64 v[10:11], v[10:11], 1, s[12:13]
	global_store_short v[10:11], v2, off
	s_or_b64 exec, exec, s[6:7]
	s_and_saveexec_b64 s[6:7], s[2:3]
	s_cbranch_execz .LBB140_57
.LBB140_81:
	v_add_u32_e32 v10, v9, v7
	v_mov_b32_e32 v11, 0
	s_waitcnt lgkmcnt(0)
	v_lshl_add_u64 v[10:11], v[10:11], 1, s[12:13]
	global_store_short v[10:11], v1, off
	s_or_b64 exec, exec, s[6:7]
	s_and_saveexec_b64 s[6:7], s[4:5]
	s_cbranch_execnz .LBB140_58
	s_branch .LBB140_59
.LBB140_82:
	v_add_u32_e32 v10, v4, v5
	v_mov_b32_e32 v11, 0
	s_waitcnt lgkmcnt(0)
	v_lshl_add_u64 v[10:11], v[10:11], 1, s[12:13]
	global_store_short_d16_hi v[10:11], v3, off
	s_or_b64 exec, exec, s[6:7]
	s_and_saveexec_b64 s[6:7], s[0:1]
	s_cbranch_execz .LBB140_62
.LBB140_83:
	v_add_u32_e32 v10, v4, v6
	v_mov_b32_e32 v11, 0
	s_waitcnt lgkmcnt(0)
	v_lshl_add_u64 v[10:11], v[10:11], 1, s[12:13]
	global_store_short_d16_hi v[10:11], v2, off
	s_or_b64 exec, exec, s[6:7]
	s_and_saveexec_b64 s[0:1], s[2:3]
	s_cbranch_execz .LBB140_63
.LBB140_84:
	v_add_u32_e32 v2, v4, v7
	v_mov_b32_e32 v3, 0
	s_waitcnt lgkmcnt(0)
	v_lshl_add_u64 v[2:3], v[2:3], 1, s[12:13]
	global_store_short_d16_hi v[2:3], v1, off
	s_or_b64 exec, exec, s[0:1]
	s_and_b64 exec, exec, s[4:5]
	s_cbranch_execz .LBB140_3
.LBB140_85:
	v_add_u32_e32 v2, v4, v8
	v_mov_b32_e32 v3, 0
	s_waitcnt lgkmcnt(0)
	v_lshl_add_u64 v[2:3], v[2:3], 1, s[12:13]
	global_store_short_d16_hi v[2:3], v0, off
	s_endpgm
	.section	.rodata,"a",@progbits
	.p2align	6, 0x0
	.amdhsa_kernel _ZL12mul_mat_q4_1IN3c104HalfELb1EEvPKvS3_PT_iiiii
		.amdhsa_group_segment_fixed_size 30336
		.amdhsa_private_segment_fixed_size 0
		.amdhsa_kernarg_size 44
		.amdhsa_user_sgpr_count 2
		.amdhsa_user_sgpr_dispatch_ptr 0
		.amdhsa_user_sgpr_queue_ptr 0
		.amdhsa_user_sgpr_kernarg_segment_ptr 1
		.amdhsa_user_sgpr_dispatch_id 0
		.amdhsa_user_sgpr_kernarg_preload_length 0
		.amdhsa_user_sgpr_kernarg_preload_offset 0
		.amdhsa_user_sgpr_private_segment_size 0
		.amdhsa_uses_dynamic_stack 0
		.amdhsa_enable_private_segment 0
		.amdhsa_system_sgpr_workgroup_id_x 1
		.amdhsa_system_sgpr_workgroup_id_y 1
		.amdhsa_system_sgpr_workgroup_id_z 0
		.amdhsa_system_sgpr_workgroup_info 0
		.amdhsa_system_vgpr_workitem_id 1
		.amdhsa_next_free_vgpr 251
		.amdhsa_next_free_sgpr 96
		.amdhsa_accum_offset 252
		.amdhsa_reserve_vcc 1
		.amdhsa_float_round_mode_32 0
		.amdhsa_float_round_mode_16_64 0
		.amdhsa_float_denorm_mode_32 3
		.amdhsa_float_denorm_mode_16_64 3
		.amdhsa_dx10_clamp 1
		.amdhsa_ieee_mode 1
		.amdhsa_fp16_overflow 0
		.amdhsa_tg_split 0
		.amdhsa_exception_fp_ieee_invalid_op 0
		.amdhsa_exception_fp_denorm_src 0
		.amdhsa_exception_fp_ieee_div_zero 0
		.amdhsa_exception_fp_ieee_overflow 0
		.amdhsa_exception_fp_ieee_underflow 0
		.amdhsa_exception_fp_ieee_inexact 0
		.amdhsa_exception_int_div_zero 0
	.end_amdhsa_kernel
	.section	.text._ZL12mul_mat_q4_1IN3c104HalfELb1EEvPKvS3_PT_iiiii,"axG",@progbits,_ZL12mul_mat_q4_1IN3c104HalfELb1EEvPKvS3_PT_iiiii,comdat
.Lfunc_end140:
	.size	_ZL12mul_mat_q4_1IN3c104HalfELb1EEvPKvS3_PT_iiiii, .Lfunc_end140-_ZL12mul_mat_q4_1IN3c104HalfELb1EEvPKvS3_PT_iiiii
                                        ; -- End function
	.set _ZL12mul_mat_q4_1IN3c104HalfELb1EEvPKvS3_PT_iiiii.num_vgpr, 251
	.set _ZL12mul_mat_q4_1IN3c104HalfELb1EEvPKvS3_PT_iiiii.num_agpr, 0
	.set _ZL12mul_mat_q4_1IN3c104HalfELb1EEvPKvS3_PT_iiiii.numbered_sgpr, 18
	.set _ZL12mul_mat_q4_1IN3c104HalfELb1EEvPKvS3_PT_iiiii.num_named_barrier, 0
	.set _ZL12mul_mat_q4_1IN3c104HalfELb1EEvPKvS3_PT_iiiii.private_seg_size, 0
	.set _ZL12mul_mat_q4_1IN3c104HalfELb1EEvPKvS3_PT_iiiii.uses_vcc, 1
	.set _ZL12mul_mat_q4_1IN3c104HalfELb1EEvPKvS3_PT_iiiii.uses_flat_scratch, 0
	.set _ZL12mul_mat_q4_1IN3c104HalfELb1EEvPKvS3_PT_iiiii.has_dyn_sized_stack, 0
	.set _ZL12mul_mat_q4_1IN3c104HalfELb1EEvPKvS3_PT_iiiii.has_recursion, 0
	.set _ZL12mul_mat_q4_1IN3c104HalfELb1EEvPKvS3_PT_iiiii.has_indirect_call, 0
	.section	.AMDGPU.csdata,"",@progbits
; Kernel info:
; codeLenInByte = 10804
; TotalNumSgprs: 24
; NumVgprs: 251
; NumAgprs: 0
; TotalNumVgprs: 251
; ScratchSize: 0
; MemoryBound: 0
; FloatMode: 240
; IeeeMode: 1
; LDSByteSize: 30336 bytes/workgroup (compile time only)
; SGPRBlocks: 12
; VGPRBlocks: 31
; NumSGPRsForWavesPerEU: 102
; NumVGPRsForWavesPerEU: 251
; AccumOffset: 252
; Occupancy: 2
; WaveLimiterHint : 0
; COMPUTE_PGM_RSRC2:SCRATCH_EN: 0
; COMPUTE_PGM_RSRC2:USER_SGPR: 2
; COMPUTE_PGM_RSRC2:TRAP_HANDLER: 0
; COMPUTE_PGM_RSRC2:TGID_X_EN: 1
; COMPUTE_PGM_RSRC2:TGID_Y_EN: 1
; COMPUTE_PGM_RSRC2:TGID_Z_EN: 0
; COMPUTE_PGM_RSRC2:TIDIG_COMP_CNT: 1
; COMPUTE_PGM_RSRC3_GFX90A:ACCUM_OFFSET: 62
; COMPUTE_PGM_RSRC3_GFX90A:TG_SPLIT: 0
	.section	.text._ZL12mul_mat_q5_0IN3c104HalfELb0EEvPKvS3_PT_iiiii,"axG",@progbits,_ZL12mul_mat_q5_0IN3c104HalfELb0EEvPKvS3_PT_iiiii,comdat
	.globl	_ZL12mul_mat_q5_0IN3c104HalfELb0EEvPKvS3_PT_iiiii ; -- Begin function _ZL12mul_mat_q5_0IN3c104HalfELb0EEvPKvS3_PT_iiiii
	.p2align	8
	.type	_ZL12mul_mat_q5_0IN3c104HalfELb0EEvPKvS3_PT_iiiii,@function
_ZL12mul_mat_q5_0IN3c104HalfELb0EEvPKvS3_PT_iiiii: ; @_ZL12mul_mat_q5_0IN3c104HalfELb0EEvPKvS3_PT_iiiii
; %bb.0:
	s_load_dword s6, s[0:1], 0x18
	s_load_dwordx4 s[8:11], s[0:1], 0x20
	s_waitcnt lgkmcnt(0)
	s_lshl_b32 s11, s3, 6
	v_bfe_u32 v53, v0, 10, 10
	s_cmp_gt_i32 s6, 31
	s_cbranch_scc1 .LBB141_4
; %bb.1:
	v_bfe_u32 v4, v0, 10, 10
	v_and_b32_e32 v49, 0x3ff, v0
	v_add_u32_e32 v55, s11, v4
	s_load_dwordx2 s[12:13], s[0:1], 0x10
	s_lshl_b32 s4, s2, 7
	s_cbranch_execz .LBB141_5
; %bb.2:
	v_mov_b32_e32 v0, 0
	v_mov_b32_e32 v9, 0
	;; [unrolled: 1-line block ×16, first 2 shown]
	v_cmp_gt_u32_e32 vcc, s8, v55
	s_and_saveexec_b64 s[0:1], vcc
	s_cbranch_execnz .LBB141_15
.LBB141_3:
	s_endpgm
.LBB141_4:
                                        ; implicit-def: $vgpr4
                                        ; implicit-def: $vgpr49
                                        ; implicit-def: $vgpr55
	s_load_dwordx2 s[12:13], s[0:1], 0x10
	s_lshl_b32 s4, s2, 7
.LBB141_5:
	s_ashr_i32 s5, s6, 31
	s_lshr_b32 s5, s5, 27
	s_load_dwordx4 s[0:3], s[0:1], 0x0
	s_add_i32 s14, s6, s5
	s_ashr_i32 s6, s9, 31
	s_lshr_b32 s6, s6, 27
	s_ashr_i32 s5, s14, 5
	s_add_i32 s6, s9, s6
	s_ashr_i32 s15, s6, 5
	s_mul_i32 s6, s5, s4
	s_mul_hi_i32 s7, s6, 22
	s_mul_i32 s6, s6, 22
	s_waitcnt lgkmcnt(0)
	s_add_u32 s6, s0, s6
	s_addc_u32 s7, s1, s7
	v_mul_lo_u32 v52, s5, v53
	s_lshl_b32 s0, s5, 3
	v_add_u32_e32 v54, s0, v52
	v_add_u32_e32 v56, s0, v54
	;; [unrolled: 1-line block ×11, first 2 shown]
	v_and_b32_e32 v49, 0x3ff, v0
	v_add_u32_e32 v76, s0, v74
	v_lshlrev_b32_e32 v1, 3, v49
	s_movk_i32 s16, 0x104
	v_add_u32_e32 v78, s0, v76
	v_bfe_u32 v89, v0, 3, 7
	v_mad_u32_u24 v57, v53, s16, v1
	v_add_u32_e32 v80, s0, v78
	v_and_b32_e32 v84, 7, v0
	v_lshl_add_u32 v1, v53, 2, v89
	v_add_u32_e32 v82, s0, v80
	v_and_b32_e32 v3, 0x7fc, v1
	v_lshlrev_b32_e32 v4, 2, v84
	s_mov_b32 s0, 0xa200
	v_add3_u32 v8, v3, v4, s0
	v_add_u32_e32 v3, 32, v1
	v_mul_lo_u32 v86, s5, v1
	v_lshlrev_b32_e32 v9, 5, v1
	v_and_b32_e32 v5, 0xffc, v3
	v_lshlrev_b32_e32 v11, 5, v3
	v_add_u32_e32 v3, 64, v1
	v_add_u32_e32 v1, 0x60, v1
	v_add3_u32 v10, v5, v4, s0
	v_and_b32_e32 v5, 0xffc, v3
	v_lshlrev_b32_e32 v13, 5, v3
	v_and_b32_e32 v3, 0xffc, v1
	v_bfe_u32 v48, v0, 2, 8
	v_add3_u32 v14, v3, v4, s0
	v_and_b32_e32 v3, 31, v0
	v_mov_b32_e32 v15, 0x8200
	v_lshl_or_b32 v91, v3, 2, v15
	v_lshl_add_u32 v3, v53, 3, v48
	v_and_b32_e32 v3, 63, v3
	v_and_b32_e32 v2, 3, v0
	v_add3_u32 v12, v5, v4, s0
	s_add_i32 s0, s8, -1
	v_or_b32_e32 v15, s11, v3
	v_lshlrev_b32_e32 v50, 2, v2
	v_min_i32_e32 v15, s0, v15
	v_add_u32_e32 v55, s11, v53
	v_cvt_f64_i32_e32 v[4:5], s0
	v_mad_u64_u32 v[94:95], s[0:1], v15, s15, v[2:3]
	v_lshl_or_b32 v2, v3, 4, v50
	v_add_u32_e32 v93, 0xb280, v2
	v_cvt_f64_u32_e32 v[2:3], v55
	v_min_f64 v[2:3], v[2:3], v[4:5]
	v_cvt_i32_f64_e32 v2, v[2:3]
	v_mul_lo_u32 v95, s15, v2
	v_add_u32_e32 v2, 8, v55
	v_cvt_f64_u32_e32 v[2:3], v2
	v_min_f64 v[2:3], v[2:3], v[4:5]
	v_cvt_i32_f64_e32 v2, v[2:3]
	v_mul_lo_u32 v186, s15, v2
	;; [unrolled: 5-line block ×7, first 2 shown]
	v_add_u32_e32 v2, 56, v55
	v_mov_b32_e32 v51, 0
	v_lshlrev_b32_e32 v6, 2, v49
	v_cvt_f64_u32_e32 v[2:3], v2
	v_and_b32_e32 v6, 28, v6
	v_mov_b32_e32 v7, v51
	v_min_f64 v[2:3], v[2:3], v[4:5]
	s_andn2_b32 s14, s14, 31
	v_cvt_i32_f64_e32 v2, v[2:3]
	v_add_u32_e32 v3, 32, v49
	v_add_u32_e32 v4, 64, v49
	;; [unrolled: 1-line block ×3, first 2 shown]
	v_lshl_add_u64 v[96:97], s[2:3], 0, v[6:7]
	v_lshlrev_b32_e32 v6, 5, v49
	v_and_b32_e32 v0, 0xfc, v0
	v_add_u32_e32 v88, s14, v86
	v_lshlrev_b32_e32 v147, 7, v53
	v_lshrrev_b32_e32 v194, 3, v3
	v_and_b32_e32 v5, 0x1fc, v5
	v_and_b32_e32 v4, 0x1fc, v4
	;; [unrolled: 1-line block ×3, first 2 shown]
	v_add_u32_e32 v0, v6, v0
	v_add_u32_e32 v90, s14, v88
	v_lshlrev_b32_e32 v1, 5, v1
	v_add_u32_e32 v15, 0x400, v147
	v_add_u32_e32 v16, 0x800, v147
	;; [unrolled: 1-line block ×6, first 2 shown]
	v_mul_lo_u32 v192, s15, v2
	v_add_u32_e32 v2, 0x1c00, v147
	v_add_u32_e32 v5, v6, v5
	;; [unrolled: 1-line block ×5, first 2 shown]
	v_mov_b32_e32 v6, 0xb280
	v_add_u32_e32 v204, 0xa210, v0
	v_mov_b32_e32 v0, 0x80
	v_mov_b32_e32 v98, v51
	;; [unrolled: 1-line block ×3, first 2 shown]
	v_add_u32_e32 v59, 0x820, v57
	v_add_u32_e32 v61, 0x1040, v57
	;; [unrolled: 1-line block ×16, first 2 shown]
	s_add_i32 s9, s5, 3
	v_mul_u32_u24_e32 v193, 0x104, v49
	v_add_u32_e32 v195, 0xae00, v5
	v_add_u32_e32 v196, 0xaa00, v4
	;; [unrolled: 1-line block ×3, first 2 shown]
	v_lshl_add_u32 v199, v53, 4, v6
	v_add_u32_e32 v200, 0x8200, v147
	v_add_u32_e32 v201, 0xae10, v5
	;; [unrolled: 1-line block ×4, first 2 shown]
	v_mad_u32_u24 v205, v49, s16, v0
	s_mov_b32 s14, 0
	s_movk_i32 s15, 0x1f00
	s_mov_b32 s16, 0xc0c0105
	v_add_u32_e32 v206, v8, v9
	v_add_u32_e32 v207, v10, v11
	;; [unrolled: 1-line block ×4, first 2 shown]
	v_mov_b32_e32 v210, 8
	v_add_u32_e32 v211, v91, v15
	v_add_u32_e32 v212, v91, v16
	;; [unrolled: 1-line block ×7, first 2 shown]
	v_mov_b64_e32 v[106:107], v[98:99]
	v_mov_b64_e32 v[102:103], v[98:99]
	;; [unrolled: 1-line block ×15, first 2 shown]
	s_branch .LBB141_7
.LBB141_6:                              ;   in Loop: Header=BB141_7 Depth=1
	s_add_i32 s14, s14, 8
	s_add_i32 s9, s9, -8
	s_cmp_ge_i32 s14, s5
	s_cbranch_scc1 .LBB141_14
.LBB141_7:                              ; =>This Loop Header: Depth=1
                                        ;     Child Loop BB141_9 Depth 2
                                        ;     Child Loop BB141_12 Depth 2
	s_mul_i32 s0, s14, 22
	s_mul_hi_u32 s1, s14, 22
	s_add_u32 s0, s6, s0
	s_addc_u32 s1, s7, s1
	v_mad_u64_u32 v[0:1], s[18:19], v48, 22, s[0:1]
	v_mad_u64_u32 v[2:3], s[18:19], v52, 22, v[0:1]
	;; [unrolled: 1-line block ×3, first 2 shown]
	v_lshl_add_u64 v[4:5], v[2:3], 0, v[50:51]
	v_mad_u64_u32 v[6:7], s[18:19], v54, 22, v[0:1]
	v_mad_u64_u32 v[8:9], s[18:19], v56, 22, v[0:1]
	global_load_dword v18, v[10:11], off offset:2
	global_load_dword v12, v[8:9], off offset:2
	global_load_dword v13, v[6:7], off offset:2
	global_load_dword v14, v[2:3], off offset:2
	global_load_dword v15, v[4:5], off offset:6
	v_lshl_add_u64 v[2:3], v[6:7], 0, v[50:51]
	global_load_dword v6, v[2:3], off offset:6
	v_lshl_add_u64 v[2:3], v[8:9], 0, v[50:51]
	v_lshl_add_u64 v[4:5], v[10:11], 0, v[50:51]
	global_load_dword v19, v[2:3], off offset:6
	global_load_dword v20, v[4:5], off offset:6
	s_cmp_gt_u32 s9, 3
	s_waitcnt vmcnt(5)
	v_ashrrev_i32_e32 v5, v50, v13
	s_waitcnt vmcnt(4)
	v_ashrrev_i32_e32 v2, v50, v14
	s_waitcnt vmcnt(3)
	v_lshrrev_b32_e32 v4, 4, v15
	v_lshlrev_b32_e32 v8, 4, v2
	v_lshlrev_b32_e32 v9, 11, v2
	;; [unrolled: 1-line block ×4, first 2 shown]
	v_lshrrev_b32_e32 v13, 12, v2
	v_lshrrev_b32_e32 v14, 5, v2
	v_and_b32_e32 v3, 0xf0f0f0f, v15
	v_and_b32_e32 v4, 0xf0f0f0f, v4
	;; [unrolled: 1-line block ×8, first 2 shown]
	v_lshlrev_b32_e32 v15, 2, v2
	v_lshlrev_b32_e32 v2, 9, v2
	v_or3_b32 v8, v8, v3, v9
	v_or3_b32 v3, v3, v10, v11
	v_or3_b32 v9, v13, v4, v14
	v_and_b32_e32 v15, 0x100000, v15
	v_and_b32_e32 v2, 0x10000000, v2
	;; [unrolled: 1-line block ×3, first 2 shown]
	v_lshlrev_b16_e32 v8, 8, v8
	v_and_b32_sdwa v11, v3, s15 dst_sel:DWORD dst_unused:UNUSED_PAD src0_sel:WORD_1 src1_sel:DWORD
	v_lshlrev_b16_sdwa v3, v210, v3 dst_sel:DWORD dst_unused:UNUSED_PAD src0_sel:DWORD src1_sel:WORD_1
	v_lshlrev_b16_e32 v14, 8, v9
	v_or3_b32 v2, v4, v15, v2
	v_add_u16_e32 v10, 0xf000, v10
	v_add_u16_e32 v8, 0xf000, v8
	v_add_u16_e32 v11, 0xf000, v11
	v_add_u16_e32 v3, 0xf000, v3
	v_add_u16_e32 v14, 0xf000, v14
	v_and_b32_sdwa v13, v2, s15 dst_sel:DWORD dst_unused:UNUSED_PAD src0_sel:WORD_1 src1_sel:DWORD
	v_lshlrev_b16_sdwa v2, v210, v2 dst_sel:DWORD dst_unused:UNUSED_PAD src0_sel:DWORD src1_sel:WORD_1
	v_perm_b32 v8, v8, v10, s16
	v_perm_b32 v3, v3, v11, s16
	v_lshrrev_b16_e32 v10, 8, v14
	v_add_u16_e32 v13, 0xf000, v13
	v_add_u16_e32 v2, 0xf000, v2
	v_lshl_or_b32 v3, v3, 16, v8
	v_bitop3_b16 v8, v9, v10, s15 bitop3:0xec
	v_perm_b32 v2, v2, v13, s16
	v_add_u16_e32 v8, 0xf000, v8
	s_waitcnt vmcnt(2)
	v_and_b32_e32 v7, 0xf0f0f0f, v6
	v_lshrrev_b32_e32 v6, 4, v6
	v_lshl_or_b32 v2, v2, 16, v8
	ds_write2_b32 v57, v3, v2 offset1:1
	v_and_b32_e32 v2, 0xf0f0f0f, v6
	v_lshrrev_b32_e32 v3, 12, v5
	v_lshrrev_b32_e32 v6, 5, v5
	v_lshlrev_b32_e32 v16, 4, v5
	v_lshlrev_b32_e32 v17, 11, v5
	v_and_b32_e32 v3, 16, v3
	v_and_b32_e32 v6, 0x1000, v6
	v_lshlrev_b32_e32 v21, 18, v5
	v_lshlrev_b32_e32 v22, 25, v5
	v_and_b32_e32 v16, 16, v16
	v_and_b32_e32 v17, 0x1000, v17
	v_or3_b32 v3, v3, v2, v6
	v_lshlrev_b32_e32 v6, 2, v5
	v_lshlrev_b32_e32 v5, 9, v5
	v_or3_b32 v4, v16, v7, v17
	v_and_b32_e32 v6, 0x100000, v6
	v_and_b32_e32 v5, 0x10000000, v5
	;; [unrolled: 1-line block ×4, first 2 shown]
	v_lshlrev_b16_e32 v16, 8, v4
	v_or3_b32 v2, v2, v6, v5
	v_and_b32_e32 v5, 0x1f00, v3
	v_lshlrev_b16_e32 v3, 8, v3
	v_or3_b32 v7, v7, v21, v22
	v_add_u16_e32 v16, 0xf000, v16
	v_add_u16_e32 v5, 0xf000, v5
	;; [unrolled: 1-line block ×3, first 2 shown]
	v_and_b32_sdwa v15, v7, s15 dst_sel:DWORD dst_unused:UNUSED_PAD src0_sel:WORD_1 src1_sel:DWORD
	v_lshlrev_b16_sdwa v7, v210, v7 dst_sel:DWORD dst_unused:UNUSED_PAD src0_sel:DWORD src1_sel:WORD_1
	v_lshrrev_b16_e32 v11, 8, v16
	v_perm_b32 v3, v3, v5, s16
	v_and_b32_sdwa v5, v2, s15 dst_sel:DWORD dst_unused:UNUSED_PAD src0_sel:WORD_1 src1_sel:DWORD
	v_lshlrev_b16_sdwa v2, v210, v2 dst_sel:DWORD dst_unused:UNUSED_PAD src0_sel:DWORD src1_sel:WORD_1
	v_add_u16_e32 v15, 0xf000, v15
	v_add_u16_e32 v7, 0xf000, v7
	v_bitop3_b16 v4, v4, v11, s15 bitop3:0xec
	v_add_u16_e32 v5, 0xf000, v5
	v_add_u16_e32 v2, 0xf000, v2
	v_perm_b32 v7, v7, v15, s16
	v_add_u16_e32 v4, 0xf000, v4
	v_perm_b32 v2, v2, v5, s16
	v_lshl_or_b32 v4, v7, 16, v4
	v_lshl_or_b32 v2, v2, 16, v3
	v_ashrrev_i32_e32 v21, v50, v12
	ds_write2_b32 v59, v4, v2 offset1:1
	v_lshlrev_b32_e32 v3, 4, v21
	v_lshlrev_b32_e32 v4, 11, v21
	s_waitcnt vmcnt(1)
	v_and_b32_e32 v2, 0xf0f0f0f, v19
	v_and_b32_e32 v3, 16, v3
	;; [unrolled: 1-line block ×3, first 2 shown]
	v_or3_b32 v22, v3, v2, v4
	v_lshlrev_b32_e32 v3, 18, v21
	v_lshlrev_b32_e32 v4, 25, v21
	v_and_b32_e32 v3, 0x100000, v3
	v_and_b32_e32 v4, 0x10000000, v4
	v_or3_b32 v2, v2, v3, v4
	v_and_b32_sdwa v3, v2, s15 dst_sel:DWORD dst_unused:UNUSED_PAD src0_sel:WORD_1 src1_sel:DWORD
	v_add_u16_e32 v23, 0xf000, v3
	v_lshlrev_b16_sdwa v24, v210, v2 dst_sel:DWORD dst_unused:UNUSED_PAD src0_sel:DWORD src1_sel:WORD_1
	v_mad_u64_u32 v[2:3], s[18:19], v60, 22, v[0:1]
	v_mad_u64_u32 v[6:7], s[18:19], v62, 22, v[0:1]
	v_lshl_add_u64 v[4:5], v[2:3], 0, v[50:51]
	v_lshl_add_u64 v[8:9], v[6:7], 0, v[50:51]
	v_mad_u64_u32 v[10:11], s[18:19], v64, 22, v[0:1]
	v_mad_u64_u32 v[14:15], s[18:19], v66, 22, v[0:1]
	v_lshl_add_u64 v[12:13], v[10:11], 0, v[50:51]
	v_lshl_add_u64 v[16:17], v[14:15], 0, v[50:51]
	global_load_dword v4, v[4:5], off offset:6
	s_nop 0
	global_load_dword v5, v[8:9], off offset:6
	global_load_dword v25, v[12:13], off offset:6
	;; [unrolled: 1-line block ×4, first 2 shown]
	s_nop 0
	global_load_dword v8, v[10:11], off offset:2
	s_nop 0
	global_load_dword v6, v[6:7], off offset:2
	;; [unrolled: 2-line block ×3, first 2 shown]
	v_lshlrev_b16_e32 v7, 8, v22
	v_add_u16_e32 v7, 0xf000, v7
	v_lshrrev_b16_e32 v7, 8, v7
	v_add_u16_e32 v3, 0xf000, v24
	v_bitop3_b16 v7, v22, v7, s15 bitop3:0xec
	v_perm_b32 v3, v3, v23, s16
	v_add_u16_e32 v7, 0xf000, v7
	v_lshl_or_b32 v3, v3, 16, v7
	v_lshrrev_b32_e32 v7, 4, v19
	v_lshrrev_b32_e32 v9, 12, v21
	;; [unrolled: 1-line block ×3, first 2 shown]
	v_and_b32_e32 v7, 0xf0f0f0f, v7
	v_and_b32_e32 v9, 16, v9
	v_and_b32_e32 v10, 0x1000, v10
	v_or3_b32 v9, v9, v7, v10
	v_lshlrev_b32_e32 v10, 2, v21
	v_lshlrev_b32_e32 v11, 9, v21
	v_and_b32_e32 v10, 0x100000, v10
	v_and_b32_e32 v11, 0x10000000, v11
	v_or3_b32 v7, v7, v10, v11
	v_and_b32_e32 v10, 0x1f00, v9
	v_lshlrev_b16_e32 v9, 8, v9
	v_add_u16_e32 v10, 0xf000, v10
	v_add_u16_e32 v9, 0xf000, v9
	v_perm_b32 v9, v9, v10, s16
	v_and_b32_sdwa v10, v7, s15 dst_sel:DWORD dst_unused:UNUSED_PAD src0_sel:WORD_1 src1_sel:DWORD
	v_lshlrev_b16_sdwa v7, v210, v7 dst_sel:DWORD dst_unused:UNUSED_PAD src0_sel:DWORD src1_sel:WORD_1
	v_add_u16_e32 v10, 0xf000, v10
	v_add_u16_e32 v7, 0xf000, v7
	v_perm_b32 v7, v7, v10, s16
	v_lshl_or_b32 v7, v7, 16, v9
	ds_write2_b32 v61, v3, v7 offset1:1
	v_ashrrev_i32_e32 v3, v50, v18
	v_lshlrev_b32_e32 v9, 4, v3
	v_lshlrev_b32_e32 v10, 11, v3
	s_waitcnt vmcnt(8)
	v_and_b32_e32 v7, 0xf0f0f0f, v20
	v_and_b32_e32 v9, 16, v9
	;; [unrolled: 1-line block ×3, first 2 shown]
	v_or3_b32 v9, v9, v7, v10
	v_lshlrev_b32_e32 v10, 18, v3
	v_lshlrev_b32_e32 v11, 25, v3
	v_and_b32_e32 v10, 0x100000, v10
	v_and_b32_e32 v11, 0x10000000, v11
	v_or3_b32 v7, v7, v10, v11
	v_and_b32_sdwa v10, v7, s15 dst_sel:DWORD dst_unused:UNUSED_PAD src0_sel:WORD_1 src1_sel:DWORD
	v_lshlrev_b16_sdwa v7, v210, v7 dst_sel:DWORD dst_unused:UNUSED_PAD src0_sel:DWORD src1_sel:WORD_1
	v_add_u16_e32 v10, 0xf000, v10
	v_add_u16_e32 v7, 0xf000, v7
	v_perm_b32 v7, v7, v10, s16
	v_lshlrev_b16_e32 v10, 8, v9
	v_add_u16_e32 v10, 0xf000, v10
	v_lshrrev_b16_e32 v10, 8, v10
	v_bitop3_b16 v9, v9, v10, s15 bitop3:0xec
	v_add_u16_e32 v9, 0xf000, v9
	v_lshl_or_b32 v7, v7, 16, v9
	v_lshrrev_b32_e32 v9, 4, v20
	v_lshrrev_b32_e32 v10, 12, v3
	;; [unrolled: 1-line block ×3, first 2 shown]
	v_and_b32_e32 v9, 0xf0f0f0f, v9
	v_and_b32_e32 v10, 16, v10
	;; [unrolled: 1-line block ×3, first 2 shown]
	v_or3_b32 v10, v10, v9, v11
	v_lshlrev_b32_e32 v11, 2, v3
	v_lshlrev_b32_e32 v3, 9, v3
	v_and_b32_e32 v11, 0x100000, v11
	v_and_b32_e32 v3, 0x10000000, v3
	v_or3_b32 v3, v9, v11, v3
	v_and_b32_e32 v9, 0x1f00, v10
	v_lshlrev_b16_e32 v10, 8, v10
	v_add_u16_e32 v9, 0xf000, v9
	v_add_u16_e32 v10, 0xf000, v10
	v_perm_b32 v9, v10, v9, s16
	v_and_b32_sdwa v10, v3, s15 dst_sel:DWORD dst_unused:UNUSED_PAD src0_sel:WORD_1 src1_sel:DWORD
	v_lshlrev_b16_sdwa v3, v210, v3 dst_sel:DWORD dst_unused:UNUSED_PAD src0_sel:DWORD src1_sel:WORD_1
	v_add_u16_e32 v10, 0xf000, v10
	v_add_u16_e32 v3, 0xf000, v3
	v_perm_b32 v3, v3, v10, s16
	v_lshl_or_b32 v3, v3, 16, v9
	ds_write2_b32 v63, v7, v3 offset1:1
	s_waitcnt vmcnt(0)
	v_ashrrev_i32_e32 v2, v50, v2
	v_lshlrev_b32_e32 v7, 4, v2
	v_lshlrev_b32_e32 v9, 11, v2
	v_and_b32_e32 v3, 0xf0f0f0f, v4
	v_and_b32_e32 v7, 16, v7
	v_and_b32_e32 v9, 0x1000, v9
	v_or3_b32 v7, v7, v3, v9
	v_lshlrev_b32_e32 v9, 18, v2
	v_lshlrev_b32_e32 v10, 25, v2
	v_and_b32_e32 v9, 0x100000, v9
	v_and_b32_e32 v10, 0x10000000, v10
	v_or3_b32 v3, v3, v9, v10
	v_and_b32_sdwa v9, v3, s15 dst_sel:DWORD dst_unused:UNUSED_PAD src0_sel:WORD_1 src1_sel:DWORD
	v_lshlrev_b16_sdwa v3, v210, v3 dst_sel:DWORD dst_unused:UNUSED_PAD src0_sel:DWORD src1_sel:WORD_1
	v_add_u16_e32 v9, 0xf000, v9
	v_add_u16_e32 v3, 0xf000, v3
	v_perm_b32 v3, v3, v9, s16
	v_lshlrev_b16_e32 v9, 8, v7
	v_add_u16_e32 v9, 0xf000, v9
	v_lshrrev_b16_e32 v9, 8, v9
	v_bitop3_b16 v7, v7, v9, s15 bitop3:0xec
	v_add_u16_e32 v7, 0xf000, v7
	v_lshl_or_b32 v3, v3, 16, v7
	v_lshrrev_b32_e32 v4, 4, v4
	v_lshrrev_b32_e32 v7, 12, v2
	;; [unrolled: 1-line block ×3, first 2 shown]
	v_and_b32_e32 v4, 0xf0f0f0f, v4
	v_and_b32_e32 v7, 16, v7
	;; [unrolled: 1-line block ×3, first 2 shown]
	v_or3_b32 v7, v7, v4, v9
	v_lshlrev_b32_e32 v9, 2, v2
	v_lshlrev_b32_e32 v2, 9, v2
	v_and_b32_e32 v9, 0x100000, v9
	v_and_b32_e32 v2, 0x10000000, v2
	v_or3_b32 v2, v4, v9, v2
	v_and_b32_e32 v4, 0x1f00, v7
	v_lshlrev_b16_e32 v7, 8, v7
	v_add_u16_e32 v4, 0xf000, v4
	v_add_u16_e32 v7, 0xf000, v7
	v_perm_b32 v4, v7, v4, s16
	v_and_b32_sdwa v7, v2, s15 dst_sel:DWORD dst_unused:UNUSED_PAD src0_sel:WORD_1 src1_sel:DWORD
	v_lshlrev_b16_sdwa v2, v210, v2 dst_sel:DWORD dst_unused:UNUSED_PAD src0_sel:DWORD src1_sel:WORD_1
	v_add_u16_e32 v7, 0xf000, v7
	v_add_u16_e32 v2, 0xf000, v2
	v_perm_b32 v2, v2, v7, s16
	v_lshl_or_b32 v2, v2, 16, v4
	ds_write2_b32 v65, v3, v2 offset1:1
	v_ashrrev_i32_e32 v2, v50, v6
	v_lshlrev_b32_e32 v4, 4, v2
	v_lshlrev_b32_e32 v6, 11, v2
	v_and_b32_e32 v3, 0xf0f0f0f, v5
	v_and_b32_e32 v4, 16, v4
	;; [unrolled: 1-line block ×3, first 2 shown]
	v_or3_b32 v4, v4, v3, v6
	v_lshlrev_b32_e32 v6, 18, v2
	v_lshlrev_b32_e32 v7, 25, v2
	v_and_b32_e32 v6, 0x100000, v6
	v_and_b32_e32 v7, 0x10000000, v7
	v_or3_b32 v3, v3, v6, v7
	v_and_b32_sdwa v6, v3, s15 dst_sel:DWORD dst_unused:UNUSED_PAD src0_sel:WORD_1 src1_sel:DWORD
	v_lshlrev_b16_sdwa v3, v210, v3 dst_sel:DWORD dst_unused:UNUSED_PAD src0_sel:DWORD src1_sel:WORD_1
	v_add_u16_e32 v6, 0xf000, v6
	v_add_u16_e32 v3, 0xf000, v3
	v_perm_b32 v3, v3, v6, s16
	v_lshlrev_b16_e32 v6, 8, v4
	v_add_u16_e32 v6, 0xf000, v6
	v_lshrrev_b16_e32 v6, 8, v6
	v_bitop3_b16 v4, v4, v6, s15 bitop3:0xec
	v_add_u16_e32 v4, 0xf000, v4
	v_lshl_or_b32 v3, v3, 16, v4
	v_lshrrev_b32_e32 v4, 4, v5
	v_lshrrev_b32_e32 v5, 12, v2
	v_lshrrev_b32_e32 v6, 5, v2
	v_and_b32_e32 v4, 0xf0f0f0f, v4
	v_and_b32_e32 v5, 16, v5
	v_and_b32_e32 v6, 0x1000, v6
	v_or3_b32 v5, v5, v4, v6
	v_lshlrev_b32_e32 v6, 2, v2
	v_lshlrev_b32_e32 v2, 9, v2
	v_and_b32_e32 v6, 0x100000, v6
	v_and_b32_e32 v2, 0x10000000, v2
	v_or3_b32 v2, v4, v6, v2
	v_and_b32_e32 v4, 0x1f00, v5
	v_lshlrev_b16_e32 v5, 8, v5
	v_add_u16_e32 v4, 0xf000, v4
	v_add_u16_e32 v5, 0xf000, v5
	v_perm_b32 v4, v5, v4, s16
	v_and_b32_sdwa v5, v2, s15 dst_sel:DWORD dst_unused:UNUSED_PAD src0_sel:WORD_1 src1_sel:DWORD
	v_lshlrev_b16_sdwa v2, v210, v2 dst_sel:DWORD dst_unused:UNUSED_PAD src0_sel:DWORD src1_sel:WORD_1
	v_add_u16_e32 v5, 0xf000, v5
	v_add_u16_e32 v2, 0xf000, v2
	v_perm_b32 v2, v2, v5, s16
	v_lshl_or_b32 v2, v2, 16, v4
	v_ashrrev_i32_e32 v18, v50, v8
	ds_write2_b32 v67, v3, v2 offset1:1
	v_lshlrev_b32_e32 v3, 4, v18
	v_lshlrev_b32_e32 v4, 11, v18
	v_and_b32_e32 v2, 0xf0f0f0f, v25
	v_and_b32_e32 v3, 16, v3
	;; [unrolled: 1-line block ×3, first 2 shown]
	v_or3_b32 v3, v3, v2, v4
	v_lshlrev_b32_e32 v4, 18, v18
	v_lshlrev_b32_e32 v5, 25, v18
	v_and_b32_e32 v4, 0x100000, v4
	v_and_b32_e32 v5, 0x10000000, v5
	v_or3_b32 v19, v2, v4, v5
	v_and_b32_e32 v2, 0x1f00, v3
	v_add_u16_e32 v20, 0xf000, v2
	v_lshlrev_b16_e32 v21, 8, v3
	v_mad_u64_u32 v[2:3], s[18:19], v68, 22, v[0:1]
	v_mad_u64_u32 v[6:7], s[18:19], v70, 22, v[0:1]
	v_mad_u64_u32 v[14:15], s[18:19], v74, 22, v[0:1]
	v_lshl_add_u64 v[4:5], v[2:3], 0, v[50:51]
	v_lshl_add_u64 v[8:9], v[6:7], 0, v[50:51]
	v_mad_u64_u32 v[10:11], s[18:19], v72, 22, v[0:1]
	v_lshl_add_u64 v[16:17], v[14:15], 0, v[50:51]
	v_lshl_add_u64 v[12:13], v[10:11], 0, v[50:51]
	global_load_dword v4, v[4:5], off offset:6
	s_nop 0
	global_load_dword v5, v[8:9], off offset:6
	global_load_dword v22, v[12:13], off offset:6
	s_nop 0
	global_load_dword v16, v[16:17], off offset:6
	s_nop 0
	global_load_dword v17, v[14:15], off offset:2
	global_load_dword v8, v[10:11], off offset:2
	s_nop 0
	global_load_dword v6, v[6:7], off offset:2
	s_nop 0
	global_load_dword v2, v[2:3], off offset:2
	v_and_b32_sdwa v7, v19, s15 dst_sel:DWORD dst_unused:UNUSED_PAD src0_sel:WORD_1 src1_sel:DWORD
	v_lshlrev_b16_sdwa v9, v210, v19 dst_sel:DWORD dst_unused:UNUSED_PAD src0_sel:DWORD src1_sel:WORD_1
	v_add_u16_e32 v3, 0xf000, v21
	v_add_u16_e32 v7, 0xf000, v7
	;; [unrolled: 1-line block ×3, first 2 shown]
	v_perm_b32 v3, v3, v20, s16
	v_perm_b32 v7, v9, v7, s16
	v_lshl_or_b32 v3, v7, 16, v3
	v_lshrrev_b32_e32 v7, 4, v25
	v_lshrrev_b32_e32 v9, 12, v18
	;; [unrolled: 1-line block ×3, first 2 shown]
	v_and_b32_e32 v7, 0xf0f0f0f, v7
	v_and_b32_e32 v9, 16, v9
	;; [unrolled: 1-line block ×3, first 2 shown]
	v_or3_b32 v9, v9, v7, v10
	v_lshlrev_b32_e32 v10, 2, v18
	v_lshlrev_b32_e32 v11, 9, v18
	v_and_b32_e32 v10, 0x100000, v10
	v_and_b32_e32 v11, 0x10000000, v11
	v_or3_b32 v7, v7, v10, v11
	v_and_b32_sdwa v10, v7, s15 dst_sel:DWORD dst_unused:UNUSED_PAD src0_sel:WORD_1 src1_sel:DWORD
	v_lshlrev_b16_sdwa v7, v210, v7 dst_sel:DWORD dst_unused:UNUSED_PAD src0_sel:DWORD src1_sel:WORD_1
	v_add_u16_e32 v10, 0xf000, v10
	v_add_u16_e32 v7, 0xf000, v7
	v_perm_b32 v7, v7, v10, s16
	v_lshlrev_b16_e32 v10, 8, v9
	v_add_u16_e32 v10, 0xf000, v10
	v_lshrrev_b16_e32 v10, 8, v10
	v_bitop3_b16 v9, v9, v10, s15 bitop3:0xec
	v_add_u16_e32 v9, 0xf000, v9
	v_lshl_or_b32 v7, v7, 16, v9
	ds_write2_b32 v69, v3, v7 offset1:1
	v_ashrrev_i32_e32 v3, v50, v27
	v_lshlrev_b32_e32 v9, 4, v3
	v_lshlrev_b32_e32 v10, 11, v3
	v_and_b32_e32 v7, 0xf0f0f0f, v26
	v_and_b32_e32 v9, 16, v9
	;; [unrolled: 1-line block ×3, first 2 shown]
	v_or3_b32 v9, v9, v7, v10
	v_lshlrev_b32_e32 v10, 18, v3
	v_lshlrev_b32_e32 v11, 25, v3
	v_and_b32_e32 v10, 0x100000, v10
	v_and_b32_e32 v11, 0x10000000, v11
	v_or3_b32 v7, v7, v10, v11
	v_and_b32_e32 v10, 0x1f00, v9
	v_lshlrev_b16_e32 v9, 8, v9
	v_add_u16_e32 v10, 0xf000, v10
	v_add_u16_e32 v9, 0xf000, v9
	v_perm_b32 v9, v9, v10, s16
	v_and_b32_sdwa v10, v7, s15 dst_sel:DWORD dst_unused:UNUSED_PAD src0_sel:WORD_1 src1_sel:DWORD
	v_lshlrev_b16_sdwa v7, v210, v7 dst_sel:DWORD dst_unused:UNUSED_PAD src0_sel:DWORD src1_sel:WORD_1
	v_add_u16_e32 v10, 0xf000, v10
	v_add_u16_e32 v7, 0xf000, v7
	v_perm_b32 v7, v7, v10, s16
	v_lshl_or_b32 v7, v7, 16, v9
	v_lshrrev_b32_e32 v9, 4, v26
	v_lshrrev_b32_e32 v10, 12, v3
	;; [unrolled: 1-line block ×3, first 2 shown]
	v_and_b32_e32 v9, 0xf0f0f0f, v9
	v_and_b32_e32 v10, 16, v10
	;; [unrolled: 1-line block ×3, first 2 shown]
	v_or3_b32 v10, v10, v9, v11
	v_lshlrev_b32_e32 v11, 2, v3
	v_lshlrev_b32_e32 v3, 9, v3
	v_and_b32_e32 v11, 0x100000, v11
	v_and_b32_e32 v3, 0x10000000, v3
	v_or3_b32 v3, v9, v11, v3
	v_and_b32_sdwa v9, v3, s15 dst_sel:DWORD dst_unused:UNUSED_PAD src0_sel:WORD_1 src1_sel:DWORD
	v_lshlrev_b16_sdwa v3, v210, v3 dst_sel:DWORD dst_unused:UNUSED_PAD src0_sel:DWORD src1_sel:WORD_1
	v_add_u16_e32 v9, 0xf000, v9
	v_add_u16_e32 v3, 0xf000, v3
	v_perm_b32 v3, v3, v9, s16
	v_lshlrev_b16_e32 v9, 8, v10
	v_add_u16_e32 v9, 0xf000, v9
	v_lshrrev_b16_e32 v9, 8, v9
	v_bitop3_b16 v9, v10, v9, s15 bitop3:0xec
	v_add_u16_e32 v9, 0xf000, v9
	v_lshl_or_b32 v3, v3, 16, v9
	ds_write2_b32 v71, v7, v3 offset1:1
	s_waitcnt vmcnt(0)
	v_ashrrev_i32_e32 v2, v50, v2
	v_lshlrev_b32_e32 v7, 4, v2
	v_lshlrev_b32_e32 v9, 11, v2
	v_and_b32_e32 v3, 0xf0f0f0f, v4
	v_and_b32_e32 v7, 16, v7
	;; [unrolled: 1-line block ×3, first 2 shown]
	v_or3_b32 v7, v7, v3, v9
	v_lshlrev_b32_e32 v9, 18, v2
	v_lshlrev_b32_e32 v10, 25, v2
	v_and_b32_e32 v9, 0x100000, v9
	v_and_b32_e32 v10, 0x10000000, v10
	v_or3_b32 v3, v3, v9, v10
	v_and_b32_e32 v9, 0x1f00, v7
	v_lshlrev_b16_e32 v7, 8, v7
	v_add_u16_e32 v9, 0xf000, v9
	v_add_u16_e32 v7, 0xf000, v7
	v_perm_b32 v7, v7, v9, s16
	v_and_b32_sdwa v9, v3, s15 dst_sel:DWORD dst_unused:UNUSED_PAD src0_sel:WORD_1 src1_sel:DWORD
	v_lshlrev_b16_sdwa v3, v210, v3 dst_sel:DWORD dst_unused:UNUSED_PAD src0_sel:DWORD src1_sel:WORD_1
	v_add_u16_e32 v9, 0xf000, v9
	v_add_u16_e32 v3, 0xf000, v3
	v_perm_b32 v3, v3, v9, s16
	v_lshl_or_b32 v3, v3, 16, v7
	v_lshrrev_b32_e32 v4, 4, v4
	v_lshrrev_b32_e32 v7, 12, v2
	;; [unrolled: 1-line block ×3, first 2 shown]
	v_and_b32_e32 v4, 0xf0f0f0f, v4
	v_and_b32_e32 v7, 16, v7
	;; [unrolled: 1-line block ×3, first 2 shown]
	v_or3_b32 v7, v7, v4, v9
	v_lshlrev_b32_e32 v9, 2, v2
	v_lshlrev_b32_e32 v2, 9, v2
	v_and_b32_e32 v9, 0x100000, v9
	v_and_b32_e32 v2, 0x10000000, v2
	v_or3_b32 v2, v4, v9, v2
	v_and_b32_sdwa v4, v2, s15 dst_sel:DWORD dst_unused:UNUSED_PAD src0_sel:WORD_1 src1_sel:DWORD
	v_lshlrev_b16_sdwa v2, v210, v2 dst_sel:DWORD dst_unused:UNUSED_PAD src0_sel:DWORD src1_sel:WORD_1
	v_add_u16_e32 v4, 0xf000, v4
	v_add_u16_e32 v2, 0xf000, v2
	v_perm_b32 v2, v2, v4, s16
	v_lshlrev_b16_e32 v4, 8, v7
	v_add_u16_e32 v4, 0xf000, v4
	v_lshrrev_b16_e32 v4, 8, v4
	v_bitop3_b16 v4, v7, v4, s15 bitop3:0xec
	v_add_u16_e32 v4, 0xf000, v4
	v_lshl_or_b32 v2, v2, 16, v4
	ds_write2_b32 v73, v3, v2 offset1:1
	v_ashrrev_i32_e32 v2, v50, v6
	v_lshlrev_b32_e32 v4, 4, v2
	v_lshlrev_b32_e32 v6, 11, v2
	v_and_b32_e32 v3, 0xf0f0f0f, v5
	v_and_b32_e32 v4, 16, v4
	;; [unrolled: 1-line block ×3, first 2 shown]
	v_or3_b32 v4, v4, v3, v6
	v_lshlrev_b32_e32 v6, 18, v2
	v_lshlrev_b32_e32 v7, 25, v2
	v_and_b32_e32 v6, 0x100000, v6
	v_and_b32_e32 v7, 0x10000000, v7
	v_or3_b32 v3, v3, v6, v7
	v_and_b32_e32 v6, 0x1f00, v4
	v_lshlrev_b16_e32 v4, 8, v4
	v_add_u16_e32 v6, 0xf000, v6
	v_add_u16_e32 v4, 0xf000, v4
	v_perm_b32 v4, v4, v6, s16
	v_and_b32_sdwa v6, v3, s15 dst_sel:DWORD dst_unused:UNUSED_PAD src0_sel:WORD_1 src1_sel:DWORD
	v_lshlrev_b16_sdwa v3, v210, v3 dst_sel:DWORD dst_unused:UNUSED_PAD src0_sel:DWORD src1_sel:WORD_1
	v_add_u16_e32 v6, 0xf000, v6
	v_add_u16_e32 v3, 0xf000, v3
	v_perm_b32 v3, v3, v6, s16
	v_lshl_or_b32 v3, v3, 16, v4
	v_lshrrev_b32_e32 v4, 4, v5
	v_lshrrev_b32_e32 v5, 12, v2
	;; [unrolled: 1-line block ×3, first 2 shown]
	v_and_b32_e32 v4, 0xf0f0f0f, v4
	v_and_b32_e32 v5, 16, v5
	;; [unrolled: 1-line block ×3, first 2 shown]
	v_or3_b32 v5, v5, v4, v6
	v_lshlrev_b32_e32 v6, 2, v2
	v_lshlrev_b32_e32 v2, 9, v2
	v_and_b32_e32 v6, 0x100000, v6
	v_and_b32_e32 v2, 0x10000000, v2
	v_or3_b32 v2, v4, v6, v2
	v_and_b32_sdwa v4, v2, s15 dst_sel:DWORD dst_unused:UNUSED_PAD src0_sel:WORD_1 src1_sel:DWORD
	v_lshlrev_b16_sdwa v2, v210, v2 dst_sel:DWORD dst_unused:UNUSED_PAD src0_sel:DWORD src1_sel:WORD_1
	v_add_u16_e32 v4, 0xf000, v4
	v_add_u16_e32 v2, 0xf000, v2
	v_perm_b32 v2, v2, v4, s16
	v_lshlrev_b16_e32 v4, 8, v5
	v_add_u16_e32 v4, 0xf000, v4
	v_lshrrev_b16_e32 v4, 8, v4
	v_bitop3_b16 v4, v5, v4, s15 bitop3:0xec
	v_add_u16_e32 v4, 0xf000, v4
	v_lshl_or_b32 v2, v2, 16, v4
	v_ashrrev_i32_e32 v18, v50, v8
	ds_write2_b32 v75, v3, v2 offset1:1
	v_lshlrev_b32_e32 v3, 4, v18
	v_lshlrev_b32_e32 v4, 11, v18
	v_and_b32_e32 v2, 0xf0f0f0f, v22
	v_and_b32_e32 v3, 16, v3
	;; [unrolled: 1-line block ×3, first 2 shown]
	v_or3_b32 v3, v3, v2, v4
	v_lshlrev_b32_e32 v4, 18, v18
	v_lshlrev_b32_e32 v5, 25, v18
	v_and_b32_e32 v4, 0x100000, v4
	v_and_b32_e32 v5, 0x10000000, v5
	v_or3_b32 v19, v2, v4, v5
	v_and_b32_e32 v2, 0x1f00, v3
	v_add_u16_e32 v20, 0xf000, v2
	v_lshlrev_b16_e32 v21, 8, v3
	v_mad_u64_u32 v[2:3], s[18:19], v76, 22, v[0:1]
	v_mad_u64_u32 v[6:7], s[18:19], v78, 22, v[0:1]
	;; [unrolled: 1-line block ×3, first 2 shown]
	v_lshl_add_u64 v[4:5], v[2:3], 0, v[50:51]
	v_lshl_add_u64 v[8:9], v[6:7], 0, v[50:51]
	;; [unrolled: 1-line block ×3, first 2 shown]
	v_mad_u64_u32 v[0:1], s[18:19], v82, 22, v[0:1]
	v_lshl_add_u64 v[14:15], v[0:1], 0, v[50:51]
	global_load_dword v4, v[4:5], off offset:6
	s_nop 0
	global_load_dword v5, v[8:9], off offset:6
	s_nop 0
	global_load_dword v8, v[12:13], off offset:6
	global_load_dword v9, v[14:15], off offset:6
	s_nop 0
	global_load_dword v12, v[0:1], off offset:2
	s_nop 0
	global_load_dword v0, v[10:11], off offset:2
	global_load_dword v1, v[6:7], off offset:2
	s_nop 0
	global_load_dword v2, v[2:3], off offset:2
	v_and_b32_sdwa v6, v19, s15 dst_sel:DWORD dst_unused:UNUSED_PAD src0_sel:WORD_1 src1_sel:DWORD
	v_lshlrev_b16_sdwa v7, v210, v19 dst_sel:DWORD dst_unused:UNUSED_PAD src0_sel:DWORD src1_sel:WORD_1
	v_add_u16_e32 v3, 0xf000, v21
	v_add_u16_e32 v6, 0xf000, v6
	;; [unrolled: 1-line block ×3, first 2 shown]
	v_perm_b32 v3, v3, v20, s16
	v_perm_b32 v6, v7, v6, s16
	v_lshl_or_b32 v3, v6, 16, v3
	v_lshrrev_b32_e32 v6, 4, v22
	v_lshrrev_b32_e32 v7, 12, v18
	;; [unrolled: 1-line block ×3, first 2 shown]
	v_and_b32_e32 v6, 0xf0f0f0f, v6
	v_and_b32_e32 v7, 16, v7
	;; [unrolled: 1-line block ×3, first 2 shown]
	v_or3_b32 v7, v7, v6, v10
	v_lshlrev_b32_e32 v10, 2, v18
	v_lshlrev_b32_e32 v11, 9, v18
	v_and_b32_e32 v10, 0x100000, v10
	v_and_b32_e32 v11, 0x10000000, v11
	v_or3_b32 v6, v6, v10, v11
	v_and_b32_sdwa v10, v6, s15 dst_sel:DWORD dst_unused:UNUSED_PAD src0_sel:WORD_1 src1_sel:DWORD
	v_lshlrev_b16_sdwa v6, v210, v6 dst_sel:DWORD dst_unused:UNUSED_PAD src0_sel:DWORD src1_sel:WORD_1
	v_add_u16_e32 v10, 0xf000, v10
	v_add_u16_e32 v6, 0xf000, v6
	v_perm_b32 v6, v6, v10, s16
	v_lshlrev_b16_e32 v10, 8, v7
	v_add_u16_e32 v10, 0xf000, v10
	v_lshrrev_b16_e32 v10, 8, v10
	v_bitop3_b16 v7, v7, v10, s15 bitop3:0xec
	v_add_u16_e32 v7, 0xf000, v7
	v_lshl_or_b32 v6, v6, 16, v7
	ds_write2_b32 v77, v3, v6 offset1:1
	v_ashrrev_i32_e32 v3, v50, v17
	v_lshlrev_b32_e32 v7, 4, v3
	v_lshlrev_b32_e32 v10, 11, v3
	v_and_b32_e32 v6, 0xf0f0f0f, v16
	v_and_b32_e32 v7, 16, v7
	;; [unrolled: 1-line block ×3, first 2 shown]
	v_or3_b32 v7, v7, v6, v10
	v_lshlrev_b32_e32 v10, 18, v3
	v_lshlrev_b32_e32 v11, 25, v3
	v_and_b32_e32 v10, 0x100000, v10
	v_and_b32_e32 v11, 0x10000000, v11
	v_or3_b32 v6, v6, v10, v11
	v_and_b32_e32 v10, 0x1f00, v7
	v_lshlrev_b16_e32 v7, 8, v7
	v_add_u16_e32 v10, 0xf000, v10
	v_add_u16_e32 v7, 0xf000, v7
	v_perm_b32 v7, v7, v10, s16
	v_and_b32_sdwa v10, v6, s15 dst_sel:DWORD dst_unused:UNUSED_PAD src0_sel:WORD_1 src1_sel:DWORD
	v_lshlrev_b16_sdwa v6, v210, v6 dst_sel:DWORD dst_unused:UNUSED_PAD src0_sel:DWORD src1_sel:WORD_1
	v_add_u16_e32 v10, 0xf000, v10
	v_add_u16_e32 v6, 0xf000, v6
	v_perm_b32 v6, v6, v10, s16
	v_lshl_or_b32 v6, v6, 16, v7
	v_lshrrev_b32_e32 v7, 4, v16
	v_lshrrev_b32_e32 v10, 12, v3
	v_lshrrev_b32_e32 v11, 5, v3
	v_and_b32_e32 v7, 0xf0f0f0f, v7
	v_and_b32_e32 v10, 16, v10
	;; [unrolled: 1-line block ×3, first 2 shown]
	v_or3_b32 v10, v10, v7, v11
	v_lshlrev_b32_e32 v11, 2, v3
	v_lshlrev_b32_e32 v3, 9, v3
	v_and_b32_e32 v11, 0x100000, v11
	v_and_b32_e32 v3, 0x10000000, v3
	v_or3_b32 v3, v7, v11, v3
	v_and_b32_sdwa v7, v3, s15 dst_sel:DWORD dst_unused:UNUSED_PAD src0_sel:WORD_1 src1_sel:DWORD
	v_lshlrev_b16_sdwa v3, v210, v3 dst_sel:DWORD dst_unused:UNUSED_PAD src0_sel:DWORD src1_sel:WORD_1
	v_add_u16_e32 v7, 0xf000, v7
	v_add_u16_e32 v3, 0xf000, v3
	v_perm_b32 v3, v3, v7, s16
	v_lshlrev_b16_e32 v7, 8, v10
	v_add_u16_e32 v7, 0xf000, v7
	v_lshrrev_b16_e32 v7, 8, v7
	v_bitop3_b16 v7, v10, v7, s15 bitop3:0xec
	v_add_u16_e32 v7, 0xf000, v7
	v_lshl_or_b32 v3, v3, 16, v7
	ds_write2_b32 v79, v6, v3 offset1:1
	s_waitcnt vmcnt(0)
	v_ashrrev_i32_e32 v2, v50, v2
	v_lshlrev_b32_e32 v6, 4, v2
	v_lshlrev_b32_e32 v7, 11, v2
	v_and_b32_e32 v3, 0xf0f0f0f, v4
	v_and_b32_e32 v6, 16, v6
	v_and_b32_e32 v7, 0x1000, v7
	v_or3_b32 v6, v6, v3, v7
	v_lshlrev_b32_e32 v7, 18, v2
	v_lshlrev_b32_e32 v10, 25, v2
	v_and_b32_e32 v7, 0x100000, v7
	v_and_b32_e32 v10, 0x10000000, v10
	v_or3_b32 v3, v3, v7, v10
	v_and_b32_e32 v7, 0x1f00, v6
	v_lshlrev_b16_e32 v6, 8, v6
	v_add_u16_e32 v7, 0xf000, v7
	v_add_u16_e32 v6, 0xf000, v6
	v_perm_b32 v6, v6, v7, s16
	v_and_b32_sdwa v7, v3, s15 dst_sel:DWORD dst_unused:UNUSED_PAD src0_sel:WORD_1 src1_sel:DWORD
	v_lshlrev_b16_sdwa v3, v210, v3 dst_sel:DWORD dst_unused:UNUSED_PAD src0_sel:DWORD src1_sel:WORD_1
	v_add_u16_e32 v7, 0xf000, v7
	v_add_u16_e32 v3, 0xf000, v3
	v_perm_b32 v3, v3, v7, s16
	v_lshl_or_b32 v3, v3, 16, v6
	v_lshrrev_b32_e32 v4, 4, v4
	v_lshrrev_b32_e32 v6, 12, v2
	;; [unrolled: 1-line block ×3, first 2 shown]
	v_and_b32_e32 v4, 0xf0f0f0f, v4
	v_and_b32_e32 v6, 16, v6
	v_and_b32_e32 v7, 0x1000, v7
	v_or3_b32 v6, v6, v4, v7
	v_lshlrev_b32_e32 v7, 2, v2
	v_lshlrev_b32_e32 v2, 9, v2
	v_and_b32_e32 v7, 0x100000, v7
	v_and_b32_e32 v2, 0x10000000, v2
	v_or3_b32 v2, v4, v7, v2
	v_and_b32_sdwa v4, v2, s15 dst_sel:DWORD dst_unused:UNUSED_PAD src0_sel:WORD_1 src1_sel:DWORD
	v_lshlrev_b16_sdwa v2, v210, v2 dst_sel:DWORD dst_unused:UNUSED_PAD src0_sel:DWORD src1_sel:WORD_1
	v_add_u16_e32 v4, 0xf000, v4
	v_add_u16_e32 v2, 0xf000, v2
	v_perm_b32 v2, v2, v4, s16
	v_lshlrev_b16_e32 v4, 8, v6
	v_add_u16_e32 v4, 0xf000, v4
	v_lshrrev_b16_e32 v4, 8, v4
	v_bitop3_b16 v4, v6, v4, s15 bitop3:0xec
	v_add_u16_e32 v4, 0xf000, v4
	v_lshl_or_b32 v2, v2, 16, v4
	v_ashrrev_i32_e32 v1, v50, v1
	ds_write2_b32 v81, v3, v2 offset1:1
	v_lshlrev_b32_e32 v3, 4, v1
	v_lshlrev_b32_e32 v4, 11, v1
	v_and_b32_e32 v2, 0xf0f0f0f, v5
	v_and_b32_e32 v3, 16, v3
	;; [unrolled: 1-line block ×3, first 2 shown]
	v_or3_b32 v3, v3, v2, v4
	v_lshlrev_b32_e32 v4, 18, v1
	v_lshlrev_b32_e32 v6, 25, v1
	v_and_b32_e32 v4, 0x100000, v4
	v_and_b32_e32 v6, 0x10000000, v6
	v_or3_b32 v2, v2, v4, v6
	v_and_b32_e32 v4, 0x1f00, v3
	v_lshlrev_b16_e32 v3, 8, v3
	v_add_u16_e32 v4, 0xf000, v4
	v_add_u16_e32 v3, 0xf000, v3
	v_perm_b32 v3, v3, v4, s16
	v_and_b32_sdwa v4, v2, s15 dst_sel:DWORD dst_unused:UNUSED_PAD src0_sel:WORD_1 src1_sel:DWORD
	v_lshlrev_b16_sdwa v2, v210, v2 dst_sel:DWORD dst_unused:UNUSED_PAD src0_sel:DWORD src1_sel:WORD_1
	v_add_u16_e32 v4, 0xf000, v4
	v_add_u16_e32 v2, 0xf000, v2
	v_perm_b32 v2, v2, v4, s16
	v_lshl_or_b32 v2, v2, 16, v3
	v_lshrrev_b32_e32 v3, 4, v5
	v_lshrrev_b32_e32 v4, 12, v1
	;; [unrolled: 1-line block ×3, first 2 shown]
	v_and_b32_e32 v3, 0xf0f0f0f, v3
	v_and_b32_e32 v4, 16, v4
	;; [unrolled: 1-line block ×3, first 2 shown]
	v_or3_b32 v4, v4, v3, v5
	v_lshlrev_b32_e32 v5, 2, v1
	v_lshlrev_b32_e32 v1, 9, v1
	v_and_b32_e32 v5, 0x100000, v5
	v_and_b32_e32 v1, 0x10000000, v1
	v_or3_b32 v1, v3, v5, v1
	v_and_b32_sdwa v3, v1, s15 dst_sel:DWORD dst_unused:UNUSED_PAD src0_sel:WORD_1 src1_sel:DWORD
	v_lshlrev_b16_sdwa v1, v210, v1 dst_sel:DWORD dst_unused:UNUSED_PAD src0_sel:DWORD src1_sel:WORD_1
	v_add_u16_e32 v3, 0xf000, v3
	v_add_u16_e32 v1, 0xf000, v1
	v_perm_b32 v1, v1, v3, s16
	v_lshlrev_b16_e32 v3, 8, v4
	v_add_u16_e32 v3, 0xf000, v3
	v_lshrrev_b16_e32 v3, 8, v3
	v_bitop3_b16 v3, v4, v3, s15 bitop3:0xec
	v_add_u16_e32 v3, 0xf000, v3
	v_lshl_or_b32 v1, v1, 16, v3
	v_ashrrev_i32_e32 v10, v50, v0
	ds_write2_b32 v83, v2, v1 offset1:1
	v_lshlrev_b32_e32 v1, 4, v10
	v_lshlrev_b32_e32 v2, 11, v10
	v_and_b32_e32 v0, 0xf0f0f0f, v8
	v_and_b32_e32 v1, 16, v1
	;; [unrolled: 1-line block ×3, first 2 shown]
	v_or3_b32 v1, v1, v0, v2
	v_lshlrev_b32_e32 v2, 18, v10
	v_lshlrev_b32_e32 v3, 25, v10
	v_and_b32_e32 v2, 0x100000, v2
	v_and_b32_e32 v3, 0x10000000, v3
	v_or3_b32 v11, v0, v2, v3
	v_and_b32_e32 v0, 0x1f00, v1
	v_lshlrev_b16_e32 v1, 8, v1
	v_add_u16_e32 v0, 0xf000, v0
	v_add_u16_e32 v1, 0xf000, v1
	v_perm_b32 v13, v1, v0, s16
	v_and_b32_sdwa v0, v11, s15 dst_sel:DWORD dst_unused:UNUSED_PAD src0_sel:WORD_1 src1_sel:DWORD
	v_add_u16_e32 v14, 0xf000, v0
	v_mad_u64_u32 v[0:1], s[0:1], v84, 22, s[0:1]
	v_mad_u64_u32 v[2:3], s[0:1], v86, 22, v[0:1]
	;; [unrolled: 1-line block ×5, first 2 shown]
	global_load_ushort v2, v[2:3], off
	s_nop 0
	global_load_ushort v3, v[4:5], off
	s_nop 0
	global_load_ushort v4, v[6:7], off
	v_lshrrev_b32_e32 v5, 4, v8
	global_load_ushort v0, v[0:1], off
	v_lshrrev_b32_e32 v6, 12, v10
	v_lshrrev_b32_e32 v7, 5, v10
	v_and_b32_e32 v5, 0xf0f0f0f, v5
	v_and_b32_e32 v6, 16, v6
	;; [unrolled: 1-line block ×3, first 2 shown]
	v_or3_b32 v6, v6, v5, v7
	v_lshlrev_b32_e32 v7, 2, v10
	v_lshlrev_b32_e32 v8, 9, v10
	v_and_b32_e32 v7, 0x100000, v7
	v_and_b32_e32 v8, 0x10000000, v8
	v_or3_b32 v5, v5, v7, v8
	v_and_b32_sdwa v7, v5, s15 dst_sel:DWORD dst_unused:UNUSED_PAD src0_sel:WORD_1 src1_sel:DWORD
	v_lshlrev_b16_sdwa v5, v210, v5 dst_sel:DWORD dst_unused:UNUSED_PAD src0_sel:DWORD src1_sel:WORD_1
	v_add_u16_e32 v7, 0xf000, v7
	v_add_u16_e32 v5, 0xf000, v5
	v_perm_b32 v5, v5, v7, s16
	v_lshlrev_b16_e32 v7, 8, v6
	v_add_u16_e32 v7, 0xf000, v7
	v_lshlrev_b16_sdwa v1, v210, v11 dst_sel:DWORD dst_unused:UNUSED_PAD src0_sel:DWORD src1_sel:WORD_1
	v_lshrrev_b16_e32 v7, 8, v7
	v_add_u16_e32 v1, 0xf000, v1
	v_bitop3_b16 v6, v6, v7, s15 bitop3:0xec
	v_perm_b32 v1, v1, v14, s16
	v_add_u16_e32 v6, 0xf000, v6
	v_lshl_or_b32 v1, v1, 16, v13
	v_lshl_or_b32 v5, v5, 16, v6
	ds_write2_b32 v85, v1, v5 offset1:1
	v_ashrrev_i32_e32 v1, v50, v12
	v_lshlrev_b32_e32 v6, 4, v1
	v_lshlrev_b32_e32 v7, 11, v1
	v_and_b32_e32 v5, 0xf0f0f0f, v9
	v_and_b32_e32 v6, 16, v6
	;; [unrolled: 1-line block ×3, first 2 shown]
	v_or3_b32 v6, v6, v5, v7
	v_lshlrev_b32_e32 v7, 18, v1
	v_lshlrev_b32_e32 v8, 25, v1
	v_and_b32_e32 v7, 0x100000, v7
	v_and_b32_e32 v8, 0x10000000, v8
	v_or3_b32 v5, v5, v7, v8
	v_and_b32_e32 v7, 0x1f00, v6
	v_lshlrev_b16_e32 v6, 8, v6
	v_add_u16_e32 v7, 0xf000, v7
	v_add_u16_e32 v6, 0xf000, v6
	v_perm_b32 v6, v6, v7, s16
	v_and_b32_sdwa v7, v5, s15 dst_sel:DWORD dst_unused:UNUSED_PAD src0_sel:WORD_1 src1_sel:DWORD
	v_lshlrev_b16_sdwa v5, v210, v5 dst_sel:DWORD dst_unused:UNUSED_PAD src0_sel:DWORD src1_sel:WORD_1
	v_add_u16_e32 v7, 0xf000, v7
	v_add_u16_e32 v5, 0xf000, v5
	v_perm_b32 v5, v5, v7, s16
	v_lshl_or_b32 v5, v5, 16, v6
	v_lshrrev_b32_e32 v6, 4, v9
	v_lshrrev_b32_e32 v7, 12, v1
	;; [unrolled: 1-line block ×3, first 2 shown]
	v_and_b32_e32 v6, 0xf0f0f0f, v6
	v_and_b32_e32 v7, 16, v7
	;; [unrolled: 1-line block ×3, first 2 shown]
	v_or3_b32 v7, v7, v6, v8
	v_lshlrev_b32_e32 v8, 2, v1
	v_lshlrev_b32_e32 v1, 9, v1
	v_and_b32_e32 v8, 0x100000, v8
	v_and_b32_e32 v1, 0x10000000, v1
	v_or3_b32 v1, v6, v8, v1
	v_and_b32_sdwa v6, v1, s15 dst_sel:DWORD dst_unused:UNUSED_PAD src0_sel:WORD_1 src1_sel:DWORD
	v_lshlrev_b16_sdwa v1, v210, v1 dst_sel:DWORD dst_unused:UNUSED_PAD src0_sel:DWORD src1_sel:WORD_1
	v_add_u16_e32 v6, 0xf000, v6
	v_add_u16_e32 v1, 0xf000, v1
	v_perm_b32 v1, v1, v6, s16
	v_lshlrev_b16_e32 v6, 8, v7
	v_add_u16_e32 v6, 0xf000, v6
	v_lshrrev_b16_e32 v6, 8, v6
	v_bitop3_b16 v6, v7, v6, s15 bitop3:0xec
	v_add_u16_e32 v6, 0xf000, v6
	v_lshl_or_b32 v1, v1, 16, v6
	ds_write2_b32 v87, v5, v1 offset1:1
	s_waitcnt vmcnt(3)
	v_cvt_f32_f16_e32 v2, v2
	s_waitcnt vmcnt(2)
	v_cvt_f32_f16_e32 v1, v3
	;; [unrolled: 2-line block ×4, first 2 shown]
	ds_write_b32 v206, v2
	ds_write_b32 v207, v1
	;; [unrolled: 1-line block ×4, first 2 shown]
	s_cbranch_scc0 .LBB141_6
; %bb.8:                                ;   in Loop: Header=BB141_7 Depth=1
	v_add_u32_e32 v14, s14, v89
	v_add_u32_e32 v218, s14, v94
	;; [unrolled: 1-line block ×6, first 2 shown]
	v_mad_i64_i32 v[0:1], s[0:1], v0, 36, v[96:97]
	v_mad_i64_i32 v[2:3], s[0:1], v2, 36, v[96:97]
	;; [unrolled: 1-line block ×4, first 2 shown]
	v_add_u32_e32 v8, v14, v189
	v_add_u32_e32 v10, v14, v190
	;; [unrolled: 1-line block ×4, first 2 shown]
	v_mad_u64_u32 v[16:17], s[0:1], v218, 36, s[2:3]
	v_mad_i64_i32 v[8:9], s[0:1], v8, 36, v[96:97]
	v_mad_i64_i32 v[10:11], s[0:1], v10, 36, v[96:97]
	v_mad_i64_i32 v[12:13], s[0:1], v12, 36, v[96:97]
	v_mad_i64_i32 v[14:15], s[0:1], v14, 36, v[96:97]
	global_load_dword v16, v[16:17], off
	s_nop 0
	global_load_dword v0, v[0:1], off offset:4
	s_nop 0
	global_load_dword v1, v[2:3], off offset:4
	;; [unrolled: 2-line block ×3, first 2 shown]
	global_load_dword v3, v[6:7], off offset:4
	s_nop 0
	global_load_dword v4, v[8:9], off offset:4
	global_load_dword v5, v[10:11], off offset:4
	;; [unrolled: 1-line block ×4, first 2 shown]
	v_add_u32_e32 v219, v91, v147
	s_mov_b32 s0, -4
	v_mov_b32_e32 v220, v200
	v_mov_b32_e32 v221, v193
	;; [unrolled: 1-line block ×7, first 2 shown]
	s_waitcnt vmcnt(8)
	v_cvt_f32_f16_e32 v8, v16
	s_waitcnt vmcnt(7)
	ds_write_b32 v219, v0
	s_waitcnt vmcnt(6)
	ds_write_b32 v211, v1
	s_waitcnt vmcnt(5)
	ds_write_b32 v212, v2
	s_waitcnt vmcnt(4)
	ds_write_b32 v213, v3
	s_waitcnt vmcnt(3)
	ds_write_b32 v214, v4
	s_waitcnt vmcnt(2)
	ds_write_b32 v215, v5
	s_waitcnt vmcnt(1)
	ds_write_b32 v216, v6
	s_waitcnt vmcnt(0)
	ds_write_b32 v217, v7
	ds_write_b32 v93, v8
	s_waitcnt lgkmcnt(0)
	s_barrier
.LBB141_9:                              ;   Parent Loop BB141_7 Depth=1
                                        ; =>  This Inner Loop Header: Depth=2
	ds_read_b128 v[32:35], v220
	ds_read_b128 v[0:3], v220 offset:16
	ds_read2_b32 v[156:157], v222 offset1:32
	v_add_u32_e32 v138, 0x2080, v221
	v_add_u32_e32 v150, 0x4108, v221
	;; [unrolled: 1-line block ×5, first 2 shown]
	ds_read2_b32 v[136:137], v221 offset1:1
	ds_read2_b32 v[134:135], v221 offset0:2 offset1:3
	ds_read2_b32 v[132:133], v221 offset0:4 offset1:5
	;; [unrolled: 1-line block ×3, first 2 shown]
	v_add_u32_e32 v139, 0x2088, v221
	v_add_u32_e32 v141, 0x2090, v221
	;; [unrolled: 1-line block ×4, first 2 shown]
	ds_read_b32 v140, v223
	ds_read_b32 v142, v224
	;; [unrolled: 1-line block ×4, first 2 shown]
	v_add_u32_e32 v154, 0x6188, v221
	v_add_u32_e32 v155, 0x6190, v221
	v_add_u32_e32 v158, 0x6198, v221
	ds_read_b128 v[36:39], v220 offset:1024
	ds_read_b128 v[4:7], v220 offset:1040
	;; [unrolled: 1-line block ×4, first 2 shown]
	ds_read2_b32 v[160:161], v222 offset0:64 offset1:96
	ds_read_b128 v[44:47], v220 offset:3072
	ds_read_b128 v[12:15], v220 offset:3088
	;; [unrolled: 1-line block ×4, first 2 shown]
	ds_read2_b32 v[166:167], v222 offset0:128 offset1:160
	ds_read_b128 v[20:23], v220 offset:5120
	ds_read_b128 v[24:27], v220 offset:6144
	ds_read2_b32 v[184:185], v222 offset0:192 offset1:224
	ds_read2_b32 v[182:183], v138 offset1:1
	ds_read2_b32 v[176:177], v139 offset1:1
	;; [unrolled: 1-line block ×12, first 2 shown]
	v_mov_b32_e32 v228, 0
	v_mov_b32_e32 v227, 0
	;; [unrolled: 1-line block ×4, first 2 shown]
	s_waitcnt lgkmcnt(14)
	v_dot4c_i32_i8_e32 v228, v136, v32
	s_waitcnt lgkmcnt(11)
	v_dot4c_i32_i8_e32 v227, v182, v32
	s_waitcnt lgkmcnt(7)
	v_dot4c_i32_i8_e32 v229, v180, v32
	s_waitcnt lgkmcnt(3)
	v_dot4c_i32_i8_e32 v230, v178, v32
	v_dot4c_i32_i8_e32 v228, v137, v0
	v_dot4c_i32_i8_e32 v227, v183, v0
	;; [unrolled: 1-line block ×7, first 2 shown]
	s_waitcnt lgkmcnt(2)
	v_dot4c_i32_i8_e32 v230, v172, v33
	v_dot4c_i32_i8_e32 v228, v135, v1
	;; [unrolled: 1-line block ×8, first 2 shown]
	s_waitcnt lgkmcnt(1)
	v_dot4c_i32_i8_e32 v230, v162, v34
	v_mov_b32_e32 v240, 0
	v_mov_b32_e32 v242, 0
	;; [unrolled: 1-line block ×3, first 2 shown]
	v_dot4c_i32_i8_e32 v228, v133, v2
	v_dot4c_i32_i8_e32 v227, v171, v2
	;; [unrolled: 1-line block ×4, first 2 shown]
	v_mov_b32_e32 v2, 0
	v_mov_b32_e32 v232, 0
	;; [unrolled: 1-line block ×9, first 2 shown]
	v_dot4c_i32_i8_e32 v240, v136, v28
	v_dot4c_i32_i8_e32 v242, v182, v28
	;; [unrolled: 1-line block ×40, first 2 shown]
	v_mov_b32_e32 v239, 0
	v_mov_b32_e32 v243, 0
	;; [unrolled: 1-line block ×4, first 2 shown]
	v_dot4c_i32_i8_e32 v232, v135, v5
	v_dot4c_i32_i8_e32 v231, v177, v5
	;; [unrolled: 1-line block ×43, first 2 shown]
	s_waitcnt lgkmcnt(0)
	v_dot4c_i32_i8_e32 v2, v152, v31
	ds_read_b128 v[28:31], v220 offset:7168
	v_dot4c_i32_i8_e32 v228, v130, v35
	v_dot4c_i32_i8_e32 v227, v148, v35
	;; [unrolled: 1-line block ×16, first 2 shown]
	ds_read_b128 v[32:35], v220 offset:5136
	ds_read_b128 v[40:43], v220 offset:6160
	;; [unrolled: 1-line block ×3, first 2 shown]
	v_dot4c_i32_i8_e32 v239, v135, v13
	v_dot4c_i32_i8_e32 v243, v177, v13
	;; [unrolled: 1-line block ×8, first 2 shown]
	v_mov_b32_e32 v241, 0
	v_dot4c_i32_i8_e32 v239, v133, v14
	v_dot4c_i32_i8_e32 v243, v171, v14
	;; [unrolled: 1-line block ×4, first 2 shown]
	v_mov_b32_e32 v14, 0
	v_mov_b32_e32 v18, 0
	v_dot4c_i32_i8_e32 v241, v136, v20
	v_dot4c_i32_i8_e32 v14, v136, v24
	s_waitcnt lgkmcnt(3)
	v_dot4c_i32_i8_e32 v18, v136, v28
	v_pk_mul_f32 v[138:139], v[140:141], v[156:157] op_sel_hi:[0,1]
	v_pk_mul_f32 v[0:1], v[142:143], v[156:157] op_sel_hi:[0,1]
	;; [unrolled: 1-line block ×9, first 2 shown]
	v_dot4c_i32_i8_e32 v239, v130, v47
	v_dot4c_i32_i8_e32 v243, v148, v47
	;; [unrolled: 1-line block ×4, first 2 shown]
	v_pk_mul_f32 v[12:13], v[142:143], v[166:167] op_sel_hi:[0,1]
	v_pk_mul_f32 v[44:45], v[144:145], v[166:167] op_sel_hi:[0,1]
	;; [unrolled: 1-line block ×7, first 2 shown]
	s_waitcnt lgkmcnt(2)
	v_dot4c_i32_i8_e32 v241, v137, v32
	s_waitcnt lgkmcnt(1)
	v_dot4c_i32_i8_e32 v14, v137, v40
	;; [unrolled: 2-line block ×3, first 2 shown]
	v_mov_b32_e32 v136, 0
	v_mov_b32_e32 v137, 0
	v_mov_b32_e32 v146, 0
	v_dot4c_i32_i8_e32 v136, v182, v20
	v_dot4c_i32_i8_e32 v137, v182, v24
	v_dot4c_i32_i8_e32 v146, v182, v28
	v_dot4c_i32_i8_e32 v136, v183, v32
	v_dot4c_i32_i8_e32 v137, v183, v40
	v_dot4c_i32_i8_e32 v146, v183, v36
	v_mov_b32_e32 v182, 0
	v_mov_b32_e32 v183, 0
	v_mov_b32_e32 v184, 0
	v_dot4c_i32_i8_e32 v182, v180, v20
	v_dot4c_i32_i8_e32 v183, v180, v24
	v_dot4c_i32_i8_e32 v184, v180, v28
	v_dot4c_i32_i8_e32 v182, v181, v32
	v_dot4c_i32_i8_e32 v183, v181, v40
	v_dot4c_i32_i8_e32 v184, v181, v36
	;; [unrolled: 9-line block ×3, first 2 shown]
	v_dot4c_i32_i8_e32 v241, v134, v21
	v_dot4c_i32_i8_e32 v14, v134, v25
	;; [unrolled: 1-line block ×92, first 2 shown]
	v_cvt_f32_i32_e32 v17, v232
	v_cvt_f32_i32_e32 v16, v228
	;; [unrolled: 1-line block ×32, first 2 shown]
	s_add_i32 s0, s0, 4
	v_add_u32_e32 v226, 4, v226
	v_add_u32_e32 v225, 4, v225
	;; [unrolled: 1-line block ×7, first 2 shown]
	s_cmp_lt_u32 s0, 12
	v_pk_fma_f32 v[98:99], v[138:139], v[16:17], v[98:99]
	v_pk_fma_f32 v[106:107], v[158:159], v[6:7], v[106:107]
	;; [unrolled: 1-line block ×16, first 2 shown]
	s_cbranch_scc1 .LBB141_9
; %bb.10:                               ;   in Loop: Header=BB141_7 Depth=1
	s_and_b32 s0, s9, -4
	s_cmp_eq_u32 s0, 4
	s_barrier
	s_cbranch_scc1 .LBB141_6
; %bb.11:                               ;   in Loop: Header=BB141_7 Depth=1
	v_add_u32_e32 v14, s14, v194
	v_add_u32_e32 v0, v14, v95
	;; [unrolled: 1-line block ×8, first 2 shown]
	v_mad_i64_i32 v[0:1], s[0:1], v0, 36, v[96:97]
	v_mad_i64_i32 v[2:3], s[0:1], v2, 36, v[96:97]
	;; [unrolled: 1-line block ×6, first 2 shown]
	v_add_u32_e32 v12, v14, v191
	v_add_u32_e32 v14, v14, v192
	v_mad_u64_u32 v[16:17], s[0:1], v16, 36, s[2:3]
	v_mad_i64_i32 v[12:13], s[0:1], v12, 36, v[96:97]
	v_mad_i64_i32 v[14:15], s[0:1], v14, 36, v[96:97]
	global_load_dword v16, v[16:17], off
	s_nop 0
	global_load_dword v0, v[0:1], off offset:4
	s_nop 0
	global_load_dword v2, v[2:3], off offset:4
	;; [unrolled: 2-line block ×6, first 2 shown]
	global_load_dword v9, v[12:13], off offset:4
	s_nop 0
	global_load_dword v10, v[14:15], off offset:4
	s_mov_b32 s0, 12
	v_mov_b32_e32 v1, v199
	v_mov_b32_e32 v3, v200
	;; [unrolled: 1-line block ×7, first 2 shown]
	s_waitcnt vmcnt(8)
	v_cvt_f32_f16_e32 v11, v16
	s_waitcnt vmcnt(7)
	ds_write_b32 v219, v0
	s_waitcnt vmcnt(6)
	ds_write_b32 v211, v2
	;; [unrolled: 2-line block ×8, first 2 shown]
	ds_write_b32 v93, v11
	s_waitcnt lgkmcnt(0)
	s_barrier
.LBB141_12:                             ;   Parent Loop BB141_7 Depth=1
                                        ; =>  This Inner Loop Header: Depth=2
	v_add_u32_e32 v2, 0x2080, v5
	ds_read_b128 v[130:133], v3
	ds_read_b128 v[134:137], v3 offset:16
	ds_read2_b32 v[40:41], v1 offset1:32
	ds_read_b32 v4, v13
	ds_read2_b32 v[10:11], v5 offset1:1
	ds_read2_b32 v[20:21], v5 offset0:2 offset1:3
	ds_read2_b32 v[26:27], v5 offset0:4 offset1:5
	;; [unrolled: 1-line block ×3, first 2 shown]
	ds_read_b32 v0, v42
	ds_read2_b32 v[6:7], v2 offset1:1
	v_add_u32_e32 v2, 0x2088, v5
	ds_read2_b32 v[14:15], v2 offset1:1
	v_add_u32_e32 v2, 0x2090, v5
	;; [unrolled: 2-line block ×3, first 2 shown]
	v_add_u32_e32 v8, 0x4100, v5
	v_add_u32_e32 v12, 0x4108, v5
	ds_read2_b32 v[32:33], v2 offset1:1
	ds_read_b32 v2, v43
	ds_read2_b32 v[8:9], v8 offset1:1
	ds_read2_b32 v[18:19], v12 offset1:1
	v_add_u32_e32 v12, 0x4110, v5
	ds_read2_b32 v[28:29], v12 offset1:1
	v_add_u32_e32 v12, 0x4118, v5
	v_add_u32_e32 v16, 0x6180, v5
	ds_read2_b32 v[36:37], v12 offset1:1
	ds_read_b32 v12, v44
	ds_read2_b32 v[16:17], v16 offset1:1
	v_add_u32_e32 v24, 0x6188, v5
	ds_read2_b32 v[24:25], v24 offset1:1
	v_add_u32_e32 v34, 0x6190, v5
	v_mov_b32_e32 v45, 0
	v_mov_b32_e32 v140, 0
	;; [unrolled: 1-line block ×4, first 2 shown]
	ds_read2_b32 v[34:35], v34 offset1:1
	s_waitcnt lgkmcnt(14)
	v_dot4c_i32_i8_e32 v45, v10, v130
	s_waitcnt lgkmcnt(12)
	v_dot4c_i32_i8_e32 v140, v6, v130
	;; [unrolled: 2-line block ×4, first 2 shown]
	v_add_u32_e32 v38, 0x6198, v5
	v_dot4c_i32_i8_e32 v45, v11, v134
	v_dot4c_i32_i8_e32 v140, v7, v134
	;; [unrolled: 1-line block ×4, first 2 shown]
	ds_read2_b32 v[38:39], v38 offset1:1
	v_dot4c_i32_i8_e32 v45, v20, v131
	v_dot4c_i32_i8_e32 v140, v14, v131
	v_dot4c_i32_i8_e32 v141, v18, v131
	s_waitcnt lgkmcnt(2)
	v_dot4c_i32_i8_e32 v142, v24, v131
	v_dot4c_i32_i8_e32 v45, v21, v135
	v_dot4c_i32_i8_e32 v140, v15, v135
	v_dot4c_i32_i8_e32 v141, v19, v135
	v_dot4c_i32_i8_e32 v142, v25, v135
	v_dot4c_i32_i8_e32 v45, v26, v132
	v_dot4c_i32_i8_e32 v140, v22, v132
	v_dot4c_i32_i8_e32 v141, v28, v132
	s_waitcnt lgkmcnt(1)
	v_dot4c_i32_i8_e32 v142, v34, v132
	v_dot4c_i32_i8_e32 v45, v27, v136
	v_dot4c_i32_i8_e32 v140, v23, v136
	v_dot4c_i32_i8_e32 v141, v29, v136
	v_dot4c_i32_i8_e32 v142, v35, v136
	;; [unrolled: 9-line block ×3, first 2 shown]
	ds_read_b128 v[130:133], v3 offset:1024
	ds_read_b128 v[134:137], v3 offset:1040
	v_mov_b32_e32 v138, 0
	v_pk_mul_f32 v[46:47], v[4:5], v[40:41] op_sel_hi:[0,1]
	s_add_i32 s0, s0, 4
	s_waitcnt lgkmcnt(1)
	v_dot4c_i32_i8_e32 v138, v10, v130
	s_waitcnt lgkmcnt(0)
	v_dot4c_i32_i8_e32 v138, v11, v134
	v_dot4c_i32_i8_e32 v138, v20, v131
	;; [unrolled: 1-line block ×7, first 2 shown]
	v_add_u32_e32 v44, 4, v44
	v_add_u32_e32 v43, 4, v43
	;; [unrolled: 1-line block ×3, first 2 shown]
	v_cvt_f32_i32_e32 v139, v138
	v_cvt_f32_i32_e32 v138, v45
	v_mov_b32_e32 v45, 0
	v_dot4c_i32_i8_e32 v45, v6, v130
	v_dot4c_i32_i8_e32 v45, v7, v134
	v_dot4c_i32_i8_e32 v45, v14, v131
	v_dot4c_i32_i8_e32 v45, v15, v135
	v_dot4c_i32_i8_e32 v45, v22, v132
	v_dot4c_i32_i8_e32 v45, v23, v136
	v_dot4c_i32_i8_e32 v45, v32, v133
	v_dot4c_i32_i8_e32 v45, v33, v137
	v_pk_fma_f32 v[98:99], v[46:47], v[138:139], v[98:99]
	v_cvt_f32_i32_e32 v138, v140
	v_pk_mul_f32 v[46:47], v[0:1], v[40:41] op_sel_hi:[0,1]
	v_cvt_f32_i32_e32 v139, v45
	v_mov_b32_e32 v45, 0
	v_dot4c_i32_i8_e32 v45, v8, v130
	v_dot4c_i32_i8_e32 v45, v9, v134
	v_dot4c_i32_i8_e32 v45, v18, v131
	v_dot4c_i32_i8_e32 v45, v19, v135
	v_dot4c_i32_i8_e32 v45, v28, v132
	v_dot4c_i32_i8_e32 v45, v29, v136
	v_dot4c_i32_i8_e32 v45, v36, v133
	v_dot4c_i32_i8_e32 v45, v37, v137
	v_pk_fma_f32 v[118:119], v[46:47], v[138:139], v[118:119]
	v_cvt_f32_i32_e32 v138, v141
	v_pk_mul_f32 v[46:47], v[2:3], v[40:41] op_sel_hi:[0,1]
	v_cvt_f32_i32_e32 v139, v45
	v_mov_b32_e32 v45, 0
	v_dot4c_i32_i8_e32 v45, v16, v130
	v_dot4c_i32_i8_e32 v45, v17, v134
	v_dot4c_i32_i8_e32 v45, v24, v131
	v_dot4c_i32_i8_e32 v45, v25, v135
	v_dot4c_i32_i8_e32 v45, v34, v132
	v_dot4c_i32_i8_e32 v45, v35, v136
	v_dot4c_i32_i8_e32 v45, v38, v133
	v_dot4c_i32_i8_e32 v45, v39, v137
	v_pk_fma_f32 v[124:125], v[46:47], v[138:139], v[124:125]
	v_cvt_f32_i32_e32 v46, v142
	v_pk_mul_f32 v[40:41], v[12:13], v[40:41] op_sel_hi:[0,1]
	v_cvt_f32_i32_e32 v47, v45
	v_mov_b32_e32 v45, 0
	v_mov_b32_e32 v140, 0
	v_mov_b32_e32 v141, 0
	v_pk_fma_f32 v[128:129], v[40:41], v[46:47], v[128:129]
	ds_read_b128 v[130:133], v3 offset:2048
	ds_read_b128 v[134:137], v3 offset:2064
	ds_read2_b32 v[40:41], v1 offset0:64 offset1:96
	v_mov_b32_e32 v142, 0
	v_mov_b32_e32 v138, 0
	s_waitcnt lgkmcnt(2)
	v_dot4c_i32_i8_e32 v45, v10, v130
	v_dot4c_i32_i8_e32 v140, v6, v130
	;; [unrolled: 1-line block ×4, first 2 shown]
	s_waitcnt lgkmcnt(1)
	v_dot4c_i32_i8_e32 v45, v11, v134
	v_dot4c_i32_i8_e32 v140, v7, v134
	;; [unrolled: 1-line block ×28, first 2 shown]
	ds_read_b128 v[130:133], v3 offset:3072
	ds_read_b128 v[134:137], v3 offset:3088
	s_waitcnt lgkmcnt(2)
	v_pk_mul_f32 v[46:47], v[4:5], v[40:41] op_sel_hi:[0,1]
	s_cmp_lt_u32 s0, 28
	s_waitcnt lgkmcnt(1)
	v_dot4c_i32_i8_e32 v138, v10, v130
	s_waitcnt lgkmcnt(0)
	v_dot4c_i32_i8_e32 v138, v11, v134
	v_dot4c_i32_i8_e32 v138, v20, v131
	;; [unrolled: 1-line block ×7, first 2 shown]
	s_nop 2
	v_cvt_f32_i32_e32 v139, v138
	v_cvt_f32_i32_e32 v138, v45
	v_mov_b32_e32 v45, 0
	v_dot4c_i32_i8_e32 v45, v6, v130
	v_dot4c_i32_i8_e32 v45, v7, v134
	v_dot4c_i32_i8_e32 v45, v14, v131
	v_dot4c_i32_i8_e32 v45, v15, v135
	v_dot4c_i32_i8_e32 v45, v22, v132
	v_dot4c_i32_i8_e32 v45, v23, v136
	v_dot4c_i32_i8_e32 v45, v32, v133
	v_dot4c_i32_i8_e32 v45, v33, v137
	v_pk_fma_f32 v[106:107], v[46:47], v[138:139], v[106:107]
	v_cvt_f32_i32_e32 v138, v140
	v_pk_mul_f32 v[46:47], v[0:1], v[40:41] op_sel_hi:[0,1]
	v_cvt_f32_i32_e32 v139, v45
	v_mov_b32_e32 v45, 0
	v_dot4c_i32_i8_e32 v45, v8, v130
	v_dot4c_i32_i8_e32 v45, v9, v134
	v_dot4c_i32_i8_e32 v45, v18, v131
	v_dot4c_i32_i8_e32 v45, v19, v135
	v_dot4c_i32_i8_e32 v45, v28, v132
	v_dot4c_i32_i8_e32 v45, v29, v136
	v_dot4c_i32_i8_e32 v45, v36, v133
	v_dot4c_i32_i8_e32 v45, v37, v137
	v_pk_fma_f32 v[112:113], v[46:47], v[138:139], v[112:113]
	v_cvt_f32_i32_e32 v138, v141
	v_pk_mul_f32 v[46:47], v[2:3], v[40:41] op_sel_hi:[0,1]
	;; [unrolled: 13-line block ×3, first 2 shown]
	v_cvt_f32_i32_e32 v47, v45
	v_mov_b32_e32 v45, 0
	v_mov_b32_e32 v140, 0
	;; [unrolled: 1-line block ×3, first 2 shown]
	v_pk_fma_f32 v[126:127], v[40:41], v[46:47], v[126:127]
	ds_read_b128 v[130:133], v3 offset:4096
	ds_read_b128 v[134:137], v3 offset:4112
	ds_read2_b32 v[40:41], v1 offset0:128 offset1:160
	v_mov_b32_e32 v142, 0
	v_mov_b32_e32 v138, 0
	s_waitcnt lgkmcnt(2)
	v_dot4c_i32_i8_e32 v45, v10, v130
	v_dot4c_i32_i8_e32 v140, v6, v130
	;; [unrolled: 1-line block ×4, first 2 shown]
	s_waitcnt lgkmcnt(1)
	v_dot4c_i32_i8_e32 v45, v11, v134
	v_dot4c_i32_i8_e32 v140, v7, v134
	;; [unrolled: 1-line block ×28, first 2 shown]
	ds_read_b128 v[130:133], v3 offset:5120
	ds_read_b128 v[134:137], v3 offset:5136
	s_waitcnt lgkmcnt(2)
	v_pk_mul_f32 v[46:47], v[4:5], v[40:41] op_sel_hi:[0,1]
	s_waitcnt lgkmcnt(1)
	v_dot4c_i32_i8_e32 v138, v10, v130
	s_waitcnt lgkmcnt(0)
	v_dot4c_i32_i8_e32 v138, v11, v134
	v_dot4c_i32_i8_e32 v138, v20, v131
	;; [unrolled: 1-line block ×7, first 2 shown]
	s_nop 2
	v_cvt_f32_i32_e32 v139, v138
	v_cvt_f32_i32_e32 v138, v45
	v_mov_b32_e32 v45, 0
	v_dot4c_i32_i8_e32 v45, v6, v130
	v_dot4c_i32_i8_e32 v45, v7, v134
	v_dot4c_i32_i8_e32 v45, v14, v131
	v_dot4c_i32_i8_e32 v45, v15, v135
	v_dot4c_i32_i8_e32 v45, v22, v132
	v_dot4c_i32_i8_e32 v45, v23, v136
	v_dot4c_i32_i8_e32 v45, v32, v133
	v_dot4c_i32_i8_e32 v45, v33, v137
	v_pk_fma_f32 v[102:103], v[46:47], v[138:139], v[102:103]
	v_cvt_f32_i32_e32 v138, v140
	v_pk_mul_f32 v[46:47], v[0:1], v[40:41] op_sel_hi:[0,1]
	v_cvt_f32_i32_e32 v139, v45
	v_mov_b32_e32 v45, 0
	v_dot4c_i32_i8_e32 v45, v8, v130
	v_dot4c_i32_i8_e32 v45, v9, v134
	v_dot4c_i32_i8_e32 v45, v18, v131
	v_dot4c_i32_i8_e32 v45, v19, v135
	v_dot4c_i32_i8_e32 v45, v28, v132
	v_dot4c_i32_i8_e32 v45, v29, v136
	v_dot4c_i32_i8_e32 v45, v36, v133
	v_dot4c_i32_i8_e32 v45, v37, v137
	v_pk_fma_f32 v[108:109], v[46:47], v[138:139], v[108:109]
	v_cvt_f32_i32_e32 v138, v141
	v_pk_mul_f32 v[46:47], v[2:3], v[40:41] op_sel_hi:[0,1]
	v_cvt_f32_i32_e32 v139, v45
	v_mov_b32_e32 v45, 0
	v_dot4c_i32_i8_e32 v45, v16, v130
	v_dot4c_i32_i8_e32 v45, v17, v134
	v_dot4c_i32_i8_e32 v45, v24, v131
	v_dot4c_i32_i8_e32 v45, v25, v135
	v_dot4c_i32_i8_e32 v45, v34, v132
	v_dot4c_i32_i8_e32 v45, v35, v136
	v_dot4c_i32_i8_e32 v45, v38, v133
	v_dot4c_i32_i8_e32 v45, v39, v137
	v_pk_fma_f32 v[114:115], v[46:47], v[138:139], v[114:115]
	v_cvt_f32_i32_e32 v46, v142
	v_pk_mul_f32 v[40:41], v[12:13], v[40:41] op_sel_hi:[0,1]
	v_cvt_f32_i32_e32 v47, v45
	v_mov_b32_e32 v45, 0
	v_mov_b32_e32 v138, 0
	;; [unrolled: 1-line block ×3, first 2 shown]
	v_pk_fma_f32 v[122:123], v[40:41], v[46:47], v[122:123]
	ds_read_b128 v[130:133], v3 offset:6144
	ds_read_b128 v[134:137], v3 offset:6160
	ds_read2_b32 v[40:41], v1 offset0:192 offset1:224
	v_mov_b32_e32 v46, 0
	v_mov_b32_e32 v47, 0
	s_waitcnt lgkmcnt(2)
	v_dot4c_i32_i8_e32 v45, v10, v130
	v_dot4c_i32_i8_e32 v46, v6, v130
	;; [unrolled: 1-line block ×4, first 2 shown]
	s_waitcnt lgkmcnt(1)
	v_dot4c_i32_i8_e32 v45, v11, v134
	v_dot4c_i32_i8_e32 v46, v7, v134
	v_dot4c_i32_i8_e32 v47, v9, v134
	v_dot4c_i32_i8_e32 v138, v17, v134
	v_dot4c_i32_i8_e32 v45, v20, v131
	v_dot4c_i32_i8_e32 v46, v14, v131
	v_dot4c_i32_i8_e32 v47, v18, v131
	v_dot4c_i32_i8_e32 v138, v24, v131
	v_dot4c_i32_i8_e32 v45, v21, v135
	v_dot4c_i32_i8_e32 v46, v15, v135
	v_dot4c_i32_i8_e32 v47, v19, v135
	v_dot4c_i32_i8_e32 v138, v25, v135
	v_dot4c_i32_i8_e32 v45, v26, v132
	v_dot4c_i32_i8_e32 v46, v22, v132
	v_dot4c_i32_i8_e32 v47, v28, v132
	v_dot4c_i32_i8_e32 v138, v34, v132
	v_dot4c_i32_i8_e32 v45, v27, v136
	v_dot4c_i32_i8_e32 v46, v23, v136
	v_dot4c_i32_i8_e32 v47, v29, v136
	v_dot4c_i32_i8_e32 v138, v35, v136
	v_dot4c_i32_i8_e32 v45, v30, v133
	v_dot4c_i32_i8_e32 v46, v32, v133
	v_dot4c_i32_i8_e32 v47, v36, v133
	v_dot4c_i32_i8_e32 v138, v38, v133
	v_dot4c_i32_i8_e32 v45, v31, v137
	v_dot4c_i32_i8_e32 v46, v33, v137
	v_dot4c_i32_i8_e32 v47, v37, v137
	v_dot4c_i32_i8_e32 v138, v39, v137
	ds_read_b128 v[130:133], v3 offset:7168
	ds_read_b128 v[134:137], v3 offset:7184
	s_waitcnt lgkmcnt(1)
	v_dot4c_i32_i8_e32 v139, v10, v130
	s_waitcnt lgkmcnt(0)
	v_dot4c_i32_i8_e32 v139, v11, v134
	v_pk_mul_f32 v[10:11], v[4:5], v[40:41] op_sel_hi:[0,1]
	v_mov_b32_e32 v4, 0
	v_dot4c_i32_i8_e32 v4, v6, v130
	v_dot4c_i32_i8_e32 v4, v7, v134
	v_pk_mul_f32 v[6:7], v[0:1], v[40:41] op_sel_hi:[0,1]
	v_mov_b32_e32 v0, 0
	v_dot4c_i32_i8_e32 v0, v8, v130
	v_dot4c_i32_i8_e32 v0, v9, v134
	v_dot4c_i32_i8_e32 v139, v20, v131
	v_dot4c_i32_i8_e32 v0, v18, v131
	v_dot4c_i32_i8_e32 v139, v21, v135
	v_dot4c_i32_i8_e32 v0, v19, v135
	v_dot4c_i32_i8_e32 v139, v26, v132
	v_dot4c_i32_i8_e32 v0, v28, v132
	v_dot4c_i32_i8_e32 v139, v27, v136
	v_dot4c_i32_i8_e32 v0, v29, v136
	v_dot4c_i32_i8_e32 v139, v30, v133
	v_dot4c_i32_i8_e32 v4, v14, v131
	v_dot4c_i32_i8_e32 v0, v36, v133
	v_dot4c_i32_i8_e32 v139, v31, v137
	v_dot4c_i32_i8_e32 v4, v15, v135
	v_dot4c_i32_i8_e32 v0, v37, v137
	v_cvt_f32_i32_e32 v20, v45
	v_cvt_f32_i32_e32 v21, v139
	v_dot4c_i32_i8_e32 v4, v22, v132
	v_cvt_f32_i32_e32 v9, v0
	v_mov_b32_e32 v0, 0
	v_dot4c_i32_i8_e32 v4, v23, v136
	v_dot4c_i32_i8_e32 v0, v16, v130
	;; [unrolled: 1-line block ×6, first 2 shown]
	v_pk_fma_f32 v[100:101], v[10:11], v[20:21], v[100:101]
	v_cvt_f32_i32_e32 v10, v46
	v_cvt_f32_i32_e32 v11, v4
	v_dot4c_i32_i8_e32 v0, v25, v135
	v_cvt_f32_i32_e32 v8, v47
	v_dot4c_i32_i8_e32 v0, v34, v132
	v_dot4c_i32_i8_e32 v0, v35, v136
	;; [unrolled: 1-line block ×3, first 2 shown]
	v_pk_fma_f32 v[104:105], v[6:7], v[10:11], v[104:105]
	v_pk_mul_f32 v[6:7], v[2:3], v[40:41] op_sel_hi:[0,1]
	v_dot4c_i32_i8_e32 v0, v39, v137
	v_pk_fma_f32 v[110:111], v[6:7], v[8:9], v[110:111]
	v_cvt_f32_i32_e32 v8, v138
	v_pk_mul_f32 v[6:7], v[12:13], v[40:41] op_sel_hi:[0,1]
	v_cvt_f32_i32_e32 v9, v0
	v_add_u32_e32 v13, 4, v13
	v_add_u32_e32 v5, 32, v5
	;; [unrolled: 1-line block ×3, first 2 shown]
	v_pk_fma_f32 v[116:117], v[6:7], v[8:9], v[116:117]
	v_add_u32_e32 v1, 4, v1
	s_cbranch_scc1 .LBB141_12
; %bb.13:                               ;   in Loop: Header=BB141_7 Depth=1
	s_barrier
	s_branch .LBB141_6
.LBB141_14:
	v_cvt_pk_f16_f32 v20, v98, v99
	v_cvt_pk_f16_f32 v19, v118, v119
	;; [unrolled: 1-line block ×16, first 2 shown]
	v_mov_b32_e32 v4, v53
	v_cmp_gt_u32_e32 vcc, s8, v55
	s_and_saveexec_b64 s[0:1], vcc
	s_cbranch_execz .LBB141_3
.LBB141_15:
	v_add_u32_e32 v5, s4, v49
	v_mul_lo_u32 v21, v55, s10
	v_cmp_gt_u32_e32 vcc, s10, v5
	s_and_saveexec_b64 s[0:1], vcc
	s_cbranch_execz .LBB141_17
; %bb.16:
	v_add_u32_e32 v6, v5, v21
	v_mov_b32_e32 v7, 0
	s_waitcnt lgkmcnt(0)
	v_lshl_add_u64 v[6:7], v[6:7], 1, s[12:13]
	global_store_short v[6:7], v20, off
.LBB141_17:
	s_or_b64 exec, exec, s[0:1]
	v_add_u32_e32 v6, 32, v5
	v_cmp_gt_u32_e64 s[0:1], s10, v6
	s_and_saveexec_b64 s[2:3], s[0:1]
	s_cbranch_execz .LBB141_19
; %bb.18:
	v_add_u32_e32 v22, v6, v21
	v_mov_b32_e32 v23, 0
	s_waitcnt lgkmcnt(0)
	v_lshl_add_u64 v[22:23], v[22:23], 1, s[12:13]
	global_store_short v[22:23], v19, off
.LBB141_19:
	s_or_b64 exec, exec, s[2:3]
	v_add_u32_e32 v7, 64, v5
	v_cmp_gt_u32_e64 s[2:3], s10, v7
	s_and_saveexec_b64 s[4:5], s[2:3]
	;; [unrolled: 12-line block ×3, first 2 shown]
	s_cbranch_execz .LBB141_23
; %bb.22:
	v_add_u32_e32 v22, v8, v21
	v_mov_b32_e32 v23, 0
	s_waitcnt lgkmcnt(0)
	v_lshl_add_u64 v[22:23], v[22:23], 1, s[12:13]
	global_store_short v[22:23], v17, off
.LBB141_23:
	s_or_b64 exec, exec, s[6:7]
	v_add3_u32 v21, v4, s11, 8
	v_cmp_gt_u32_e64 s[6:7], s8, v21
	s_and_b64 exec, exec, s[6:7]
	s_cbranch_execz .LBB141_3
; %bb.24:
	v_mul_lo_u32 v21, v21, s10
	s_and_saveexec_b64 s[6:7], vcc
	s_cbranch_execnz .LBB141_64
; %bb.25:
	s_or_b64 exec, exec, s[6:7]
	s_and_saveexec_b64 s[6:7], s[0:1]
	s_cbranch_execnz .LBB141_65
.LBB141_26:
	s_or_b64 exec, exec, s[6:7]
	s_and_saveexec_b64 s[6:7], s[2:3]
	s_cbranch_execnz .LBB141_66
.LBB141_27:
	s_or_b64 exec, exec, s[6:7]
	s_and_saveexec_b64 s[6:7], s[4:5]
	s_cbranch_execz .LBB141_29
.LBB141_28:
	v_add_u32_e32 v18, v21, v8
	v_mov_b32_e32 v19, 0
	s_waitcnt lgkmcnt(0)
	v_lshl_add_u64 v[18:19], v[18:19], 1, s[12:13]
	global_store_short_d16_hi v[18:19], v17, off
.LBB141_29:
	s_or_b64 exec, exec, s[6:7]
	v_add3_u32 v17, v4, s11, 16
	v_cmp_gt_u32_e64 s[6:7], s8, v17
	s_and_b64 exec, exec, s[6:7]
	s_cbranch_execz .LBB141_3
; %bb.30:
	v_mul_lo_u32 v17, v17, s10
	s_and_saveexec_b64 s[6:7], vcc
	s_cbranch_execnz .LBB141_67
; %bb.31:
	s_or_b64 exec, exec, s[6:7]
	s_and_saveexec_b64 s[6:7], s[0:1]
	s_cbranch_execnz .LBB141_68
.LBB141_32:
	s_or_b64 exec, exec, s[6:7]
	s_and_saveexec_b64 s[6:7], s[2:3]
	s_cbranch_execnz .LBB141_69
.LBB141_33:
	s_or_b64 exec, exec, s[6:7]
	s_and_saveexec_b64 s[6:7], s[4:5]
	s_cbranch_execz .LBB141_35
.LBB141_34:
	v_add_u32_e32 v18, v17, v8
	v_mov_b32_e32 v19, 0
	s_waitcnt lgkmcnt(0)
	v_lshl_add_u64 v[18:19], v[18:19], 1, s[12:13]
	global_store_short v[18:19], v13, off
.LBB141_35:
	s_or_b64 exec, exec, s[6:7]
	v_add3_u32 v17, v4, s11, 24
	v_cmp_gt_u32_e64 s[6:7], s8, v17
	s_and_b64 exec, exec, s[6:7]
	s_cbranch_execz .LBB141_3
; %bb.36:
	v_mul_lo_u32 v17, v17, s10
	s_and_saveexec_b64 s[6:7], vcc
	s_cbranch_execnz .LBB141_70
; %bb.37:
	s_or_b64 exec, exec, s[6:7]
	s_and_saveexec_b64 s[6:7], s[0:1]
	s_cbranch_execnz .LBB141_71
.LBB141_38:
	s_or_b64 exec, exec, s[6:7]
	s_and_saveexec_b64 s[6:7], s[2:3]
	s_cbranch_execnz .LBB141_72
.LBB141_39:
	s_or_b64 exec, exec, s[6:7]
	s_and_saveexec_b64 s[6:7], s[4:5]
	s_cbranch_execz .LBB141_41
.LBB141_40:
	v_add_u32_e32 v14, v17, v8
	v_mov_b32_e32 v15, 0
	s_waitcnt lgkmcnt(0)
	v_lshl_add_u64 v[14:15], v[14:15], 1, s[12:13]
	global_store_short_d16_hi v[14:15], v13, off
.LBB141_41:
	s_or_b64 exec, exec, s[6:7]
	v_add3_u32 v13, v4, s11, 32
	v_cmp_gt_u32_e64 s[6:7], s8, v13
	s_and_b64 exec, exec, s[6:7]
	s_cbranch_execz .LBB141_3
; %bb.42:
	v_mul_lo_u32 v13, v13, s10
	s_and_saveexec_b64 s[6:7], vcc
	s_cbranch_execnz .LBB141_73
; %bb.43:
	s_or_b64 exec, exec, s[6:7]
	s_and_saveexec_b64 s[6:7], s[0:1]
	s_cbranch_execnz .LBB141_74
.LBB141_44:
	s_or_b64 exec, exec, s[6:7]
	s_and_saveexec_b64 s[6:7], s[2:3]
	s_cbranch_execnz .LBB141_75
.LBB141_45:
	s_or_b64 exec, exec, s[6:7]
	s_and_saveexec_b64 s[6:7], s[4:5]
	s_cbranch_execz .LBB141_47
.LBB141_46:
	v_add_u32_e32 v14, v13, v8
	v_mov_b32_e32 v15, 0
	s_waitcnt lgkmcnt(0)
	v_lshl_add_u64 v[14:15], v[14:15], 1, s[12:13]
	global_store_short v[14:15], v9, off
.LBB141_47:
	s_or_b64 exec, exec, s[6:7]
	v_add3_u32 v13, v4, s11, 40
	v_cmp_gt_u32_e64 s[6:7], s8, v13
	s_and_b64 exec, exec, s[6:7]
	s_cbranch_execz .LBB141_3
; %bb.48:
	v_mul_lo_u32 v13, v13, s10
	s_and_saveexec_b64 s[6:7], vcc
	s_cbranch_execnz .LBB141_76
; %bb.49:
	s_or_b64 exec, exec, s[6:7]
	s_and_saveexec_b64 s[6:7], s[0:1]
	s_cbranch_execnz .LBB141_77
.LBB141_50:
	s_or_b64 exec, exec, s[6:7]
	s_and_saveexec_b64 s[6:7], s[2:3]
	s_cbranch_execnz .LBB141_78
.LBB141_51:
	s_or_b64 exec, exec, s[6:7]
	s_and_saveexec_b64 s[6:7], s[4:5]
	s_cbranch_execz .LBB141_53
.LBB141_52:
	v_add_u32_e32 v10, v13, v8
	v_mov_b32_e32 v11, 0
	s_waitcnt lgkmcnt(0)
	v_lshl_add_u64 v[10:11], v[10:11], 1, s[12:13]
	global_store_short_d16_hi v[10:11], v9, off
.LBB141_53:
	s_or_b64 exec, exec, s[6:7]
	v_add3_u32 v9, v4, s11, 48
	v_cmp_gt_u32_e64 s[6:7], s8, v9
	s_and_b64 exec, exec, s[6:7]
	s_cbranch_execz .LBB141_3
; %bb.54:
	v_mul_lo_u32 v9, v9, s10
	s_and_saveexec_b64 s[6:7], vcc
	s_cbranch_execnz .LBB141_79
; %bb.55:
	s_or_b64 exec, exec, s[6:7]
	s_and_saveexec_b64 s[6:7], s[0:1]
	s_cbranch_execnz .LBB141_80
.LBB141_56:
	s_or_b64 exec, exec, s[6:7]
	s_and_saveexec_b64 s[6:7], s[2:3]
	s_cbranch_execnz .LBB141_81
.LBB141_57:
	s_or_b64 exec, exec, s[6:7]
	s_and_saveexec_b64 s[6:7], s[4:5]
	s_cbranch_execz .LBB141_59
.LBB141_58:
	v_add_u32_e32 v10, v9, v8
	v_mov_b32_e32 v11, 0
	s_waitcnt lgkmcnt(0)
	v_lshl_add_u64 v[10:11], v[10:11], 1, s[12:13]
	global_store_short v[10:11], v0, off
.LBB141_59:
	s_or_b64 exec, exec, s[6:7]
	v_add3_u32 v4, v4, s11, 56
	v_cmp_gt_u32_e64 s[6:7], s8, v4
	s_and_b64 exec, exec, s[6:7]
	s_cbranch_execz .LBB141_3
; %bb.60:
	v_mul_lo_u32 v4, v4, s10
	s_and_saveexec_b64 s[6:7], vcc
	s_cbranch_execnz .LBB141_82
; %bb.61:
	s_or_b64 exec, exec, s[6:7]
	s_and_saveexec_b64 s[6:7], s[0:1]
	s_cbranch_execnz .LBB141_83
.LBB141_62:
	s_or_b64 exec, exec, s[6:7]
	s_and_saveexec_b64 s[0:1], s[2:3]
	s_cbranch_execnz .LBB141_84
.LBB141_63:
	s_or_b64 exec, exec, s[0:1]
	s_and_b64 exec, exec, s[4:5]
	s_cbranch_execz .LBB141_3
	s_branch .LBB141_85
.LBB141_64:
	v_add_u32_e32 v22, v21, v5
	v_mov_b32_e32 v23, 0
	s_waitcnt lgkmcnt(0)
	v_lshl_add_u64 v[22:23], v[22:23], 1, s[12:13]
	global_store_short_d16_hi v[22:23], v20, off
	s_or_b64 exec, exec, s[6:7]
	s_and_saveexec_b64 s[6:7], s[0:1]
	s_cbranch_execz .LBB141_26
.LBB141_65:
	v_add_u32_e32 v22, v21, v6
	v_mov_b32_e32 v23, 0
	s_waitcnt lgkmcnt(0)
	v_lshl_add_u64 v[22:23], v[22:23], 1, s[12:13]
	global_store_short_d16_hi v[22:23], v19, off
	s_or_b64 exec, exec, s[6:7]
	s_and_saveexec_b64 s[6:7], s[2:3]
	s_cbranch_execz .LBB141_27
.LBB141_66:
	v_add_u32_e32 v22, v21, v7
	v_mov_b32_e32 v23, 0
	s_waitcnt lgkmcnt(0)
	v_lshl_add_u64 v[22:23], v[22:23], 1, s[12:13]
	global_store_short_d16_hi v[22:23], v18, off
	s_or_b64 exec, exec, s[6:7]
	s_and_saveexec_b64 s[6:7], s[4:5]
	s_cbranch_execnz .LBB141_28
	s_branch .LBB141_29
.LBB141_67:
	v_add_u32_e32 v18, v17, v5
	v_mov_b32_e32 v19, 0
	s_waitcnt lgkmcnt(0)
	v_lshl_add_u64 v[18:19], v[18:19], 1, s[12:13]
	global_store_short v[18:19], v16, off
	s_or_b64 exec, exec, s[6:7]
	s_and_saveexec_b64 s[6:7], s[0:1]
	s_cbranch_execz .LBB141_32
.LBB141_68:
	v_add_u32_e32 v18, v17, v6
	v_mov_b32_e32 v19, 0
	s_waitcnt lgkmcnt(0)
	v_lshl_add_u64 v[18:19], v[18:19], 1, s[12:13]
	global_store_short v[18:19], v15, off
	s_or_b64 exec, exec, s[6:7]
	s_and_saveexec_b64 s[6:7], s[2:3]
	s_cbranch_execz .LBB141_33
.LBB141_69:
	v_add_u32_e32 v18, v17, v7
	v_mov_b32_e32 v19, 0
	s_waitcnt lgkmcnt(0)
	v_lshl_add_u64 v[18:19], v[18:19], 1, s[12:13]
	global_store_short v[18:19], v14, off
	s_or_b64 exec, exec, s[6:7]
	s_and_saveexec_b64 s[6:7], s[4:5]
	s_cbranch_execnz .LBB141_34
	s_branch .LBB141_35
.LBB141_70:
	v_add_u32_e32 v18, v17, v5
	v_mov_b32_e32 v19, 0
	s_waitcnt lgkmcnt(0)
	v_lshl_add_u64 v[18:19], v[18:19], 1, s[12:13]
	global_store_short_d16_hi v[18:19], v16, off
	s_or_b64 exec, exec, s[6:7]
	s_and_saveexec_b64 s[6:7], s[0:1]
	s_cbranch_execz .LBB141_38
.LBB141_71:
	v_add_u32_e32 v18, v17, v6
	v_mov_b32_e32 v19, 0
	s_waitcnt lgkmcnt(0)
	v_lshl_add_u64 v[18:19], v[18:19], 1, s[12:13]
	global_store_short_d16_hi v[18:19], v15, off
	s_or_b64 exec, exec, s[6:7]
	s_and_saveexec_b64 s[6:7], s[2:3]
	s_cbranch_execz .LBB141_39
.LBB141_72:
	v_add_u32_e32 v18, v17, v7
	v_mov_b32_e32 v19, 0
	s_waitcnt lgkmcnt(0)
	v_lshl_add_u64 v[18:19], v[18:19], 1, s[12:13]
	global_store_short_d16_hi v[18:19], v14, off
	s_or_b64 exec, exec, s[6:7]
	s_and_saveexec_b64 s[6:7], s[4:5]
	s_cbranch_execnz .LBB141_40
	s_branch .LBB141_41
.LBB141_73:
	v_add_u32_e32 v14, v13, v5
	v_mov_b32_e32 v15, 0
	s_waitcnt lgkmcnt(0)
	v_lshl_add_u64 v[14:15], v[14:15], 1, s[12:13]
	global_store_short v[14:15], v12, off
	s_or_b64 exec, exec, s[6:7]
	s_and_saveexec_b64 s[6:7], s[0:1]
	s_cbranch_execz .LBB141_44
.LBB141_74:
	v_add_u32_e32 v14, v13, v6
	v_mov_b32_e32 v15, 0
	s_waitcnt lgkmcnt(0)
	v_lshl_add_u64 v[14:15], v[14:15], 1, s[12:13]
	global_store_short v[14:15], v11, off
	s_or_b64 exec, exec, s[6:7]
	s_and_saveexec_b64 s[6:7], s[2:3]
	s_cbranch_execz .LBB141_45
.LBB141_75:
	v_add_u32_e32 v14, v13, v7
	v_mov_b32_e32 v15, 0
	s_waitcnt lgkmcnt(0)
	v_lshl_add_u64 v[14:15], v[14:15], 1, s[12:13]
	global_store_short v[14:15], v10, off
	s_or_b64 exec, exec, s[6:7]
	s_and_saveexec_b64 s[6:7], s[4:5]
	s_cbranch_execnz .LBB141_46
	s_branch .LBB141_47
.LBB141_76:
	v_add_u32_e32 v14, v13, v5
	v_mov_b32_e32 v15, 0
	s_waitcnt lgkmcnt(0)
	v_lshl_add_u64 v[14:15], v[14:15], 1, s[12:13]
	global_store_short_d16_hi v[14:15], v12, off
	s_or_b64 exec, exec, s[6:7]
	s_and_saveexec_b64 s[6:7], s[0:1]
	s_cbranch_execz .LBB141_50
.LBB141_77:
	v_add_u32_e32 v14, v13, v6
	v_mov_b32_e32 v15, 0
	s_waitcnt lgkmcnt(0)
	v_lshl_add_u64 v[14:15], v[14:15], 1, s[12:13]
	global_store_short_d16_hi v[14:15], v11, off
	s_or_b64 exec, exec, s[6:7]
	s_and_saveexec_b64 s[6:7], s[2:3]
	s_cbranch_execz .LBB141_51
.LBB141_78:
	v_add_u32_e32 v14, v13, v7
	v_mov_b32_e32 v15, 0
	s_waitcnt lgkmcnt(0)
	v_lshl_add_u64 v[14:15], v[14:15], 1, s[12:13]
	global_store_short_d16_hi v[14:15], v10, off
	s_or_b64 exec, exec, s[6:7]
	s_and_saveexec_b64 s[6:7], s[4:5]
	s_cbranch_execnz .LBB141_52
	s_branch .LBB141_53
.LBB141_79:
	v_add_u32_e32 v10, v9, v5
	v_mov_b32_e32 v11, 0
	s_waitcnt lgkmcnt(0)
	v_lshl_add_u64 v[10:11], v[10:11], 1, s[12:13]
	global_store_short v[10:11], v3, off
	s_or_b64 exec, exec, s[6:7]
	s_and_saveexec_b64 s[6:7], s[0:1]
	s_cbranch_execz .LBB141_56
.LBB141_80:
	v_add_u32_e32 v10, v9, v6
	v_mov_b32_e32 v11, 0
	s_waitcnt lgkmcnt(0)
	v_lshl_add_u64 v[10:11], v[10:11], 1, s[12:13]
	global_store_short v[10:11], v2, off
	s_or_b64 exec, exec, s[6:7]
	s_and_saveexec_b64 s[6:7], s[2:3]
	s_cbranch_execz .LBB141_57
.LBB141_81:
	v_add_u32_e32 v10, v9, v7
	v_mov_b32_e32 v11, 0
	s_waitcnt lgkmcnt(0)
	v_lshl_add_u64 v[10:11], v[10:11], 1, s[12:13]
	global_store_short v[10:11], v1, off
	s_or_b64 exec, exec, s[6:7]
	s_and_saveexec_b64 s[6:7], s[4:5]
	s_cbranch_execnz .LBB141_58
	s_branch .LBB141_59
.LBB141_82:
	v_add_u32_e32 v10, v4, v5
	v_mov_b32_e32 v11, 0
	s_waitcnt lgkmcnt(0)
	v_lshl_add_u64 v[10:11], v[10:11], 1, s[12:13]
	global_store_short_d16_hi v[10:11], v3, off
	s_or_b64 exec, exec, s[6:7]
	s_and_saveexec_b64 s[6:7], s[0:1]
	s_cbranch_execz .LBB141_62
.LBB141_83:
	v_add_u32_e32 v10, v4, v6
	v_mov_b32_e32 v11, 0
	s_waitcnt lgkmcnt(0)
	v_lshl_add_u64 v[10:11], v[10:11], 1, s[12:13]
	global_store_short_d16_hi v[10:11], v2, off
	s_or_b64 exec, exec, s[6:7]
	s_and_saveexec_b64 s[0:1], s[2:3]
	s_cbranch_execz .LBB141_63
.LBB141_84:
	v_add_u32_e32 v2, v4, v7
	v_mov_b32_e32 v3, 0
	s_waitcnt lgkmcnt(0)
	v_lshl_add_u64 v[2:3], v[2:3], 1, s[12:13]
	global_store_short_d16_hi v[2:3], v1, off
	s_or_b64 exec, exec, s[0:1]
	s_and_b64 exec, exec, s[4:5]
	s_cbranch_execz .LBB141_3
.LBB141_85:
	v_add_u32_e32 v2, v4, v8
	v_mov_b32_e32 v3, 0
	s_waitcnt lgkmcnt(0)
	v_lshl_add_u64 v[2:3], v[2:3], 1, s[12:13]
	global_store_short_d16_hi v[2:3], v0, off
	s_endpgm
	.section	.rodata,"a",@progbits
	.p2align	6, 0x0
	.amdhsa_kernel _ZL12mul_mat_q5_0IN3c104HalfELb0EEvPKvS3_PT_iiiii
		.amdhsa_group_segment_fixed_size 46720
		.amdhsa_private_segment_fixed_size 0
		.amdhsa_kernarg_size 44
		.amdhsa_user_sgpr_count 2
		.amdhsa_user_sgpr_dispatch_ptr 0
		.amdhsa_user_sgpr_queue_ptr 0
		.amdhsa_user_sgpr_kernarg_segment_ptr 1
		.amdhsa_user_sgpr_dispatch_id 0
		.amdhsa_user_sgpr_kernarg_preload_length 0
		.amdhsa_user_sgpr_kernarg_preload_offset 0
		.amdhsa_user_sgpr_private_segment_size 0
		.amdhsa_uses_dynamic_stack 0
		.amdhsa_enable_private_segment 0
		.amdhsa_system_sgpr_workgroup_id_x 1
		.amdhsa_system_sgpr_workgroup_id_y 1
		.amdhsa_system_sgpr_workgroup_id_z 0
		.amdhsa_system_sgpr_workgroup_info 0
		.amdhsa_system_vgpr_workitem_id 1
		.amdhsa_next_free_vgpr 247
		.amdhsa_next_free_sgpr 96
		.amdhsa_accum_offset 248
		.amdhsa_reserve_vcc 1
		.amdhsa_float_round_mode_32 0
		.amdhsa_float_round_mode_16_64 0
		.amdhsa_float_denorm_mode_32 3
		.amdhsa_float_denorm_mode_16_64 3
		.amdhsa_dx10_clamp 1
		.amdhsa_ieee_mode 1
		.amdhsa_fp16_overflow 0
		.amdhsa_tg_split 0
		.amdhsa_exception_fp_ieee_invalid_op 0
		.amdhsa_exception_fp_denorm_src 0
		.amdhsa_exception_fp_ieee_div_zero 0
		.amdhsa_exception_fp_ieee_overflow 0
		.amdhsa_exception_fp_ieee_underflow 0
		.amdhsa_exception_fp_ieee_inexact 0
		.amdhsa_exception_int_div_zero 0
	.end_amdhsa_kernel
	.section	.text._ZL12mul_mat_q5_0IN3c104HalfELb0EEvPKvS3_PT_iiiii,"axG",@progbits,_ZL12mul_mat_q5_0IN3c104HalfELb0EEvPKvS3_PT_iiiii,comdat
.Lfunc_end141:
	.size	_ZL12mul_mat_q5_0IN3c104HalfELb0EEvPKvS3_PT_iiiii, .Lfunc_end141-_ZL12mul_mat_q5_0IN3c104HalfELb0EEvPKvS3_PT_iiiii
                                        ; -- End function
	.set _ZL12mul_mat_q5_0IN3c104HalfELb0EEvPKvS3_PT_iiiii.num_vgpr, 247
	.set _ZL12mul_mat_q5_0IN3c104HalfELb0EEvPKvS3_PT_iiiii.num_agpr, 0
	.set _ZL12mul_mat_q5_0IN3c104HalfELb0EEvPKvS3_PT_iiiii.numbered_sgpr, 20
	.set _ZL12mul_mat_q5_0IN3c104HalfELb0EEvPKvS3_PT_iiiii.num_named_barrier, 0
	.set _ZL12mul_mat_q5_0IN3c104HalfELb0EEvPKvS3_PT_iiiii.private_seg_size, 0
	.set _ZL12mul_mat_q5_0IN3c104HalfELb0EEvPKvS3_PT_iiiii.uses_vcc, 1
	.set _ZL12mul_mat_q5_0IN3c104HalfELb0EEvPKvS3_PT_iiiii.uses_flat_scratch, 0
	.set _ZL12mul_mat_q5_0IN3c104HalfELb0EEvPKvS3_PT_iiiii.has_dyn_sized_stack, 0
	.set _ZL12mul_mat_q5_0IN3c104HalfELb0EEvPKvS3_PT_iiiii.has_recursion, 0
	.set _ZL12mul_mat_q5_0IN3c104HalfELb0EEvPKvS3_PT_iiiii.has_indirect_call, 0
	.section	.AMDGPU.csdata,"",@progbits
; Kernel info:
; codeLenInByte = 14028
; TotalNumSgprs: 26
; NumVgprs: 247
; NumAgprs: 0
; TotalNumVgprs: 247
; ScratchSize: 0
; MemoryBound: 0
; FloatMode: 240
; IeeeMode: 1
; LDSByteSize: 46720 bytes/workgroup (compile time only)
; SGPRBlocks: 12
; VGPRBlocks: 30
; NumSGPRsForWavesPerEU: 102
; NumVGPRsForWavesPerEU: 247
; AccumOffset: 248
; Occupancy: 2
; WaveLimiterHint : 0
; COMPUTE_PGM_RSRC2:SCRATCH_EN: 0
; COMPUTE_PGM_RSRC2:USER_SGPR: 2
; COMPUTE_PGM_RSRC2:TRAP_HANDLER: 0
; COMPUTE_PGM_RSRC2:TGID_X_EN: 1
; COMPUTE_PGM_RSRC2:TGID_Y_EN: 1
; COMPUTE_PGM_RSRC2:TGID_Z_EN: 0
; COMPUTE_PGM_RSRC2:TIDIG_COMP_CNT: 1
; COMPUTE_PGM_RSRC3_GFX90A:ACCUM_OFFSET: 61
; COMPUTE_PGM_RSRC3_GFX90A:TG_SPLIT: 0
	.section	.text._ZL12mul_mat_q5_0IN3c104HalfELb1EEvPKvS3_PT_iiiii,"axG",@progbits,_ZL12mul_mat_q5_0IN3c104HalfELb1EEvPKvS3_PT_iiiii,comdat
	.globl	_ZL12mul_mat_q5_0IN3c104HalfELb1EEvPKvS3_PT_iiiii ; -- Begin function _ZL12mul_mat_q5_0IN3c104HalfELb1EEvPKvS3_PT_iiiii
	.p2align	8
	.type	_ZL12mul_mat_q5_0IN3c104HalfELb1EEvPKvS3_PT_iiiii,@function
_ZL12mul_mat_q5_0IN3c104HalfELb1EEvPKvS3_PT_iiiii: ; @_ZL12mul_mat_q5_0IN3c104HalfELb1EEvPKvS3_PT_iiiii
; %bb.0:
	s_load_dwordx4 s[8:11], s[0:1], 0x18
	s_load_dword s14, s[0:1], 0x28
	s_lshl_b32 s15, s3, 6
	v_bfe_u32 v53, v0, 10, 10
	s_waitcnt lgkmcnt(0)
	s_cmp_gt_i32 s8, 31
	s_cbranch_scc1 .LBB142_4
; %bb.1:
	v_bfe_u32 v4, v0, 10, 10
	v_and_b32_e32 v49, 0x3ff, v0
	v_add_u32_e32 v55, s15, v4
	s_load_dwordx2 s[12:13], s[0:1], 0x10
	s_lshl_b32 s4, s2, 7
	s_cbranch_execz .LBB142_5
; %bb.2:
	v_mov_b32_e32 v0, 0
	v_mov_b32_e32 v9, 0
	;; [unrolled: 1-line block ×16, first 2 shown]
	v_cmp_gt_u32_e32 vcc, s10, v55
	s_and_saveexec_b64 s[0:1], vcc
	s_cbranch_execnz .LBB142_15
.LBB142_3:
	s_endpgm
.LBB142_4:
                                        ; implicit-def: $vgpr4
                                        ; implicit-def: $vgpr49
                                        ; implicit-def: $vgpr55
	s_load_dwordx2 s[12:13], s[0:1], 0x10
	s_lshl_b32 s4, s2, 7
.LBB142_5:
	s_ashr_i32 s5, s8, 31
	s_load_dwordx4 s[0:3], s[0:1], 0x0
	s_lshr_b32 s5, s5, 27
	s_ashr_i32 s6, s11, 31
	s_add_i32 s5, s8, s5
	s_lshr_b32 s6, s6, 27
	s_ashr_i32 s5, s5, 5
	s_add_i32 s6, s11, s6
	s_ashr_i32 s11, s6, 5
	s_mul_i32 s6, s5, s4
	s_mul_hi_i32 s7, s6, 22
	s_mul_i32 s6, s6, 22
	s_waitcnt lgkmcnt(0)
	s_add_u32 s6, s0, s6
	s_addc_u32 s7, s1, s7
	s_not_b32 s0, s4
	s_add_i32 s1, s9, s0
	v_and_b32_e32 v49, 0x3ff, v0
	v_min_i32_e32 v1, s1, v53
	v_lshlrev_b32_e32 v4, 3, v49
	s_movk_i32 s0, 0x104
	v_mul_lo_u32 v52, v1, s5
	v_mad_u64_u32 v[54:55], s[8:9], v1, s0, v[4:5]
	v_add_u32_e32 v1, 8, v53
	v_min_i32_e32 v3, s1, v1
	v_add_u32_e32 v8, 16, v53
	v_mul_lo_u32 v56, v3, s5
	v_mad_u64_u32 v[58:59], s[8:9], v3, s0, v[4:5]
	v_min_i32_e32 v3, s1, v8
	v_add_u32_e32 v9, 24, v53
	v_mul_lo_u32 v60, v3, s5
	v_mad_u64_u32 v[62:63], s[8:9], v3, s0, v[4:5]
	;; [unrolled: 4-line block ×6, first 2 shown]
	v_min_i32_e32 v3, s1, v13
	v_mul_lo_u32 v80, v3, s5
	v_mad_u64_u32 v[82:83], s[8:9], v3, s0, v[4:5]
	v_add_u32_e32 v3, 64, v53
	v_min_i32_e32 v3, s1, v3
	v_mul_lo_u32 v84, v3, s5
	v_mad_u64_u32 v[86:87], s[8:9], v3, s0, v[4:5]
	v_add_u32_e32 v3, 0x48, v53
	;; [unrolled: 4-line block ×8, first 2 shown]
	v_min_i32_e32 v3, s1, v3
	v_bfe_u32 v57, v0, 3, 7
	v_mul_lo_u32 v112, v3, s5
	v_mad_u64_u32 v[114:115], s[8:9], v3, s0, v[4:5]
	v_lshl_add_u32 v3, v53, 2, v57
	v_min_i32_e32 v4, s1, v3
	v_ashrrev_i32_e32 v5, 31, v4
	v_lshrrev_b32_e32 v5, 30, v5
	v_and_b32_e32 v116, 7, v0
	v_mul_lo_u32 v118, v4, s5
	v_add_u32_e32 v5, v4, v5
	v_lshlrev_b32_e32 v15, 5, v4
	v_add_u32_e32 v4, 32, v3
	v_and_b32_e32 v5, -4, v5
	v_lshlrev_b32_e32 v6, 2, v116
	s_mov_b32 s8, 0xa200
	v_min_i32_e32 v4, s1, v4
	v_add3_u32 v14, v5, v6, s8
	v_ashrrev_i32_e32 v5, 31, v4
	v_lshrrev_b32_e32 v5, 30, v5
	v_mul_lo_u32 v120, v4, s5
	v_add_u32_e32 v5, v4, v5
	v_lshlrev_b32_e32 v17, 5, v4
	v_add_u32_e32 v4, 64, v3
	v_and_b32_e32 v5, -4, v5
	v_min_i32_e32 v4, s1, v4
	v_add3_u32 v16, v5, v6, s8
	v_ashrrev_i32_e32 v5, 31, v4
	v_add_u32_e32 v3, 0x60, v3
	v_lshrrev_b32_e32 v5, 30, v5
	v_min_i32_e32 v3, s1, v3
	v_mul_lo_u32 v122, v4, s5
	v_add_u32_e32 v5, v4, v5
	v_lshlrev_b32_e32 v19, 5, v4
	v_ashrrev_i32_e32 v4, 31, v3
	v_lshrrev_b32_e32 v4, 30, v4
	v_bfe_u32 v48, v0, 2, 8
	v_mul_lo_u32 v124, v3, s5
	v_add_u32_e32 v4, v3, v4
	v_lshlrev_b32_e32 v21, 5, v3
	v_and_b32_e32 v3, 31, v0
	v_mov_b32_e32 v22, 0x8200
	v_lshl_or_b32 v59, v3, 2, v22
	v_lshl_add_u32 v3, v53, 3, v48
	v_and_b32_e32 v3, 63, v3
	v_and_b32_e32 v2, 3, v0
	s_add_i32 s1, s10, -1
	v_or_b32_e32 v22, s15, v3
	v_lshlrev_b32_e32 v50, 2, v2
	v_and_b32_e32 v5, -4, v5
	v_and_b32_e32 v4, -4, v4
	v_min_i32_e32 v22, s1, v22
	v_add3_u32 v18, v5, v6, s8
	v_add3_u32 v20, v4, v6, s8
	v_add_u32_e32 v55, s15, v53
	v_mad_u64_u32 v[126:127], s[8:9], v22, s11, v[2:3]
	v_lshl_or_b32 v2, v3, 4, v50
	v_cvt_f64_i32_e32 v[4:5], s1
	v_add_u32_e32 v61, 0xb280, v2
	v_cvt_f64_u32_e32 v[2:3], v55
	v_min_f64 v[2:3], v[2:3], v[4:5]
	v_cvt_i32_f64_e32 v2, v[2:3]
	v_mul_lo_u32 v63, s11, v2
	v_add_u32_e32 v2, 8, v55
	v_cvt_f64_u32_e32 v[2:3], v2
	v_min_f64 v[2:3], v[2:3], v[4:5]
	v_cvt_i32_f64_e32 v2, v[2:3]
	v_mul_lo_u32 v67, s11, v2
	;; [unrolled: 5-line block ×7, first 2 shown]
	v_add_u32_e32 v2, 56, v55
	v_mov_b32_e32 v51, 0
	v_lshlrev_b32_e32 v6, 2, v49
	v_cvt_f64_u32_e32 v[2:3], v2
	v_and_b32_e32 v6, 28, v6
	v_mov_b32_e32 v7, v51
	v_min_f64 v[2:3], v[2:3], v[4:5]
	v_cvt_i32_f64_e32 v2, v[2:3]
	v_add_u32_e32 v3, 32, v49
	v_add_u32_e32 v4, 64, v49
	;; [unrolled: 1-line block ×3, first 2 shown]
	v_lshl_add_u64 v[128:129], s[2:3], 0, v[6:7]
	v_lshlrev_b32_e32 v6, 5, v49
	v_and_b32_e32 v0, 0xfc, v0
	v_lshrrev_b32_e32 v83, 3, v3
	v_and_b32_e32 v5, 0x1fc, v5
	v_and_b32_e32 v4, 0x1fc, v4
	;; [unrolled: 1-line block ×3, first 2 shown]
	v_add_u32_e32 v0, v6, v0
	v_lshlrev_b32_e32 v65, 7, v53
	v_lshlrev_b32_e32 v1, 7, v1
	;; [unrolled: 1-line block ×7, first 2 shown]
	v_mul_lo_u32 v79, s11, v2
	v_lshlrev_b32_e32 v2, 7, v13
	v_add_u32_e32 v5, v6, v5
	v_add_u32_e32 v4, v6, v4
	v_add_u32_e32 v3, v6, v3
	v_add_u32_e32 v91, 0xa200, v0
	v_mov_b32_e32 v6, 0xb280
	v_add_u32_e32 v103, 0xa210, v0
	v_mov_b32_e32 v0, 0x80
	v_mov_b32_e32 v130, v51
	;; [unrolled: 1-line block ×3, first 2 shown]
	s_add_i32 s8, s5, 3
	v_mul_u32_u24_e32 v81, 0x104, v49
	v_add_u32_e32 v85, 0xae00, v5
	v_add_u32_e32 v87, 0xaa00, v4
	;; [unrolled: 1-line block ×3, first 2 shown]
	v_lshl_add_u32 v93, v53, 4, v6
	v_add_u32_e32 v95, 0x8200, v65
	v_add_u32_e32 v97, 0xae10, v5
	;; [unrolled: 1-line block ×4, first 2 shown]
	v_mad_u32_u24 v105, v49, s0, v0
	s_mov_b32 s9, 0
	s_movk_i32 s11, 0x1f00
	s_mov_b32 s16, 0xc0c0105
	v_add_u32_e32 v107, v14, v15
	v_add_u32_e32 v109, v16, v17
	;; [unrolled: 1-line block ×4, first 2 shown]
	v_mov_b32_e32 v115, 8
	v_add_u32_e32 v117, v59, v1
	v_add_u32_e32 v119, v59, v8
	v_add_u32_e32 v121, v59, v9
	v_add_u32_e32 v123, v59, v10
	v_add_u32_e32 v125, v59, v11
	v_add_u32_e32 v127, v59, v12
	v_add_u32_e32 v179, v59, v2
	v_mov_b64_e32 v[138:139], v[130:131]
	v_mov_b64_e32 v[134:135], v[130:131]
	;; [unrolled: 1-line block ×15, first 2 shown]
	s_branch .LBB142_7
.LBB142_6:                              ;   in Loop: Header=BB142_7 Depth=1
	s_add_i32 s9, s9, 8
	s_add_i32 s8, s8, -8
	s_cmp_ge_i32 s9, s5
	s_cbranch_scc1 .LBB142_14
.LBB142_7:                              ; =>This Loop Header: Depth=1
                                        ;     Child Loop BB142_9 Depth 2
                                        ;     Child Loop BB142_12 Depth 2
	s_mul_i32 s0, s9, 22
	s_mul_hi_u32 s1, s9, 22
	s_add_u32 s0, s6, s0
	s_addc_u32 s1, s7, s1
	v_mad_u64_u32 v[0:1], s[18:19], v48, 22, s[0:1]
	v_mad_i64_i32 v[2:3], s[18:19], v52, 22, v[0:1]
	v_mad_i64_i32 v[10:11], s[18:19], v64, 22, v[0:1]
	v_lshl_add_u64 v[4:5], v[2:3], 0, v[50:51]
	v_mad_i64_i32 v[6:7], s[18:19], v56, 22, v[0:1]
	v_mad_i64_i32 v[8:9], s[18:19], v60, 22, v[0:1]
	global_load_dword v18, v[10:11], off offset:2
	global_load_dword v12, v[8:9], off offset:2
	;; [unrolled: 1-line block ×5, first 2 shown]
	v_lshl_add_u64 v[2:3], v[6:7], 0, v[50:51]
	global_load_dword v6, v[2:3], off offset:6
	v_lshl_add_u64 v[2:3], v[8:9], 0, v[50:51]
	v_lshl_add_u64 v[4:5], v[10:11], 0, v[50:51]
	global_load_dword v19, v[2:3], off offset:6
	global_load_dword v20, v[4:5], off offset:6
	s_cmp_gt_u32 s8, 3
	s_waitcnt vmcnt(5)
	v_ashrrev_i32_e32 v5, v50, v13
	s_waitcnt vmcnt(4)
	v_ashrrev_i32_e32 v2, v50, v14
	s_waitcnt vmcnt(3)
	v_lshrrev_b32_e32 v4, 4, v15
	v_lshlrev_b32_e32 v8, 4, v2
	v_lshlrev_b32_e32 v9, 11, v2
	;; [unrolled: 1-line block ×4, first 2 shown]
	v_lshrrev_b32_e32 v13, 12, v2
	v_lshrrev_b32_e32 v14, 5, v2
	v_and_b32_e32 v3, 0xf0f0f0f, v15
	v_and_b32_e32 v4, 0xf0f0f0f, v4
	;; [unrolled: 1-line block ×8, first 2 shown]
	v_lshlrev_b32_e32 v15, 2, v2
	v_lshlrev_b32_e32 v2, 9, v2
	v_or3_b32 v8, v8, v3, v9
	v_or3_b32 v3, v3, v10, v11
	;; [unrolled: 1-line block ×3, first 2 shown]
	v_and_b32_e32 v15, 0x100000, v15
	v_and_b32_e32 v2, 0x10000000, v2
	v_and_b32_e32 v10, 0x1f00, v8
	v_lshlrev_b16_e32 v8, 8, v8
	v_and_b32_sdwa v11, v3, s11 dst_sel:DWORD dst_unused:UNUSED_PAD src0_sel:WORD_1 src1_sel:DWORD
	v_lshlrev_b16_sdwa v3, v115, v3 dst_sel:DWORD dst_unused:UNUSED_PAD src0_sel:DWORD src1_sel:WORD_1
	v_lshlrev_b16_e32 v14, 8, v9
	v_or3_b32 v2, v4, v15, v2
	v_add_u16_e32 v10, 0xf000, v10
	v_add_u16_e32 v8, 0xf000, v8
	;; [unrolled: 1-line block ×5, first 2 shown]
	v_and_b32_sdwa v13, v2, s11 dst_sel:DWORD dst_unused:UNUSED_PAD src0_sel:WORD_1 src1_sel:DWORD
	v_lshlrev_b16_sdwa v2, v115, v2 dst_sel:DWORD dst_unused:UNUSED_PAD src0_sel:DWORD src1_sel:WORD_1
	v_perm_b32 v8, v8, v10, s16
	v_perm_b32 v3, v3, v11, s16
	v_lshrrev_b16_e32 v10, 8, v14
	v_add_u16_e32 v13, 0xf000, v13
	v_add_u16_e32 v2, 0xf000, v2
	v_lshl_or_b32 v3, v3, 16, v8
	v_bitop3_b16 v8, v9, v10, s11 bitop3:0xec
	v_perm_b32 v2, v2, v13, s16
	v_add_u16_e32 v8, 0xf000, v8
	s_waitcnt vmcnt(2)
	v_and_b32_e32 v7, 0xf0f0f0f, v6
	v_lshrrev_b32_e32 v6, 4, v6
	v_lshl_or_b32 v2, v2, 16, v8
	ds_write2_b32 v54, v3, v2 offset1:1
	v_and_b32_e32 v2, 0xf0f0f0f, v6
	v_lshrrev_b32_e32 v3, 12, v5
	v_lshrrev_b32_e32 v6, 5, v5
	v_lshlrev_b32_e32 v16, 4, v5
	v_lshlrev_b32_e32 v17, 11, v5
	v_and_b32_e32 v3, 16, v3
	v_and_b32_e32 v6, 0x1000, v6
	v_lshlrev_b32_e32 v21, 18, v5
	v_lshlrev_b32_e32 v22, 25, v5
	v_and_b32_e32 v16, 16, v16
	v_and_b32_e32 v17, 0x1000, v17
	v_or3_b32 v3, v3, v2, v6
	v_lshlrev_b32_e32 v6, 2, v5
	v_lshlrev_b32_e32 v5, 9, v5
	v_or3_b32 v4, v16, v7, v17
	v_and_b32_e32 v6, 0x100000, v6
	v_and_b32_e32 v5, 0x10000000, v5
	;; [unrolled: 1-line block ×4, first 2 shown]
	v_lshlrev_b16_e32 v16, 8, v4
	v_or3_b32 v2, v2, v6, v5
	v_and_b32_e32 v5, 0x1f00, v3
	v_lshlrev_b16_e32 v3, 8, v3
	v_or3_b32 v7, v7, v21, v22
	v_add_u16_e32 v16, 0xf000, v16
	v_add_u16_e32 v5, 0xf000, v5
	;; [unrolled: 1-line block ×3, first 2 shown]
	v_and_b32_sdwa v15, v7, s11 dst_sel:DWORD dst_unused:UNUSED_PAD src0_sel:WORD_1 src1_sel:DWORD
	v_lshlrev_b16_sdwa v7, v115, v7 dst_sel:DWORD dst_unused:UNUSED_PAD src0_sel:DWORD src1_sel:WORD_1
	v_lshrrev_b16_e32 v11, 8, v16
	v_perm_b32 v3, v3, v5, s16
	v_and_b32_sdwa v5, v2, s11 dst_sel:DWORD dst_unused:UNUSED_PAD src0_sel:WORD_1 src1_sel:DWORD
	v_lshlrev_b16_sdwa v2, v115, v2 dst_sel:DWORD dst_unused:UNUSED_PAD src0_sel:DWORD src1_sel:WORD_1
	v_add_u16_e32 v15, 0xf000, v15
	v_add_u16_e32 v7, 0xf000, v7
	v_bitop3_b16 v4, v4, v11, s11 bitop3:0xec
	v_add_u16_e32 v5, 0xf000, v5
	v_add_u16_e32 v2, 0xf000, v2
	v_perm_b32 v7, v7, v15, s16
	v_add_u16_e32 v4, 0xf000, v4
	v_perm_b32 v2, v2, v5, s16
	v_lshl_or_b32 v4, v7, 16, v4
	v_lshl_or_b32 v2, v2, 16, v3
	v_ashrrev_i32_e32 v21, v50, v12
	ds_write2_b32 v58, v4, v2 offset1:1
	v_lshlrev_b32_e32 v3, 4, v21
	v_lshlrev_b32_e32 v4, 11, v21
	s_waitcnt vmcnt(1)
	v_and_b32_e32 v2, 0xf0f0f0f, v19
	v_and_b32_e32 v3, 16, v3
	;; [unrolled: 1-line block ×3, first 2 shown]
	v_or3_b32 v22, v3, v2, v4
	v_lshlrev_b32_e32 v3, 18, v21
	v_lshlrev_b32_e32 v4, 25, v21
	v_and_b32_e32 v3, 0x100000, v3
	v_and_b32_e32 v4, 0x10000000, v4
	v_or3_b32 v2, v2, v3, v4
	v_and_b32_sdwa v3, v2, s11 dst_sel:DWORD dst_unused:UNUSED_PAD src0_sel:WORD_1 src1_sel:DWORD
	v_add_u16_e32 v23, 0xf000, v3
	v_lshlrev_b16_sdwa v24, v115, v2 dst_sel:DWORD dst_unused:UNUSED_PAD src0_sel:DWORD src1_sel:WORD_1
	v_mad_i64_i32 v[2:3], s[18:19], v68, 22, v[0:1]
	v_mad_i64_i32 v[6:7], s[18:19], v72, 22, v[0:1]
	v_lshl_add_u64 v[4:5], v[2:3], 0, v[50:51]
	v_lshl_add_u64 v[8:9], v[6:7], 0, v[50:51]
	v_mad_i64_i32 v[10:11], s[18:19], v76, 22, v[0:1]
	v_mad_i64_i32 v[14:15], s[18:19], v80, 22, v[0:1]
	v_lshl_add_u64 v[12:13], v[10:11], 0, v[50:51]
	v_lshl_add_u64 v[16:17], v[14:15], 0, v[50:51]
	global_load_dword v4, v[4:5], off offset:6
	s_nop 0
	global_load_dword v5, v[8:9], off offset:6
	global_load_dword v25, v[12:13], off offset:6
	;; [unrolled: 1-line block ×4, first 2 shown]
	s_nop 0
	global_load_dword v8, v[10:11], off offset:2
	s_nop 0
	global_load_dword v6, v[6:7], off offset:2
	;; [unrolled: 2-line block ×3, first 2 shown]
	v_lshlrev_b16_e32 v7, 8, v22
	v_add_u16_e32 v7, 0xf000, v7
	v_lshrrev_b16_e32 v7, 8, v7
	v_add_u16_e32 v3, 0xf000, v24
	v_bitop3_b16 v7, v22, v7, s11 bitop3:0xec
	v_perm_b32 v3, v3, v23, s16
	v_add_u16_e32 v7, 0xf000, v7
	v_lshl_or_b32 v3, v3, 16, v7
	v_lshrrev_b32_e32 v7, 4, v19
	v_lshrrev_b32_e32 v9, 12, v21
	;; [unrolled: 1-line block ×3, first 2 shown]
	v_and_b32_e32 v7, 0xf0f0f0f, v7
	v_and_b32_e32 v9, 16, v9
	;; [unrolled: 1-line block ×3, first 2 shown]
	v_or3_b32 v9, v9, v7, v10
	v_lshlrev_b32_e32 v10, 2, v21
	v_lshlrev_b32_e32 v11, 9, v21
	v_and_b32_e32 v10, 0x100000, v10
	v_and_b32_e32 v11, 0x10000000, v11
	v_or3_b32 v7, v7, v10, v11
	v_and_b32_e32 v10, 0x1f00, v9
	v_lshlrev_b16_e32 v9, 8, v9
	v_add_u16_e32 v10, 0xf000, v10
	v_add_u16_e32 v9, 0xf000, v9
	v_perm_b32 v9, v9, v10, s16
	v_and_b32_sdwa v10, v7, s11 dst_sel:DWORD dst_unused:UNUSED_PAD src0_sel:WORD_1 src1_sel:DWORD
	v_lshlrev_b16_sdwa v7, v115, v7 dst_sel:DWORD dst_unused:UNUSED_PAD src0_sel:DWORD src1_sel:WORD_1
	v_add_u16_e32 v10, 0xf000, v10
	v_add_u16_e32 v7, 0xf000, v7
	v_perm_b32 v7, v7, v10, s16
	v_lshl_or_b32 v7, v7, 16, v9
	ds_write2_b32 v62, v3, v7 offset1:1
	v_ashrrev_i32_e32 v3, v50, v18
	v_lshlrev_b32_e32 v9, 4, v3
	v_lshlrev_b32_e32 v10, 11, v3
	s_waitcnt vmcnt(8)
	v_and_b32_e32 v7, 0xf0f0f0f, v20
	v_and_b32_e32 v9, 16, v9
	;; [unrolled: 1-line block ×3, first 2 shown]
	v_or3_b32 v9, v9, v7, v10
	v_lshlrev_b32_e32 v10, 18, v3
	v_lshlrev_b32_e32 v11, 25, v3
	v_and_b32_e32 v10, 0x100000, v10
	v_and_b32_e32 v11, 0x10000000, v11
	v_or3_b32 v7, v7, v10, v11
	v_and_b32_sdwa v10, v7, s11 dst_sel:DWORD dst_unused:UNUSED_PAD src0_sel:WORD_1 src1_sel:DWORD
	v_lshlrev_b16_sdwa v7, v115, v7 dst_sel:DWORD dst_unused:UNUSED_PAD src0_sel:DWORD src1_sel:WORD_1
	v_add_u16_e32 v10, 0xf000, v10
	v_add_u16_e32 v7, 0xf000, v7
	v_perm_b32 v7, v7, v10, s16
	v_lshlrev_b16_e32 v10, 8, v9
	v_add_u16_e32 v10, 0xf000, v10
	v_lshrrev_b16_e32 v10, 8, v10
	v_bitop3_b16 v9, v9, v10, s11 bitop3:0xec
	v_add_u16_e32 v9, 0xf000, v9
	v_lshl_or_b32 v7, v7, 16, v9
	v_lshrrev_b32_e32 v9, 4, v20
	v_lshrrev_b32_e32 v10, 12, v3
	;; [unrolled: 1-line block ×3, first 2 shown]
	v_and_b32_e32 v9, 0xf0f0f0f, v9
	v_and_b32_e32 v10, 16, v10
	v_and_b32_e32 v11, 0x1000, v11
	v_or3_b32 v10, v10, v9, v11
	v_lshlrev_b32_e32 v11, 2, v3
	v_lshlrev_b32_e32 v3, 9, v3
	v_and_b32_e32 v11, 0x100000, v11
	v_and_b32_e32 v3, 0x10000000, v3
	v_or3_b32 v3, v9, v11, v3
	v_and_b32_e32 v9, 0x1f00, v10
	v_lshlrev_b16_e32 v10, 8, v10
	v_add_u16_e32 v9, 0xf000, v9
	v_add_u16_e32 v10, 0xf000, v10
	v_perm_b32 v9, v10, v9, s16
	v_and_b32_sdwa v10, v3, s11 dst_sel:DWORD dst_unused:UNUSED_PAD src0_sel:WORD_1 src1_sel:DWORD
	v_lshlrev_b16_sdwa v3, v115, v3 dst_sel:DWORD dst_unused:UNUSED_PAD src0_sel:DWORD src1_sel:WORD_1
	v_add_u16_e32 v10, 0xf000, v10
	v_add_u16_e32 v3, 0xf000, v3
	v_perm_b32 v3, v3, v10, s16
	v_lshl_or_b32 v3, v3, 16, v9
	ds_write2_b32 v66, v7, v3 offset1:1
	s_waitcnt vmcnt(0)
	v_ashrrev_i32_e32 v2, v50, v2
	v_lshlrev_b32_e32 v7, 4, v2
	v_lshlrev_b32_e32 v9, 11, v2
	v_and_b32_e32 v3, 0xf0f0f0f, v4
	v_and_b32_e32 v7, 16, v7
	;; [unrolled: 1-line block ×3, first 2 shown]
	v_or3_b32 v7, v7, v3, v9
	v_lshlrev_b32_e32 v9, 18, v2
	v_lshlrev_b32_e32 v10, 25, v2
	v_and_b32_e32 v9, 0x100000, v9
	v_and_b32_e32 v10, 0x10000000, v10
	v_or3_b32 v3, v3, v9, v10
	v_and_b32_sdwa v9, v3, s11 dst_sel:DWORD dst_unused:UNUSED_PAD src0_sel:WORD_1 src1_sel:DWORD
	v_lshlrev_b16_sdwa v3, v115, v3 dst_sel:DWORD dst_unused:UNUSED_PAD src0_sel:DWORD src1_sel:WORD_1
	v_add_u16_e32 v9, 0xf000, v9
	v_add_u16_e32 v3, 0xf000, v3
	v_perm_b32 v3, v3, v9, s16
	v_lshlrev_b16_e32 v9, 8, v7
	v_add_u16_e32 v9, 0xf000, v9
	v_lshrrev_b16_e32 v9, 8, v9
	v_bitop3_b16 v7, v7, v9, s11 bitop3:0xec
	v_add_u16_e32 v7, 0xf000, v7
	v_lshl_or_b32 v3, v3, 16, v7
	v_lshrrev_b32_e32 v4, 4, v4
	v_lshrrev_b32_e32 v7, 12, v2
	;; [unrolled: 1-line block ×3, first 2 shown]
	v_and_b32_e32 v4, 0xf0f0f0f, v4
	v_and_b32_e32 v7, 16, v7
	;; [unrolled: 1-line block ×3, first 2 shown]
	v_or3_b32 v7, v7, v4, v9
	v_lshlrev_b32_e32 v9, 2, v2
	v_lshlrev_b32_e32 v2, 9, v2
	v_and_b32_e32 v9, 0x100000, v9
	v_and_b32_e32 v2, 0x10000000, v2
	v_or3_b32 v2, v4, v9, v2
	v_and_b32_e32 v4, 0x1f00, v7
	v_lshlrev_b16_e32 v7, 8, v7
	v_add_u16_e32 v4, 0xf000, v4
	v_add_u16_e32 v7, 0xf000, v7
	v_perm_b32 v4, v7, v4, s16
	v_and_b32_sdwa v7, v2, s11 dst_sel:DWORD dst_unused:UNUSED_PAD src0_sel:WORD_1 src1_sel:DWORD
	v_lshlrev_b16_sdwa v2, v115, v2 dst_sel:DWORD dst_unused:UNUSED_PAD src0_sel:DWORD src1_sel:WORD_1
	v_add_u16_e32 v7, 0xf000, v7
	v_add_u16_e32 v2, 0xf000, v2
	v_perm_b32 v2, v2, v7, s16
	v_lshl_or_b32 v2, v2, 16, v4
	ds_write2_b32 v70, v3, v2 offset1:1
	v_ashrrev_i32_e32 v2, v50, v6
	v_lshlrev_b32_e32 v4, 4, v2
	v_lshlrev_b32_e32 v6, 11, v2
	v_and_b32_e32 v3, 0xf0f0f0f, v5
	v_and_b32_e32 v4, 16, v4
	;; [unrolled: 1-line block ×3, first 2 shown]
	v_or3_b32 v4, v4, v3, v6
	v_lshlrev_b32_e32 v6, 18, v2
	v_lshlrev_b32_e32 v7, 25, v2
	v_and_b32_e32 v6, 0x100000, v6
	v_and_b32_e32 v7, 0x10000000, v7
	v_or3_b32 v3, v3, v6, v7
	v_and_b32_e32 v6, 0x1f00, v4
	v_lshlrev_b16_e32 v4, 8, v4
	v_add_u16_e32 v6, 0xf000, v6
	v_add_u16_e32 v4, 0xf000, v4
	v_perm_b32 v4, v4, v6, s16
	v_and_b32_sdwa v6, v3, s11 dst_sel:DWORD dst_unused:UNUSED_PAD src0_sel:WORD_1 src1_sel:DWORD
	v_lshlrev_b16_sdwa v3, v115, v3 dst_sel:DWORD dst_unused:UNUSED_PAD src0_sel:DWORD src1_sel:WORD_1
	v_add_u16_e32 v6, 0xf000, v6
	v_add_u16_e32 v3, 0xf000, v3
	v_perm_b32 v3, v3, v6, s16
	v_lshl_or_b32 v3, v3, 16, v4
	v_lshrrev_b32_e32 v4, 4, v5
	v_lshrrev_b32_e32 v5, 12, v2
	;; [unrolled: 1-line block ×3, first 2 shown]
	v_and_b32_e32 v4, 0xf0f0f0f, v4
	v_and_b32_e32 v5, 16, v5
	;; [unrolled: 1-line block ×3, first 2 shown]
	v_or3_b32 v5, v5, v4, v6
	v_lshlrev_b32_e32 v6, 2, v2
	v_lshlrev_b32_e32 v2, 9, v2
	v_and_b32_e32 v6, 0x100000, v6
	v_and_b32_e32 v2, 0x10000000, v2
	v_or3_b32 v2, v4, v6, v2
	v_and_b32_sdwa v4, v2, s11 dst_sel:DWORD dst_unused:UNUSED_PAD src0_sel:WORD_1 src1_sel:DWORD
	v_lshlrev_b16_sdwa v2, v115, v2 dst_sel:DWORD dst_unused:UNUSED_PAD src0_sel:DWORD src1_sel:WORD_1
	v_add_u16_e32 v4, 0xf000, v4
	v_add_u16_e32 v2, 0xf000, v2
	v_perm_b32 v2, v2, v4, s16
	v_lshlrev_b16_e32 v4, 8, v5
	v_add_u16_e32 v4, 0xf000, v4
	v_lshrrev_b16_e32 v4, 8, v4
	v_bitop3_b16 v4, v5, v4, s11 bitop3:0xec
	v_add_u16_e32 v4, 0xf000, v4
	v_lshl_or_b32 v2, v2, 16, v4
	v_ashrrev_i32_e32 v18, v50, v8
	ds_write2_b32 v74, v3, v2 offset1:1
	v_lshlrev_b32_e32 v3, 4, v18
	v_lshlrev_b32_e32 v4, 11, v18
	v_and_b32_e32 v2, 0xf0f0f0f, v25
	v_and_b32_e32 v3, 16, v3
	;; [unrolled: 1-line block ×3, first 2 shown]
	v_or3_b32 v3, v3, v2, v4
	v_lshlrev_b32_e32 v4, 18, v18
	v_lshlrev_b32_e32 v5, 25, v18
	v_and_b32_e32 v4, 0x100000, v4
	v_and_b32_e32 v5, 0x10000000, v5
	v_or3_b32 v19, v2, v4, v5
	v_and_b32_e32 v2, 0x1f00, v3
	v_add_u16_e32 v20, 0xf000, v2
	v_lshlrev_b16_e32 v21, 8, v3
	v_mad_i64_i32 v[2:3], s[18:19], v84, 22, v[0:1]
	v_mad_i64_i32 v[6:7], s[18:19], v88, 22, v[0:1]
	;; [unrolled: 1-line block ×3, first 2 shown]
	v_lshl_add_u64 v[4:5], v[2:3], 0, v[50:51]
	v_lshl_add_u64 v[8:9], v[6:7], 0, v[50:51]
	v_mad_i64_i32 v[10:11], s[18:19], v92, 22, v[0:1]
	v_lshl_add_u64 v[16:17], v[14:15], 0, v[50:51]
	v_lshl_add_u64 v[12:13], v[10:11], 0, v[50:51]
	global_load_dword v4, v[4:5], off offset:6
	s_nop 0
	global_load_dword v5, v[8:9], off offset:6
	global_load_dword v22, v[12:13], off offset:6
	s_nop 0
	global_load_dword v16, v[16:17], off offset:6
	s_nop 0
	global_load_dword v17, v[14:15], off offset:2
	global_load_dword v8, v[10:11], off offset:2
	s_nop 0
	global_load_dword v6, v[6:7], off offset:2
	s_nop 0
	global_load_dword v2, v[2:3], off offset:2
	v_and_b32_sdwa v7, v19, s11 dst_sel:DWORD dst_unused:UNUSED_PAD src0_sel:WORD_1 src1_sel:DWORD
	v_lshlrev_b16_sdwa v9, v115, v19 dst_sel:DWORD dst_unused:UNUSED_PAD src0_sel:DWORD src1_sel:WORD_1
	v_add_u16_e32 v3, 0xf000, v21
	v_add_u16_e32 v7, 0xf000, v7
	;; [unrolled: 1-line block ×3, first 2 shown]
	v_perm_b32 v3, v3, v20, s16
	v_perm_b32 v7, v9, v7, s16
	v_lshl_or_b32 v3, v7, 16, v3
	v_lshrrev_b32_e32 v7, 4, v25
	v_lshrrev_b32_e32 v9, 12, v18
	;; [unrolled: 1-line block ×3, first 2 shown]
	v_and_b32_e32 v7, 0xf0f0f0f, v7
	v_and_b32_e32 v9, 16, v9
	;; [unrolled: 1-line block ×3, first 2 shown]
	v_or3_b32 v9, v9, v7, v10
	v_lshlrev_b32_e32 v10, 2, v18
	v_lshlrev_b32_e32 v11, 9, v18
	v_and_b32_e32 v10, 0x100000, v10
	v_and_b32_e32 v11, 0x10000000, v11
	v_or3_b32 v7, v7, v10, v11
	v_and_b32_sdwa v10, v7, s11 dst_sel:DWORD dst_unused:UNUSED_PAD src0_sel:WORD_1 src1_sel:DWORD
	v_lshlrev_b16_sdwa v7, v115, v7 dst_sel:DWORD dst_unused:UNUSED_PAD src0_sel:DWORD src1_sel:WORD_1
	v_add_u16_e32 v10, 0xf000, v10
	v_add_u16_e32 v7, 0xf000, v7
	v_perm_b32 v7, v7, v10, s16
	v_lshlrev_b16_e32 v10, 8, v9
	v_add_u16_e32 v10, 0xf000, v10
	v_lshrrev_b16_e32 v10, 8, v10
	v_bitop3_b16 v9, v9, v10, s11 bitop3:0xec
	v_add_u16_e32 v9, 0xf000, v9
	v_lshl_or_b32 v7, v7, 16, v9
	ds_write2_b32 v78, v3, v7 offset1:1
	v_ashrrev_i32_e32 v3, v50, v27
	v_lshlrev_b32_e32 v9, 4, v3
	v_lshlrev_b32_e32 v10, 11, v3
	v_and_b32_e32 v7, 0xf0f0f0f, v26
	v_and_b32_e32 v9, 16, v9
	;; [unrolled: 1-line block ×3, first 2 shown]
	v_or3_b32 v9, v9, v7, v10
	v_lshlrev_b32_e32 v10, 18, v3
	v_lshlrev_b32_e32 v11, 25, v3
	v_and_b32_e32 v10, 0x100000, v10
	v_and_b32_e32 v11, 0x10000000, v11
	v_or3_b32 v7, v7, v10, v11
	v_and_b32_e32 v10, 0x1f00, v9
	v_lshlrev_b16_e32 v9, 8, v9
	v_add_u16_e32 v10, 0xf000, v10
	v_add_u16_e32 v9, 0xf000, v9
	v_perm_b32 v9, v9, v10, s16
	v_and_b32_sdwa v10, v7, s11 dst_sel:DWORD dst_unused:UNUSED_PAD src0_sel:WORD_1 src1_sel:DWORD
	v_lshlrev_b16_sdwa v7, v115, v7 dst_sel:DWORD dst_unused:UNUSED_PAD src0_sel:DWORD src1_sel:WORD_1
	v_add_u16_e32 v10, 0xf000, v10
	v_add_u16_e32 v7, 0xf000, v7
	v_perm_b32 v7, v7, v10, s16
	v_lshl_or_b32 v7, v7, 16, v9
	v_lshrrev_b32_e32 v9, 4, v26
	v_lshrrev_b32_e32 v10, 12, v3
	;; [unrolled: 1-line block ×3, first 2 shown]
	v_and_b32_e32 v9, 0xf0f0f0f, v9
	v_and_b32_e32 v10, 16, v10
	;; [unrolled: 1-line block ×3, first 2 shown]
	v_or3_b32 v10, v10, v9, v11
	v_lshlrev_b32_e32 v11, 2, v3
	v_lshlrev_b32_e32 v3, 9, v3
	v_and_b32_e32 v11, 0x100000, v11
	v_and_b32_e32 v3, 0x10000000, v3
	v_or3_b32 v3, v9, v11, v3
	v_and_b32_sdwa v9, v3, s11 dst_sel:DWORD dst_unused:UNUSED_PAD src0_sel:WORD_1 src1_sel:DWORD
	v_lshlrev_b16_sdwa v3, v115, v3 dst_sel:DWORD dst_unused:UNUSED_PAD src0_sel:DWORD src1_sel:WORD_1
	v_add_u16_e32 v9, 0xf000, v9
	v_add_u16_e32 v3, 0xf000, v3
	v_perm_b32 v3, v3, v9, s16
	v_lshlrev_b16_e32 v9, 8, v10
	v_add_u16_e32 v9, 0xf000, v9
	v_lshrrev_b16_e32 v9, 8, v9
	v_bitop3_b16 v9, v10, v9, s11 bitop3:0xec
	v_add_u16_e32 v9, 0xf000, v9
	v_lshl_or_b32 v3, v3, 16, v9
	ds_write2_b32 v82, v7, v3 offset1:1
	s_waitcnt vmcnt(0)
	v_ashrrev_i32_e32 v2, v50, v2
	v_lshlrev_b32_e32 v7, 4, v2
	v_lshlrev_b32_e32 v9, 11, v2
	v_and_b32_e32 v3, 0xf0f0f0f, v4
	v_and_b32_e32 v7, 16, v7
	v_and_b32_e32 v9, 0x1000, v9
	v_or3_b32 v7, v7, v3, v9
	v_lshlrev_b32_e32 v9, 18, v2
	v_lshlrev_b32_e32 v10, 25, v2
	v_and_b32_e32 v9, 0x100000, v9
	v_and_b32_e32 v10, 0x10000000, v10
	v_or3_b32 v3, v3, v9, v10
	v_and_b32_e32 v9, 0x1f00, v7
	v_lshlrev_b16_e32 v7, 8, v7
	v_add_u16_e32 v9, 0xf000, v9
	v_add_u16_e32 v7, 0xf000, v7
	v_perm_b32 v7, v7, v9, s16
	v_and_b32_sdwa v9, v3, s11 dst_sel:DWORD dst_unused:UNUSED_PAD src0_sel:WORD_1 src1_sel:DWORD
	v_lshlrev_b16_sdwa v3, v115, v3 dst_sel:DWORD dst_unused:UNUSED_PAD src0_sel:DWORD src1_sel:WORD_1
	v_add_u16_e32 v9, 0xf000, v9
	v_add_u16_e32 v3, 0xf000, v3
	v_perm_b32 v3, v3, v9, s16
	v_lshl_or_b32 v3, v3, 16, v7
	v_lshrrev_b32_e32 v4, 4, v4
	v_lshrrev_b32_e32 v7, 12, v2
	;; [unrolled: 1-line block ×3, first 2 shown]
	v_and_b32_e32 v4, 0xf0f0f0f, v4
	v_and_b32_e32 v7, 16, v7
	;; [unrolled: 1-line block ×3, first 2 shown]
	v_or3_b32 v7, v7, v4, v9
	v_lshlrev_b32_e32 v9, 2, v2
	v_lshlrev_b32_e32 v2, 9, v2
	v_and_b32_e32 v9, 0x100000, v9
	v_and_b32_e32 v2, 0x10000000, v2
	v_or3_b32 v2, v4, v9, v2
	v_and_b32_sdwa v4, v2, s11 dst_sel:DWORD dst_unused:UNUSED_PAD src0_sel:WORD_1 src1_sel:DWORD
	v_lshlrev_b16_sdwa v2, v115, v2 dst_sel:DWORD dst_unused:UNUSED_PAD src0_sel:DWORD src1_sel:WORD_1
	v_add_u16_e32 v4, 0xf000, v4
	v_add_u16_e32 v2, 0xf000, v2
	v_perm_b32 v2, v2, v4, s16
	v_lshlrev_b16_e32 v4, 8, v7
	v_add_u16_e32 v4, 0xf000, v4
	v_lshrrev_b16_e32 v4, 8, v4
	v_bitop3_b16 v4, v7, v4, s11 bitop3:0xec
	v_add_u16_e32 v4, 0xf000, v4
	v_lshl_or_b32 v2, v2, 16, v4
	ds_write2_b32 v86, v3, v2 offset1:1
	v_ashrrev_i32_e32 v2, v50, v6
	v_lshlrev_b32_e32 v4, 4, v2
	v_lshlrev_b32_e32 v6, 11, v2
	v_and_b32_e32 v3, 0xf0f0f0f, v5
	v_and_b32_e32 v4, 16, v4
	;; [unrolled: 1-line block ×3, first 2 shown]
	v_or3_b32 v4, v4, v3, v6
	v_lshlrev_b32_e32 v6, 18, v2
	v_lshlrev_b32_e32 v7, 25, v2
	v_and_b32_e32 v6, 0x100000, v6
	v_and_b32_e32 v7, 0x10000000, v7
	v_or3_b32 v3, v3, v6, v7
	v_and_b32_e32 v6, 0x1f00, v4
	v_lshlrev_b16_e32 v4, 8, v4
	v_add_u16_e32 v6, 0xf000, v6
	v_add_u16_e32 v4, 0xf000, v4
	v_perm_b32 v4, v4, v6, s16
	v_and_b32_sdwa v6, v3, s11 dst_sel:DWORD dst_unused:UNUSED_PAD src0_sel:WORD_1 src1_sel:DWORD
	v_lshlrev_b16_sdwa v3, v115, v3 dst_sel:DWORD dst_unused:UNUSED_PAD src0_sel:DWORD src1_sel:WORD_1
	v_add_u16_e32 v6, 0xf000, v6
	v_add_u16_e32 v3, 0xf000, v3
	v_perm_b32 v3, v3, v6, s16
	v_lshl_or_b32 v3, v3, 16, v4
	v_lshrrev_b32_e32 v4, 4, v5
	v_lshrrev_b32_e32 v5, 12, v2
	;; [unrolled: 1-line block ×3, first 2 shown]
	v_and_b32_e32 v4, 0xf0f0f0f, v4
	v_and_b32_e32 v5, 16, v5
	;; [unrolled: 1-line block ×3, first 2 shown]
	v_or3_b32 v5, v5, v4, v6
	v_lshlrev_b32_e32 v6, 2, v2
	v_lshlrev_b32_e32 v2, 9, v2
	v_and_b32_e32 v6, 0x100000, v6
	v_and_b32_e32 v2, 0x10000000, v2
	v_or3_b32 v2, v4, v6, v2
	v_and_b32_sdwa v4, v2, s11 dst_sel:DWORD dst_unused:UNUSED_PAD src0_sel:WORD_1 src1_sel:DWORD
	v_lshlrev_b16_sdwa v2, v115, v2 dst_sel:DWORD dst_unused:UNUSED_PAD src0_sel:DWORD src1_sel:WORD_1
	v_add_u16_e32 v4, 0xf000, v4
	v_add_u16_e32 v2, 0xf000, v2
	v_perm_b32 v2, v2, v4, s16
	v_lshlrev_b16_e32 v4, 8, v5
	v_add_u16_e32 v4, 0xf000, v4
	v_lshrrev_b16_e32 v4, 8, v4
	v_bitop3_b16 v4, v5, v4, s11 bitop3:0xec
	v_add_u16_e32 v4, 0xf000, v4
	v_lshl_or_b32 v2, v2, 16, v4
	v_ashrrev_i32_e32 v18, v50, v8
	ds_write2_b32 v90, v3, v2 offset1:1
	v_lshlrev_b32_e32 v3, 4, v18
	v_lshlrev_b32_e32 v4, 11, v18
	v_and_b32_e32 v2, 0xf0f0f0f, v22
	v_and_b32_e32 v3, 16, v3
	;; [unrolled: 1-line block ×3, first 2 shown]
	v_or3_b32 v3, v3, v2, v4
	v_lshlrev_b32_e32 v4, 18, v18
	v_lshlrev_b32_e32 v5, 25, v18
	v_and_b32_e32 v4, 0x100000, v4
	v_and_b32_e32 v5, 0x10000000, v5
	v_or3_b32 v19, v2, v4, v5
	v_and_b32_e32 v2, 0x1f00, v3
	v_add_u16_e32 v20, 0xf000, v2
	v_lshlrev_b16_e32 v21, 8, v3
	v_mad_i64_i32 v[2:3], s[18:19], v100, 22, v[0:1]
	v_mad_i64_i32 v[6:7], s[18:19], v104, 22, v[0:1]
	;; [unrolled: 1-line block ×3, first 2 shown]
	v_lshl_add_u64 v[4:5], v[2:3], 0, v[50:51]
	v_lshl_add_u64 v[8:9], v[6:7], 0, v[50:51]
	;; [unrolled: 1-line block ×3, first 2 shown]
	v_mad_i64_i32 v[0:1], s[18:19], v112, 22, v[0:1]
	v_lshl_add_u64 v[14:15], v[0:1], 0, v[50:51]
	global_load_dword v4, v[4:5], off offset:6
	s_nop 0
	global_load_dword v5, v[8:9], off offset:6
	s_nop 0
	global_load_dword v8, v[12:13], off offset:6
	global_load_dword v9, v[14:15], off offset:6
	s_nop 0
	global_load_dword v12, v[0:1], off offset:2
	s_nop 0
	global_load_dword v0, v[10:11], off offset:2
	global_load_dword v1, v[6:7], off offset:2
	s_nop 0
	global_load_dword v2, v[2:3], off offset:2
	v_and_b32_sdwa v6, v19, s11 dst_sel:DWORD dst_unused:UNUSED_PAD src0_sel:WORD_1 src1_sel:DWORD
	v_lshlrev_b16_sdwa v7, v115, v19 dst_sel:DWORD dst_unused:UNUSED_PAD src0_sel:DWORD src1_sel:WORD_1
	v_add_u16_e32 v3, 0xf000, v21
	v_add_u16_e32 v6, 0xf000, v6
	;; [unrolled: 1-line block ×3, first 2 shown]
	v_perm_b32 v3, v3, v20, s16
	v_perm_b32 v6, v7, v6, s16
	v_lshl_or_b32 v3, v6, 16, v3
	v_lshrrev_b32_e32 v6, 4, v22
	v_lshrrev_b32_e32 v7, 12, v18
	;; [unrolled: 1-line block ×3, first 2 shown]
	v_and_b32_e32 v6, 0xf0f0f0f, v6
	v_and_b32_e32 v7, 16, v7
	;; [unrolled: 1-line block ×3, first 2 shown]
	v_or3_b32 v7, v7, v6, v10
	v_lshlrev_b32_e32 v10, 2, v18
	v_lshlrev_b32_e32 v11, 9, v18
	v_and_b32_e32 v10, 0x100000, v10
	v_and_b32_e32 v11, 0x10000000, v11
	v_or3_b32 v6, v6, v10, v11
	v_and_b32_sdwa v10, v6, s11 dst_sel:DWORD dst_unused:UNUSED_PAD src0_sel:WORD_1 src1_sel:DWORD
	v_lshlrev_b16_sdwa v6, v115, v6 dst_sel:DWORD dst_unused:UNUSED_PAD src0_sel:DWORD src1_sel:WORD_1
	v_add_u16_e32 v10, 0xf000, v10
	v_add_u16_e32 v6, 0xf000, v6
	v_perm_b32 v6, v6, v10, s16
	v_lshlrev_b16_e32 v10, 8, v7
	v_add_u16_e32 v10, 0xf000, v10
	v_lshrrev_b16_e32 v10, 8, v10
	v_bitop3_b16 v7, v7, v10, s11 bitop3:0xec
	v_add_u16_e32 v7, 0xf000, v7
	v_lshl_or_b32 v6, v6, 16, v7
	ds_write2_b32 v94, v3, v6 offset1:1
	v_ashrrev_i32_e32 v3, v50, v17
	v_lshlrev_b32_e32 v7, 4, v3
	v_lshlrev_b32_e32 v10, 11, v3
	v_and_b32_e32 v6, 0xf0f0f0f, v16
	v_and_b32_e32 v7, 16, v7
	;; [unrolled: 1-line block ×3, first 2 shown]
	v_or3_b32 v7, v7, v6, v10
	v_lshlrev_b32_e32 v10, 18, v3
	v_lshlrev_b32_e32 v11, 25, v3
	v_and_b32_e32 v10, 0x100000, v10
	v_and_b32_e32 v11, 0x10000000, v11
	v_or3_b32 v6, v6, v10, v11
	v_and_b32_e32 v10, 0x1f00, v7
	v_lshlrev_b16_e32 v7, 8, v7
	v_add_u16_e32 v10, 0xf000, v10
	v_add_u16_e32 v7, 0xf000, v7
	v_perm_b32 v7, v7, v10, s16
	v_and_b32_sdwa v10, v6, s11 dst_sel:DWORD dst_unused:UNUSED_PAD src0_sel:WORD_1 src1_sel:DWORD
	v_lshlrev_b16_sdwa v6, v115, v6 dst_sel:DWORD dst_unused:UNUSED_PAD src0_sel:DWORD src1_sel:WORD_1
	v_add_u16_e32 v10, 0xf000, v10
	v_add_u16_e32 v6, 0xf000, v6
	v_perm_b32 v6, v6, v10, s16
	v_lshl_or_b32 v6, v6, 16, v7
	v_lshrrev_b32_e32 v7, 4, v16
	v_lshrrev_b32_e32 v10, 12, v3
	;; [unrolled: 1-line block ×3, first 2 shown]
	v_and_b32_e32 v7, 0xf0f0f0f, v7
	v_and_b32_e32 v10, 16, v10
	;; [unrolled: 1-line block ×3, first 2 shown]
	v_or3_b32 v10, v10, v7, v11
	v_lshlrev_b32_e32 v11, 2, v3
	v_lshlrev_b32_e32 v3, 9, v3
	v_and_b32_e32 v11, 0x100000, v11
	v_and_b32_e32 v3, 0x10000000, v3
	v_or3_b32 v3, v7, v11, v3
	v_and_b32_sdwa v7, v3, s11 dst_sel:DWORD dst_unused:UNUSED_PAD src0_sel:WORD_1 src1_sel:DWORD
	v_lshlrev_b16_sdwa v3, v115, v3 dst_sel:DWORD dst_unused:UNUSED_PAD src0_sel:DWORD src1_sel:WORD_1
	v_add_u16_e32 v7, 0xf000, v7
	v_add_u16_e32 v3, 0xf000, v3
	v_perm_b32 v3, v3, v7, s16
	v_lshlrev_b16_e32 v7, 8, v10
	v_add_u16_e32 v7, 0xf000, v7
	v_lshrrev_b16_e32 v7, 8, v7
	v_bitop3_b16 v7, v10, v7, s11 bitop3:0xec
	v_add_u16_e32 v7, 0xf000, v7
	v_lshl_or_b32 v3, v3, 16, v7
	ds_write2_b32 v98, v6, v3 offset1:1
	s_waitcnt vmcnt(0)
	v_ashrrev_i32_e32 v2, v50, v2
	v_lshlrev_b32_e32 v6, 4, v2
	v_lshlrev_b32_e32 v7, 11, v2
	v_and_b32_e32 v3, 0xf0f0f0f, v4
	v_and_b32_e32 v6, 16, v6
	;; [unrolled: 1-line block ×3, first 2 shown]
	v_or3_b32 v6, v6, v3, v7
	v_lshlrev_b32_e32 v7, 18, v2
	v_lshlrev_b32_e32 v10, 25, v2
	v_and_b32_e32 v7, 0x100000, v7
	v_and_b32_e32 v10, 0x10000000, v10
	v_or3_b32 v3, v3, v7, v10
	v_and_b32_e32 v7, 0x1f00, v6
	v_lshlrev_b16_e32 v6, 8, v6
	v_add_u16_e32 v7, 0xf000, v7
	v_add_u16_e32 v6, 0xf000, v6
	v_perm_b32 v6, v6, v7, s16
	v_and_b32_sdwa v7, v3, s11 dst_sel:DWORD dst_unused:UNUSED_PAD src0_sel:WORD_1 src1_sel:DWORD
	v_lshlrev_b16_sdwa v3, v115, v3 dst_sel:DWORD dst_unused:UNUSED_PAD src0_sel:DWORD src1_sel:WORD_1
	v_add_u16_e32 v7, 0xf000, v7
	v_add_u16_e32 v3, 0xf000, v3
	v_perm_b32 v3, v3, v7, s16
	v_lshl_or_b32 v3, v3, 16, v6
	v_lshrrev_b32_e32 v4, 4, v4
	v_lshrrev_b32_e32 v6, 12, v2
	;; [unrolled: 1-line block ×3, first 2 shown]
	v_and_b32_e32 v4, 0xf0f0f0f, v4
	v_and_b32_e32 v6, 16, v6
	;; [unrolled: 1-line block ×3, first 2 shown]
	v_or3_b32 v6, v6, v4, v7
	v_lshlrev_b32_e32 v7, 2, v2
	v_lshlrev_b32_e32 v2, 9, v2
	v_and_b32_e32 v7, 0x100000, v7
	v_and_b32_e32 v2, 0x10000000, v2
	v_or3_b32 v2, v4, v7, v2
	v_and_b32_sdwa v4, v2, s11 dst_sel:DWORD dst_unused:UNUSED_PAD src0_sel:WORD_1 src1_sel:DWORD
	v_lshlrev_b16_sdwa v2, v115, v2 dst_sel:DWORD dst_unused:UNUSED_PAD src0_sel:DWORD src1_sel:WORD_1
	v_add_u16_e32 v4, 0xf000, v4
	v_add_u16_e32 v2, 0xf000, v2
	v_perm_b32 v2, v2, v4, s16
	v_lshlrev_b16_e32 v4, 8, v6
	v_add_u16_e32 v4, 0xf000, v4
	v_lshrrev_b16_e32 v4, 8, v4
	v_bitop3_b16 v4, v6, v4, s11 bitop3:0xec
	v_add_u16_e32 v4, 0xf000, v4
	v_lshl_or_b32 v2, v2, 16, v4
	v_ashrrev_i32_e32 v1, v50, v1
	ds_write2_b32 v102, v3, v2 offset1:1
	v_lshlrev_b32_e32 v3, 4, v1
	v_lshlrev_b32_e32 v4, 11, v1
	v_and_b32_e32 v2, 0xf0f0f0f, v5
	v_and_b32_e32 v3, 16, v3
	;; [unrolled: 1-line block ×3, first 2 shown]
	v_or3_b32 v3, v3, v2, v4
	v_lshlrev_b32_e32 v4, 18, v1
	v_lshlrev_b32_e32 v6, 25, v1
	v_and_b32_e32 v4, 0x100000, v4
	v_and_b32_e32 v6, 0x10000000, v6
	v_or3_b32 v2, v2, v4, v6
	v_and_b32_e32 v4, 0x1f00, v3
	v_lshlrev_b16_e32 v3, 8, v3
	v_add_u16_e32 v4, 0xf000, v4
	v_add_u16_e32 v3, 0xf000, v3
	v_perm_b32 v3, v3, v4, s16
	v_and_b32_sdwa v4, v2, s11 dst_sel:DWORD dst_unused:UNUSED_PAD src0_sel:WORD_1 src1_sel:DWORD
	v_lshlrev_b16_sdwa v2, v115, v2 dst_sel:DWORD dst_unused:UNUSED_PAD src0_sel:DWORD src1_sel:WORD_1
	v_add_u16_e32 v4, 0xf000, v4
	v_add_u16_e32 v2, 0xf000, v2
	v_perm_b32 v2, v2, v4, s16
	v_lshl_or_b32 v2, v2, 16, v3
	v_lshrrev_b32_e32 v3, 4, v5
	v_lshrrev_b32_e32 v4, 12, v1
	;; [unrolled: 1-line block ×3, first 2 shown]
	v_and_b32_e32 v3, 0xf0f0f0f, v3
	v_and_b32_e32 v4, 16, v4
	v_and_b32_e32 v5, 0x1000, v5
	v_or3_b32 v4, v4, v3, v5
	v_lshlrev_b32_e32 v5, 2, v1
	v_lshlrev_b32_e32 v1, 9, v1
	v_and_b32_e32 v5, 0x100000, v5
	v_and_b32_e32 v1, 0x10000000, v1
	v_or3_b32 v1, v3, v5, v1
	v_and_b32_sdwa v3, v1, s11 dst_sel:DWORD dst_unused:UNUSED_PAD src0_sel:WORD_1 src1_sel:DWORD
	v_lshlrev_b16_sdwa v1, v115, v1 dst_sel:DWORD dst_unused:UNUSED_PAD src0_sel:DWORD src1_sel:WORD_1
	v_add_u16_e32 v3, 0xf000, v3
	v_add_u16_e32 v1, 0xf000, v1
	v_perm_b32 v1, v1, v3, s16
	v_lshlrev_b16_e32 v3, 8, v4
	v_add_u16_e32 v3, 0xf000, v3
	v_lshrrev_b16_e32 v3, 8, v3
	v_bitop3_b16 v3, v4, v3, s11 bitop3:0xec
	v_add_u16_e32 v3, 0xf000, v3
	v_lshl_or_b32 v1, v1, 16, v3
	v_ashrrev_i32_e32 v10, v50, v0
	ds_write2_b32 v106, v2, v1 offset1:1
	v_lshlrev_b32_e32 v1, 4, v10
	v_lshlrev_b32_e32 v2, 11, v10
	v_and_b32_e32 v0, 0xf0f0f0f, v8
	v_and_b32_e32 v1, 16, v1
	;; [unrolled: 1-line block ×3, first 2 shown]
	v_or3_b32 v1, v1, v0, v2
	v_lshlrev_b32_e32 v2, 18, v10
	v_lshlrev_b32_e32 v3, 25, v10
	v_and_b32_e32 v2, 0x100000, v2
	v_and_b32_e32 v3, 0x10000000, v3
	v_or3_b32 v11, v0, v2, v3
	v_and_b32_e32 v0, 0x1f00, v1
	v_lshlrev_b16_e32 v1, 8, v1
	v_add_u16_e32 v0, 0xf000, v0
	v_add_u16_e32 v1, 0xf000, v1
	v_perm_b32 v13, v1, v0, s16
	v_and_b32_sdwa v0, v11, s11 dst_sel:DWORD dst_unused:UNUSED_PAD src0_sel:WORD_1 src1_sel:DWORD
	v_add_u16_e32 v14, 0xf000, v0
	v_mad_u64_u32 v[0:1], s[0:1], v116, 22, s[0:1]
	v_mad_i64_i32 v[2:3], s[0:1], v118, 22, v[0:1]
	v_mad_i64_i32 v[4:5], s[0:1], v120, 22, v[0:1]
	;; [unrolled: 1-line block ×4, first 2 shown]
	global_load_ushort v2, v[2:3], off
	s_nop 0
	global_load_ushort v3, v[4:5], off
	s_nop 0
	global_load_ushort v4, v[6:7], off
	v_lshrrev_b32_e32 v5, 4, v8
	global_load_ushort v0, v[0:1], off
	v_lshrrev_b32_e32 v6, 12, v10
	v_lshrrev_b32_e32 v7, 5, v10
	v_and_b32_e32 v5, 0xf0f0f0f, v5
	v_and_b32_e32 v6, 16, v6
	;; [unrolled: 1-line block ×3, first 2 shown]
	v_or3_b32 v6, v6, v5, v7
	v_lshlrev_b32_e32 v7, 2, v10
	v_lshlrev_b32_e32 v8, 9, v10
	v_and_b32_e32 v7, 0x100000, v7
	v_and_b32_e32 v8, 0x10000000, v8
	v_or3_b32 v5, v5, v7, v8
	v_and_b32_sdwa v7, v5, s11 dst_sel:DWORD dst_unused:UNUSED_PAD src0_sel:WORD_1 src1_sel:DWORD
	v_lshlrev_b16_sdwa v5, v115, v5 dst_sel:DWORD dst_unused:UNUSED_PAD src0_sel:DWORD src1_sel:WORD_1
	v_add_u16_e32 v7, 0xf000, v7
	v_add_u16_e32 v5, 0xf000, v5
	v_perm_b32 v5, v5, v7, s16
	v_lshlrev_b16_e32 v7, 8, v6
	v_add_u16_e32 v7, 0xf000, v7
	v_lshlrev_b16_sdwa v1, v115, v11 dst_sel:DWORD dst_unused:UNUSED_PAD src0_sel:DWORD src1_sel:WORD_1
	v_lshrrev_b16_e32 v7, 8, v7
	v_add_u16_e32 v1, 0xf000, v1
	v_bitop3_b16 v6, v6, v7, s11 bitop3:0xec
	v_perm_b32 v1, v1, v14, s16
	v_add_u16_e32 v6, 0xf000, v6
	v_lshl_or_b32 v1, v1, 16, v13
	v_lshl_or_b32 v5, v5, 16, v6
	ds_write2_b32 v110, v1, v5 offset1:1
	v_ashrrev_i32_e32 v1, v50, v12
	v_lshlrev_b32_e32 v6, 4, v1
	v_lshlrev_b32_e32 v7, 11, v1
	v_and_b32_e32 v5, 0xf0f0f0f, v9
	v_and_b32_e32 v6, 16, v6
	;; [unrolled: 1-line block ×3, first 2 shown]
	v_or3_b32 v6, v6, v5, v7
	v_lshlrev_b32_e32 v7, 18, v1
	v_lshlrev_b32_e32 v8, 25, v1
	v_and_b32_e32 v7, 0x100000, v7
	v_and_b32_e32 v8, 0x10000000, v8
	v_or3_b32 v5, v5, v7, v8
	v_and_b32_e32 v7, 0x1f00, v6
	v_lshlrev_b16_e32 v6, 8, v6
	v_add_u16_e32 v7, 0xf000, v7
	v_add_u16_e32 v6, 0xf000, v6
	v_perm_b32 v6, v6, v7, s16
	v_and_b32_sdwa v7, v5, s11 dst_sel:DWORD dst_unused:UNUSED_PAD src0_sel:WORD_1 src1_sel:DWORD
	v_lshlrev_b16_sdwa v5, v115, v5 dst_sel:DWORD dst_unused:UNUSED_PAD src0_sel:DWORD src1_sel:WORD_1
	v_add_u16_e32 v7, 0xf000, v7
	v_add_u16_e32 v5, 0xf000, v5
	v_perm_b32 v5, v5, v7, s16
	v_lshl_or_b32 v5, v5, 16, v6
	v_lshrrev_b32_e32 v6, 4, v9
	v_lshrrev_b32_e32 v7, 12, v1
	;; [unrolled: 1-line block ×3, first 2 shown]
	v_and_b32_e32 v6, 0xf0f0f0f, v6
	v_and_b32_e32 v7, 16, v7
	;; [unrolled: 1-line block ×3, first 2 shown]
	v_or3_b32 v7, v7, v6, v8
	v_lshlrev_b32_e32 v8, 2, v1
	v_lshlrev_b32_e32 v1, 9, v1
	v_and_b32_e32 v8, 0x100000, v8
	v_and_b32_e32 v1, 0x10000000, v1
	v_or3_b32 v1, v6, v8, v1
	v_and_b32_sdwa v6, v1, s11 dst_sel:DWORD dst_unused:UNUSED_PAD src0_sel:WORD_1 src1_sel:DWORD
	v_lshlrev_b16_sdwa v1, v115, v1 dst_sel:DWORD dst_unused:UNUSED_PAD src0_sel:DWORD src1_sel:WORD_1
	v_add_u16_e32 v6, 0xf000, v6
	v_add_u16_e32 v1, 0xf000, v1
	v_perm_b32 v1, v1, v6, s16
	v_lshlrev_b16_e32 v6, 8, v7
	v_add_u16_e32 v6, 0xf000, v6
	v_lshrrev_b16_e32 v6, 8, v6
	v_bitop3_b16 v6, v7, v6, s11 bitop3:0xec
	v_add_u16_e32 v6, 0xf000, v6
	v_lshl_or_b32 v1, v1, 16, v6
	ds_write2_b32 v114, v5, v1 offset1:1
	s_waitcnt vmcnt(3)
	v_cvt_f32_f16_e32 v2, v2
	s_waitcnt vmcnt(2)
	v_cvt_f32_f16_e32 v1, v3
	;; [unrolled: 2-line block ×4, first 2 shown]
	ds_write_b32 v107, v2
	ds_write_b32 v109, v1
	;; [unrolled: 1-line block ×4, first 2 shown]
	s_cbranch_scc0 .LBB142_6
; %bb.8:                                ;   in Loop: Header=BB142_7 Depth=1
	v_add_u32_e32 v14, s9, v57
	v_add_u32_e32 v218, s9, v126
	;; [unrolled: 1-line block ×6, first 2 shown]
	v_mad_i64_i32 v[0:1], s[0:1], v0, 36, v[128:129]
	v_mad_i64_i32 v[2:3], s[0:1], v2, 36, v[128:129]
	v_mad_i64_i32 v[4:5], s[0:1], v4, 36, v[128:129]
	v_mad_i64_i32 v[6:7], s[0:1], v6, 36, v[128:129]
	v_add_u32_e32 v8, v14, v73
	v_add_u32_e32 v10, v14, v75
	;; [unrolled: 1-line block ×4, first 2 shown]
	v_mad_u64_u32 v[16:17], s[0:1], v218, 36, s[2:3]
	v_mad_i64_i32 v[8:9], s[0:1], v8, 36, v[128:129]
	v_mad_i64_i32 v[10:11], s[0:1], v10, 36, v[128:129]
	;; [unrolled: 1-line block ×4, first 2 shown]
	global_load_dword v16, v[16:17], off
	s_nop 0
	global_load_dword v0, v[0:1], off offset:4
	s_nop 0
	global_load_dword v1, v[2:3], off offset:4
	;; [unrolled: 2-line block ×3, first 2 shown]
	global_load_dword v3, v[6:7], off offset:4
	s_nop 0
	global_load_dword v4, v[8:9], off offset:4
	global_load_dword v5, v[10:11], off offset:4
	;; [unrolled: 1-line block ×4, first 2 shown]
	v_add_u32_e32 v219, v59, v65
	s_mov_b32 s0, -4
	v_mov_b32_e32 v220, v95
	v_mov_b32_e32 v221, v81
	;; [unrolled: 1-line block ×7, first 2 shown]
	s_waitcnt vmcnt(8)
	v_cvt_f32_f16_e32 v8, v16
	s_waitcnt vmcnt(7)
	ds_write_b32 v219, v0
	s_waitcnt vmcnt(6)
	ds_write_b32 v117, v1
	;; [unrolled: 2-line block ×8, first 2 shown]
	ds_write_b32 v61, v8
	s_waitcnt lgkmcnt(0)
	s_barrier
.LBB142_9:                              ;   Parent Loop BB142_7 Depth=1
                                        ; =>  This Inner Loop Header: Depth=2
	ds_read_b128 v[32:35], v220
	ds_read_b128 v[0:3], v220 offset:16
	ds_read2_b32 v[188:189], v222 offset1:32
	v_add_u32_e32 v170, 0x2080, v221
	v_add_u32_e32 v182, 0x4108, v221
	;; [unrolled: 1-line block ×5, first 2 shown]
	ds_read2_b32 v[168:169], v221 offset1:1
	ds_read2_b32 v[166:167], v221 offset0:2 offset1:3
	ds_read2_b32 v[164:165], v221 offset0:4 offset1:5
	;; [unrolled: 1-line block ×3, first 2 shown]
	v_add_u32_e32 v171, 0x2088, v221
	v_add_u32_e32 v173, 0x2090, v221
	;; [unrolled: 1-line block ×4, first 2 shown]
	ds_read_b32 v172, v223
	ds_read_b32 v174, v224
	;; [unrolled: 1-line block ×4, first 2 shown]
	v_add_u32_e32 v186, 0x6188, v221
	v_add_u32_e32 v187, 0x6190, v221
	;; [unrolled: 1-line block ×3, first 2 shown]
	ds_read_b128 v[36:39], v220 offset:1024
	ds_read_b128 v[4:7], v220 offset:1040
	;; [unrolled: 1-line block ×4, first 2 shown]
	ds_read2_b32 v[192:193], v222 offset0:64 offset1:96
	ds_read_b128 v[44:47], v220 offset:3072
	ds_read_b128 v[12:15], v220 offset:3088
	;; [unrolled: 1-line block ×4, first 2 shown]
	ds_read2_b32 v[198:199], v222 offset0:128 offset1:160
	ds_read_b128 v[20:23], v220 offset:5120
	ds_read_b128 v[24:27], v220 offset:6144
	ds_read2_b32 v[216:217], v222 offset0:192 offset1:224
	ds_read2_b32 v[214:215], v170 offset1:1
	ds_read2_b32 v[208:209], v171 offset1:1
	;; [unrolled: 1-line block ×12, first 2 shown]
	v_mov_b32_e32 v228, 0
	v_mov_b32_e32 v227, 0
	;; [unrolled: 1-line block ×4, first 2 shown]
	s_waitcnt lgkmcnt(14)
	v_dot4c_i32_i8_e32 v228, v168, v32
	s_waitcnt lgkmcnt(11)
	v_dot4c_i32_i8_e32 v227, v214, v32
	;; [unrolled: 2-line block ×4, first 2 shown]
	v_dot4c_i32_i8_e32 v228, v169, v0
	v_dot4c_i32_i8_e32 v227, v215, v0
	;; [unrolled: 1-line block ×7, first 2 shown]
	s_waitcnt lgkmcnt(2)
	v_dot4c_i32_i8_e32 v230, v204, v33
	v_dot4c_i32_i8_e32 v228, v167, v1
	;; [unrolled: 1-line block ×8, first 2 shown]
	s_waitcnt lgkmcnt(1)
	v_dot4c_i32_i8_e32 v230, v194, v34
	v_mov_b32_e32 v240, 0
	v_mov_b32_e32 v242, 0
	;; [unrolled: 1-line block ×3, first 2 shown]
	v_dot4c_i32_i8_e32 v228, v165, v2
	v_dot4c_i32_i8_e32 v227, v203, v2
	;; [unrolled: 1-line block ×4, first 2 shown]
	v_mov_b32_e32 v2, 0
	v_mov_b32_e32 v232, 0
	;; [unrolled: 1-line block ×9, first 2 shown]
	v_dot4c_i32_i8_e32 v240, v168, v28
	v_dot4c_i32_i8_e32 v242, v214, v28
	;; [unrolled: 1-line block ×40, first 2 shown]
	v_mov_b32_e32 v239, 0
	v_mov_b32_e32 v243, 0
	;; [unrolled: 1-line block ×4, first 2 shown]
	v_dot4c_i32_i8_e32 v232, v167, v5
	v_dot4c_i32_i8_e32 v231, v209, v5
	;; [unrolled: 1-line block ×43, first 2 shown]
	s_waitcnt lgkmcnt(0)
	v_dot4c_i32_i8_e32 v2, v184, v31
	ds_read_b128 v[28:31], v220 offset:7168
	v_dot4c_i32_i8_e32 v228, v162, v35
	v_dot4c_i32_i8_e32 v227, v180, v35
	;; [unrolled: 1-line block ×16, first 2 shown]
	ds_read_b128 v[32:35], v220 offset:5136
	ds_read_b128 v[40:43], v220 offset:6160
	;; [unrolled: 1-line block ×3, first 2 shown]
	v_dot4c_i32_i8_e32 v239, v167, v13
	v_dot4c_i32_i8_e32 v243, v209, v13
	;; [unrolled: 1-line block ×8, first 2 shown]
	v_mov_b32_e32 v241, 0
	v_dot4c_i32_i8_e32 v239, v165, v14
	v_dot4c_i32_i8_e32 v243, v203, v14
	;; [unrolled: 1-line block ×4, first 2 shown]
	v_mov_b32_e32 v14, 0
	v_mov_b32_e32 v18, 0
	v_dot4c_i32_i8_e32 v241, v168, v20
	v_dot4c_i32_i8_e32 v14, v168, v24
	s_waitcnt lgkmcnt(3)
	v_dot4c_i32_i8_e32 v18, v168, v28
	v_pk_mul_f32 v[170:171], v[172:173], v[188:189] op_sel_hi:[0,1]
	v_pk_mul_f32 v[0:1], v[174:175], v[188:189] op_sel_hi:[0,1]
	;; [unrolled: 1-line block ×9, first 2 shown]
	v_dot4c_i32_i8_e32 v239, v162, v47
	v_dot4c_i32_i8_e32 v243, v180, v47
	;; [unrolled: 1-line block ×4, first 2 shown]
	v_pk_mul_f32 v[12:13], v[174:175], v[198:199] op_sel_hi:[0,1]
	v_pk_mul_f32 v[44:45], v[176:177], v[198:199] op_sel_hi:[0,1]
	;; [unrolled: 1-line block ×7, first 2 shown]
	s_waitcnt lgkmcnt(2)
	v_dot4c_i32_i8_e32 v241, v169, v32
	s_waitcnt lgkmcnt(1)
	v_dot4c_i32_i8_e32 v14, v169, v40
	;; [unrolled: 2-line block ×3, first 2 shown]
	v_mov_b32_e32 v168, 0
	v_mov_b32_e32 v169, 0
	v_mov_b32_e32 v178, 0
	v_dot4c_i32_i8_e32 v168, v214, v20
	v_dot4c_i32_i8_e32 v169, v214, v24
	v_dot4c_i32_i8_e32 v178, v214, v28
	v_dot4c_i32_i8_e32 v168, v215, v32
	v_dot4c_i32_i8_e32 v169, v215, v40
	v_dot4c_i32_i8_e32 v178, v215, v36
	v_mov_b32_e32 v214, 0
	v_mov_b32_e32 v215, 0
	v_mov_b32_e32 v216, 0
	v_dot4c_i32_i8_e32 v214, v212, v20
	v_dot4c_i32_i8_e32 v215, v212, v24
	v_dot4c_i32_i8_e32 v216, v212, v28
	v_dot4c_i32_i8_e32 v214, v213, v32
	v_dot4c_i32_i8_e32 v215, v213, v40
	v_dot4c_i32_i8_e32 v216, v213, v36
	v_mov_b32_e32 v212, 0
	v_mov_b32_e32 v213, 0
	v_mov_b32_e32 v217, 0
	v_dot4c_i32_i8_e32 v212, v210, v20
	v_dot4c_i32_i8_e32 v213, v210, v24
	v_dot4c_i32_i8_e32 v217, v210, v28
	v_dot4c_i32_i8_e32 v212, v211, v32
	v_dot4c_i32_i8_e32 v213, v211, v40
	v_dot4c_i32_i8_e32 v217, v211, v36
	v_dot4c_i32_i8_e32 v241, v166, v21
	v_dot4c_i32_i8_e32 v14, v166, v25
	;; [unrolled: 1-line block ×92, first 2 shown]
	v_cvt_f32_i32_e32 v17, v232
	v_cvt_f32_i32_e32 v16, v228
	;; [unrolled: 1-line block ×32, first 2 shown]
	s_add_i32 s0, s0, 4
	v_add_u32_e32 v226, 4, v226
	v_add_u32_e32 v225, 4, v225
	;; [unrolled: 1-line block ×7, first 2 shown]
	s_cmp_lt_u32 s0, 12
	v_pk_fma_f32 v[130:131], v[170:171], v[16:17], v[130:131]
	v_pk_fma_f32 v[138:139], v[190:191], v[6:7], v[138:139]
	;; [unrolled: 1-line block ×16, first 2 shown]
	s_cbranch_scc1 .LBB142_9
; %bb.10:                               ;   in Loop: Header=BB142_7 Depth=1
	s_and_b32 s0, s8, -4
	s_cmp_eq_u32 s0, 4
	s_barrier
	s_cbranch_scc1 .LBB142_6
; %bb.11:                               ;   in Loop: Header=BB142_7 Depth=1
	v_add_u32_e32 v14, s9, v83
	v_add_u32_e32 v0, v14, v63
	;; [unrolled: 1-line block ×8, first 2 shown]
	v_mad_i64_i32 v[0:1], s[0:1], v0, 36, v[128:129]
	v_mad_i64_i32 v[2:3], s[0:1], v2, 36, v[128:129]
	;; [unrolled: 1-line block ×6, first 2 shown]
	v_add_u32_e32 v12, v14, v77
	v_add_u32_e32 v14, v14, v79
	v_mad_u64_u32 v[16:17], s[0:1], v16, 36, s[2:3]
	v_mad_i64_i32 v[12:13], s[0:1], v12, 36, v[128:129]
	v_mad_i64_i32 v[14:15], s[0:1], v14, 36, v[128:129]
	global_load_dword v16, v[16:17], off
	s_nop 0
	global_load_dword v0, v[0:1], off offset:4
	s_nop 0
	global_load_dword v2, v[2:3], off offset:4
	;; [unrolled: 2-line block ×6, first 2 shown]
	global_load_dword v9, v[12:13], off offset:4
	s_nop 0
	global_load_dword v10, v[14:15], off offset:4
	s_mov_b32 s0, 12
	v_mov_b32_e32 v1, v93
	v_mov_b32_e32 v3, v95
	;; [unrolled: 1-line block ×7, first 2 shown]
	s_waitcnt vmcnt(8)
	v_cvt_f32_f16_e32 v11, v16
	s_waitcnt vmcnt(7)
	ds_write_b32 v219, v0
	s_waitcnt vmcnt(6)
	ds_write_b32 v117, v2
	s_waitcnt vmcnt(5)
	ds_write_b32 v119, v4
	s_waitcnt vmcnt(4)
	ds_write_b32 v121, v6
	s_waitcnt vmcnt(3)
	ds_write_b32 v123, v7
	s_waitcnt vmcnt(2)
	ds_write_b32 v125, v8
	s_waitcnt vmcnt(1)
	ds_write_b32 v127, v9
	s_waitcnt vmcnt(0)
	ds_write_b32 v179, v10
	ds_write_b32 v61, v11
	s_waitcnt lgkmcnt(0)
	s_barrier
.LBB142_12:                             ;   Parent Loop BB142_7 Depth=1
                                        ; =>  This Inner Loop Header: Depth=2
	v_add_u32_e32 v2, 0x2080, v5
	ds_read_b128 v[162:165], v3
	ds_read_b128 v[166:169], v3 offset:16
	ds_read2_b32 v[40:41], v1 offset1:32
	ds_read_b32 v4, v13
	ds_read2_b32 v[10:11], v5 offset1:1
	ds_read2_b32 v[20:21], v5 offset0:2 offset1:3
	ds_read2_b32 v[26:27], v5 offset0:4 offset1:5
	;; [unrolled: 1-line block ×3, first 2 shown]
	ds_read_b32 v0, v42
	ds_read2_b32 v[6:7], v2 offset1:1
	v_add_u32_e32 v2, 0x2088, v5
	ds_read2_b32 v[14:15], v2 offset1:1
	v_add_u32_e32 v2, 0x2090, v5
	;; [unrolled: 2-line block ×3, first 2 shown]
	v_add_u32_e32 v8, 0x4100, v5
	v_add_u32_e32 v12, 0x4108, v5
	ds_read2_b32 v[32:33], v2 offset1:1
	ds_read_b32 v2, v43
	ds_read2_b32 v[8:9], v8 offset1:1
	ds_read2_b32 v[18:19], v12 offset1:1
	v_add_u32_e32 v12, 0x4110, v5
	ds_read2_b32 v[28:29], v12 offset1:1
	v_add_u32_e32 v12, 0x4118, v5
	v_add_u32_e32 v16, 0x6180, v5
	ds_read2_b32 v[36:37], v12 offset1:1
	ds_read_b32 v12, v44
	ds_read2_b32 v[16:17], v16 offset1:1
	v_add_u32_e32 v24, 0x6188, v5
	ds_read2_b32 v[24:25], v24 offset1:1
	v_add_u32_e32 v34, 0x6190, v5
	v_mov_b32_e32 v45, 0
	v_mov_b32_e32 v172, 0
	;; [unrolled: 1-line block ×4, first 2 shown]
	ds_read2_b32 v[34:35], v34 offset1:1
	s_waitcnt lgkmcnt(14)
	v_dot4c_i32_i8_e32 v45, v10, v162
	s_waitcnt lgkmcnt(12)
	v_dot4c_i32_i8_e32 v172, v6, v162
	;; [unrolled: 2-line block ×4, first 2 shown]
	v_add_u32_e32 v38, 0x6198, v5
	v_dot4c_i32_i8_e32 v45, v11, v166
	v_dot4c_i32_i8_e32 v172, v7, v166
	;; [unrolled: 1-line block ×4, first 2 shown]
	ds_read2_b32 v[38:39], v38 offset1:1
	v_dot4c_i32_i8_e32 v45, v20, v163
	v_dot4c_i32_i8_e32 v172, v14, v163
	v_dot4c_i32_i8_e32 v173, v18, v163
	s_waitcnt lgkmcnt(2)
	v_dot4c_i32_i8_e32 v174, v24, v163
	v_dot4c_i32_i8_e32 v45, v21, v167
	v_dot4c_i32_i8_e32 v172, v15, v167
	v_dot4c_i32_i8_e32 v173, v19, v167
	v_dot4c_i32_i8_e32 v174, v25, v167
	v_dot4c_i32_i8_e32 v45, v26, v164
	v_dot4c_i32_i8_e32 v172, v22, v164
	v_dot4c_i32_i8_e32 v173, v28, v164
	s_waitcnt lgkmcnt(1)
	v_dot4c_i32_i8_e32 v174, v34, v164
	v_dot4c_i32_i8_e32 v45, v27, v168
	v_dot4c_i32_i8_e32 v172, v23, v168
	v_dot4c_i32_i8_e32 v173, v29, v168
	v_dot4c_i32_i8_e32 v174, v35, v168
	;; [unrolled: 9-line block ×3, first 2 shown]
	ds_read_b128 v[162:165], v3 offset:1024
	ds_read_b128 v[166:169], v3 offset:1040
	v_mov_b32_e32 v170, 0
	v_pk_mul_f32 v[46:47], v[4:5], v[40:41] op_sel_hi:[0,1]
	s_add_i32 s0, s0, 4
	s_waitcnt lgkmcnt(1)
	v_dot4c_i32_i8_e32 v170, v10, v162
	s_waitcnt lgkmcnt(0)
	v_dot4c_i32_i8_e32 v170, v11, v166
	v_dot4c_i32_i8_e32 v170, v20, v163
	;; [unrolled: 1-line block ×7, first 2 shown]
	v_add_u32_e32 v44, 4, v44
	v_add_u32_e32 v43, 4, v43
	;; [unrolled: 1-line block ×3, first 2 shown]
	v_cvt_f32_i32_e32 v171, v170
	v_cvt_f32_i32_e32 v170, v45
	v_mov_b32_e32 v45, 0
	v_dot4c_i32_i8_e32 v45, v6, v162
	v_dot4c_i32_i8_e32 v45, v7, v166
	v_dot4c_i32_i8_e32 v45, v14, v163
	v_dot4c_i32_i8_e32 v45, v15, v167
	v_dot4c_i32_i8_e32 v45, v22, v164
	v_dot4c_i32_i8_e32 v45, v23, v168
	v_dot4c_i32_i8_e32 v45, v32, v165
	v_dot4c_i32_i8_e32 v45, v33, v169
	v_pk_fma_f32 v[130:131], v[46:47], v[170:171], v[130:131]
	v_cvt_f32_i32_e32 v170, v172
	v_pk_mul_f32 v[46:47], v[0:1], v[40:41] op_sel_hi:[0,1]
	v_cvt_f32_i32_e32 v171, v45
	v_mov_b32_e32 v45, 0
	v_dot4c_i32_i8_e32 v45, v8, v162
	v_dot4c_i32_i8_e32 v45, v9, v166
	v_dot4c_i32_i8_e32 v45, v18, v163
	v_dot4c_i32_i8_e32 v45, v19, v167
	v_dot4c_i32_i8_e32 v45, v28, v164
	v_dot4c_i32_i8_e32 v45, v29, v168
	v_dot4c_i32_i8_e32 v45, v36, v165
	v_dot4c_i32_i8_e32 v45, v37, v169
	v_pk_fma_f32 v[150:151], v[46:47], v[170:171], v[150:151]
	v_cvt_f32_i32_e32 v170, v173
	v_pk_mul_f32 v[46:47], v[2:3], v[40:41] op_sel_hi:[0,1]
	;; [unrolled: 13-line block ×3, first 2 shown]
	v_cvt_f32_i32_e32 v47, v45
	v_mov_b32_e32 v45, 0
	v_mov_b32_e32 v172, 0
	;; [unrolled: 1-line block ×3, first 2 shown]
	v_pk_fma_f32 v[160:161], v[40:41], v[46:47], v[160:161]
	ds_read_b128 v[162:165], v3 offset:2048
	ds_read_b128 v[166:169], v3 offset:2064
	ds_read2_b32 v[40:41], v1 offset0:64 offset1:96
	v_mov_b32_e32 v174, 0
	v_mov_b32_e32 v170, 0
	s_waitcnt lgkmcnt(2)
	v_dot4c_i32_i8_e32 v45, v10, v162
	v_dot4c_i32_i8_e32 v172, v6, v162
	;; [unrolled: 1-line block ×4, first 2 shown]
	s_waitcnt lgkmcnt(1)
	v_dot4c_i32_i8_e32 v45, v11, v166
	v_dot4c_i32_i8_e32 v172, v7, v166
	;; [unrolled: 1-line block ×28, first 2 shown]
	ds_read_b128 v[162:165], v3 offset:3072
	ds_read_b128 v[166:169], v3 offset:3088
	s_waitcnt lgkmcnt(2)
	v_pk_mul_f32 v[46:47], v[4:5], v[40:41] op_sel_hi:[0,1]
	s_cmp_lt_u32 s0, 28
	s_waitcnt lgkmcnt(1)
	v_dot4c_i32_i8_e32 v170, v10, v162
	s_waitcnt lgkmcnt(0)
	v_dot4c_i32_i8_e32 v170, v11, v166
	v_dot4c_i32_i8_e32 v170, v20, v163
	;; [unrolled: 1-line block ×7, first 2 shown]
	s_nop 2
	v_cvt_f32_i32_e32 v171, v170
	v_cvt_f32_i32_e32 v170, v45
	v_mov_b32_e32 v45, 0
	v_dot4c_i32_i8_e32 v45, v6, v162
	v_dot4c_i32_i8_e32 v45, v7, v166
	v_dot4c_i32_i8_e32 v45, v14, v163
	v_dot4c_i32_i8_e32 v45, v15, v167
	v_dot4c_i32_i8_e32 v45, v22, v164
	v_dot4c_i32_i8_e32 v45, v23, v168
	v_dot4c_i32_i8_e32 v45, v32, v165
	v_dot4c_i32_i8_e32 v45, v33, v169
	v_pk_fma_f32 v[138:139], v[46:47], v[170:171], v[138:139]
	v_cvt_f32_i32_e32 v170, v172
	v_pk_mul_f32 v[46:47], v[0:1], v[40:41] op_sel_hi:[0,1]
	v_cvt_f32_i32_e32 v171, v45
	v_mov_b32_e32 v45, 0
	v_dot4c_i32_i8_e32 v45, v8, v162
	v_dot4c_i32_i8_e32 v45, v9, v166
	v_dot4c_i32_i8_e32 v45, v18, v163
	v_dot4c_i32_i8_e32 v45, v19, v167
	v_dot4c_i32_i8_e32 v45, v28, v164
	v_dot4c_i32_i8_e32 v45, v29, v168
	v_dot4c_i32_i8_e32 v45, v36, v165
	v_dot4c_i32_i8_e32 v45, v37, v169
	v_pk_fma_f32 v[144:145], v[46:47], v[170:171], v[144:145]
	v_cvt_f32_i32_e32 v170, v173
	v_pk_mul_f32 v[46:47], v[2:3], v[40:41] op_sel_hi:[0,1]
	;; [unrolled: 13-line block ×3, first 2 shown]
	v_cvt_f32_i32_e32 v47, v45
	v_mov_b32_e32 v45, 0
	v_mov_b32_e32 v172, 0
	v_mov_b32_e32 v173, 0
	v_pk_fma_f32 v[158:159], v[40:41], v[46:47], v[158:159]
	ds_read_b128 v[162:165], v3 offset:4096
	ds_read_b128 v[166:169], v3 offset:4112
	ds_read2_b32 v[40:41], v1 offset0:128 offset1:160
	v_mov_b32_e32 v174, 0
	v_mov_b32_e32 v170, 0
	s_waitcnt lgkmcnt(2)
	v_dot4c_i32_i8_e32 v45, v10, v162
	v_dot4c_i32_i8_e32 v172, v6, v162
	;; [unrolled: 1-line block ×4, first 2 shown]
	s_waitcnt lgkmcnt(1)
	v_dot4c_i32_i8_e32 v45, v11, v166
	v_dot4c_i32_i8_e32 v172, v7, v166
	;; [unrolled: 1-line block ×28, first 2 shown]
	ds_read_b128 v[162:165], v3 offset:5120
	ds_read_b128 v[166:169], v3 offset:5136
	s_waitcnt lgkmcnt(2)
	v_pk_mul_f32 v[46:47], v[4:5], v[40:41] op_sel_hi:[0,1]
	s_waitcnt lgkmcnt(1)
	v_dot4c_i32_i8_e32 v170, v10, v162
	s_waitcnt lgkmcnt(0)
	v_dot4c_i32_i8_e32 v170, v11, v166
	v_dot4c_i32_i8_e32 v170, v20, v163
	;; [unrolled: 1-line block ×7, first 2 shown]
	s_nop 2
	v_cvt_f32_i32_e32 v171, v170
	v_cvt_f32_i32_e32 v170, v45
	v_mov_b32_e32 v45, 0
	v_dot4c_i32_i8_e32 v45, v6, v162
	v_dot4c_i32_i8_e32 v45, v7, v166
	v_dot4c_i32_i8_e32 v45, v14, v163
	v_dot4c_i32_i8_e32 v45, v15, v167
	v_dot4c_i32_i8_e32 v45, v22, v164
	v_dot4c_i32_i8_e32 v45, v23, v168
	v_dot4c_i32_i8_e32 v45, v32, v165
	v_dot4c_i32_i8_e32 v45, v33, v169
	v_pk_fma_f32 v[134:135], v[46:47], v[170:171], v[134:135]
	v_cvt_f32_i32_e32 v170, v172
	v_pk_mul_f32 v[46:47], v[0:1], v[40:41] op_sel_hi:[0,1]
	v_cvt_f32_i32_e32 v171, v45
	v_mov_b32_e32 v45, 0
	v_dot4c_i32_i8_e32 v45, v8, v162
	v_dot4c_i32_i8_e32 v45, v9, v166
	v_dot4c_i32_i8_e32 v45, v18, v163
	v_dot4c_i32_i8_e32 v45, v19, v167
	v_dot4c_i32_i8_e32 v45, v28, v164
	v_dot4c_i32_i8_e32 v45, v29, v168
	v_dot4c_i32_i8_e32 v45, v36, v165
	v_dot4c_i32_i8_e32 v45, v37, v169
	v_pk_fma_f32 v[140:141], v[46:47], v[170:171], v[140:141]
	v_cvt_f32_i32_e32 v170, v173
	v_pk_mul_f32 v[46:47], v[2:3], v[40:41] op_sel_hi:[0,1]
	;; [unrolled: 13-line block ×3, first 2 shown]
	v_cvt_f32_i32_e32 v47, v45
	v_mov_b32_e32 v45, 0
	v_mov_b32_e32 v170, 0
	;; [unrolled: 1-line block ×3, first 2 shown]
	v_pk_fma_f32 v[154:155], v[40:41], v[46:47], v[154:155]
	ds_read_b128 v[162:165], v3 offset:6144
	ds_read_b128 v[166:169], v3 offset:6160
	ds_read2_b32 v[40:41], v1 offset0:192 offset1:224
	v_mov_b32_e32 v46, 0
	v_mov_b32_e32 v47, 0
	s_waitcnt lgkmcnt(2)
	v_dot4c_i32_i8_e32 v45, v10, v162
	v_dot4c_i32_i8_e32 v46, v6, v162
	;; [unrolled: 1-line block ×4, first 2 shown]
	s_waitcnt lgkmcnt(1)
	v_dot4c_i32_i8_e32 v45, v11, v166
	v_dot4c_i32_i8_e32 v46, v7, v166
	;; [unrolled: 1-line block ×28, first 2 shown]
	ds_read_b128 v[162:165], v3 offset:7168
	ds_read_b128 v[166:169], v3 offset:7184
	s_waitcnt lgkmcnt(1)
	v_dot4c_i32_i8_e32 v171, v10, v162
	s_waitcnt lgkmcnt(0)
	v_dot4c_i32_i8_e32 v171, v11, v166
	v_pk_mul_f32 v[10:11], v[4:5], v[40:41] op_sel_hi:[0,1]
	v_mov_b32_e32 v4, 0
	v_dot4c_i32_i8_e32 v4, v6, v162
	v_dot4c_i32_i8_e32 v4, v7, v166
	v_pk_mul_f32 v[6:7], v[0:1], v[40:41] op_sel_hi:[0,1]
	v_mov_b32_e32 v0, 0
	v_dot4c_i32_i8_e32 v0, v8, v162
	v_dot4c_i32_i8_e32 v0, v9, v166
	;; [unrolled: 1-line block ×16, first 2 shown]
	v_cvt_f32_i32_e32 v20, v45
	v_cvt_f32_i32_e32 v21, v171
	v_dot4c_i32_i8_e32 v4, v22, v164
	v_cvt_f32_i32_e32 v9, v0
	v_mov_b32_e32 v0, 0
	v_dot4c_i32_i8_e32 v4, v23, v168
	v_dot4c_i32_i8_e32 v0, v16, v162
	;; [unrolled: 1-line block ×6, first 2 shown]
	v_pk_fma_f32 v[132:133], v[10:11], v[20:21], v[132:133]
	v_cvt_f32_i32_e32 v10, v46
	v_cvt_f32_i32_e32 v11, v4
	v_dot4c_i32_i8_e32 v0, v25, v167
	v_cvt_f32_i32_e32 v8, v47
	v_dot4c_i32_i8_e32 v0, v34, v164
	v_dot4c_i32_i8_e32 v0, v35, v168
	v_dot4c_i32_i8_e32 v0, v38, v165
	v_pk_fma_f32 v[136:137], v[6:7], v[10:11], v[136:137]
	v_pk_mul_f32 v[6:7], v[2:3], v[40:41] op_sel_hi:[0,1]
	v_dot4c_i32_i8_e32 v0, v39, v169
	v_pk_fma_f32 v[142:143], v[6:7], v[8:9], v[142:143]
	v_cvt_f32_i32_e32 v8, v170
	v_pk_mul_f32 v[6:7], v[12:13], v[40:41] op_sel_hi:[0,1]
	v_cvt_f32_i32_e32 v9, v0
	v_add_u32_e32 v13, 4, v13
	v_add_u32_e32 v5, 32, v5
	;; [unrolled: 1-line block ×3, first 2 shown]
	v_pk_fma_f32 v[148:149], v[6:7], v[8:9], v[148:149]
	v_add_u32_e32 v1, 4, v1
	s_cbranch_scc1 .LBB142_12
; %bb.13:                               ;   in Loop: Header=BB142_7 Depth=1
	s_barrier
	s_branch .LBB142_6
.LBB142_14:
	v_cvt_pk_f16_f32 v20, v130, v131
	v_cvt_pk_f16_f32 v19, v150, v151
	;; [unrolled: 1-line block ×16, first 2 shown]
	v_mov_b32_e32 v4, v53
	v_cmp_gt_u32_e32 vcc, s10, v55
	s_and_saveexec_b64 s[0:1], vcc
	s_cbranch_execz .LBB142_3
.LBB142_15:
	v_add_u32_e32 v5, s4, v49
	v_mul_lo_u32 v21, v55, s14
	v_cmp_gt_u32_e32 vcc, s14, v5
	s_and_saveexec_b64 s[0:1], vcc
	s_cbranch_execz .LBB142_17
; %bb.16:
	v_add_u32_e32 v6, v5, v21
	v_mov_b32_e32 v7, 0
	s_waitcnt lgkmcnt(0)
	v_lshl_add_u64 v[6:7], v[6:7], 1, s[12:13]
	global_store_short v[6:7], v20, off
.LBB142_17:
	s_or_b64 exec, exec, s[0:1]
	v_add_u32_e32 v6, 32, v5
	v_cmp_gt_u32_e64 s[0:1], s14, v6
	s_and_saveexec_b64 s[2:3], s[0:1]
	s_cbranch_execz .LBB142_19
; %bb.18:
	v_add_u32_e32 v22, v6, v21
	v_mov_b32_e32 v23, 0
	s_waitcnt lgkmcnt(0)
	v_lshl_add_u64 v[22:23], v[22:23], 1, s[12:13]
	global_store_short v[22:23], v19, off
.LBB142_19:
	s_or_b64 exec, exec, s[2:3]
	v_add_u32_e32 v7, 64, v5
	v_cmp_gt_u32_e64 s[2:3], s14, v7
	s_and_saveexec_b64 s[4:5], s[2:3]
	;; [unrolled: 12-line block ×3, first 2 shown]
	s_cbranch_execz .LBB142_23
; %bb.22:
	v_add_u32_e32 v22, v8, v21
	v_mov_b32_e32 v23, 0
	s_waitcnt lgkmcnt(0)
	v_lshl_add_u64 v[22:23], v[22:23], 1, s[12:13]
	global_store_short v[22:23], v17, off
.LBB142_23:
	s_or_b64 exec, exec, s[6:7]
	v_add3_u32 v21, v4, s15, 8
	v_cmp_gt_u32_e64 s[6:7], s10, v21
	s_and_b64 exec, exec, s[6:7]
	s_cbranch_execz .LBB142_3
; %bb.24:
	v_mul_lo_u32 v21, v21, s14
	s_and_saveexec_b64 s[6:7], vcc
	s_cbranch_execnz .LBB142_64
; %bb.25:
	s_or_b64 exec, exec, s[6:7]
	s_and_saveexec_b64 s[6:7], s[0:1]
	s_cbranch_execnz .LBB142_65
.LBB142_26:
	s_or_b64 exec, exec, s[6:7]
	s_and_saveexec_b64 s[6:7], s[2:3]
	s_cbranch_execnz .LBB142_66
.LBB142_27:
	s_or_b64 exec, exec, s[6:7]
	s_and_saveexec_b64 s[6:7], s[4:5]
	s_cbranch_execz .LBB142_29
.LBB142_28:
	v_add_u32_e32 v18, v21, v8
	v_mov_b32_e32 v19, 0
	s_waitcnt lgkmcnt(0)
	v_lshl_add_u64 v[18:19], v[18:19], 1, s[12:13]
	global_store_short_d16_hi v[18:19], v17, off
.LBB142_29:
	s_or_b64 exec, exec, s[6:7]
	v_add3_u32 v17, v4, s15, 16
	v_cmp_gt_u32_e64 s[6:7], s10, v17
	s_and_b64 exec, exec, s[6:7]
	s_cbranch_execz .LBB142_3
; %bb.30:
	v_mul_lo_u32 v17, v17, s14
	s_and_saveexec_b64 s[6:7], vcc
	s_cbranch_execnz .LBB142_67
; %bb.31:
	s_or_b64 exec, exec, s[6:7]
	s_and_saveexec_b64 s[6:7], s[0:1]
	s_cbranch_execnz .LBB142_68
.LBB142_32:
	s_or_b64 exec, exec, s[6:7]
	s_and_saveexec_b64 s[6:7], s[2:3]
	s_cbranch_execnz .LBB142_69
.LBB142_33:
	s_or_b64 exec, exec, s[6:7]
	s_and_saveexec_b64 s[6:7], s[4:5]
	s_cbranch_execz .LBB142_35
.LBB142_34:
	v_add_u32_e32 v18, v17, v8
	v_mov_b32_e32 v19, 0
	s_waitcnt lgkmcnt(0)
	v_lshl_add_u64 v[18:19], v[18:19], 1, s[12:13]
	global_store_short v[18:19], v13, off
.LBB142_35:
	s_or_b64 exec, exec, s[6:7]
	v_add3_u32 v17, v4, s15, 24
	v_cmp_gt_u32_e64 s[6:7], s10, v17
	s_and_b64 exec, exec, s[6:7]
	s_cbranch_execz .LBB142_3
; %bb.36:
	v_mul_lo_u32 v17, v17, s14
	s_and_saveexec_b64 s[6:7], vcc
	s_cbranch_execnz .LBB142_70
; %bb.37:
	s_or_b64 exec, exec, s[6:7]
	s_and_saveexec_b64 s[6:7], s[0:1]
	s_cbranch_execnz .LBB142_71
.LBB142_38:
	s_or_b64 exec, exec, s[6:7]
	s_and_saveexec_b64 s[6:7], s[2:3]
	s_cbranch_execnz .LBB142_72
.LBB142_39:
	s_or_b64 exec, exec, s[6:7]
	s_and_saveexec_b64 s[6:7], s[4:5]
	s_cbranch_execz .LBB142_41
.LBB142_40:
	v_add_u32_e32 v14, v17, v8
	v_mov_b32_e32 v15, 0
	s_waitcnt lgkmcnt(0)
	v_lshl_add_u64 v[14:15], v[14:15], 1, s[12:13]
	global_store_short_d16_hi v[14:15], v13, off
.LBB142_41:
	s_or_b64 exec, exec, s[6:7]
	v_add3_u32 v13, v4, s15, 32
	v_cmp_gt_u32_e64 s[6:7], s10, v13
	s_and_b64 exec, exec, s[6:7]
	s_cbranch_execz .LBB142_3
; %bb.42:
	v_mul_lo_u32 v13, v13, s14
	s_and_saveexec_b64 s[6:7], vcc
	s_cbranch_execnz .LBB142_73
; %bb.43:
	s_or_b64 exec, exec, s[6:7]
	s_and_saveexec_b64 s[6:7], s[0:1]
	s_cbranch_execnz .LBB142_74
.LBB142_44:
	s_or_b64 exec, exec, s[6:7]
	s_and_saveexec_b64 s[6:7], s[2:3]
	s_cbranch_execnz .LBB142_75
.LBB142_45:
	s_or_b64 exec, exec, s[6:7]
	s_and_saveexec_b64 s[6:7], s[4:5]
	s_cbranch_execz .LBB142_47
.LBB142_46:
	v_add_u32_e32 v14, v13, v8
	v_mov_b32_e32 v15, 0
	s_waitcnt lgkmcnt(0)
	v_lshl_add_u64 v[14:15], v[14:15], 1, s[12:13]
	global_store_short v[14:15], v9, off
.LBB142_47:
	s_or_b64 exec, exec, s[6:7]
	v_add3_u32 v13, v4, s15, 40
	v_cmp_gt_u32_e64 s[6:7], s10, v13
	s_and_b64 exec, exec, s[6:7]
	s_cbranch_execz .LBB142_3
; %bb.48:
	v_mul_lo_u32 v13, v13, s14
	s_and_saveexec_b64 s[6:7], vcc
	s_cbranch_execnz .LBB142_76
; %bb.49:
	s_or_b64 exec, exec, s[6:7]
	s_and_saveexec_b64 s[6:7], s[0:1]
	s_cbranch_execnz .LBB142_77
.LBB142_50:
	s_or_b64 exec, exec, s[6:7]
	s_and_saveexec_b64 s[6:7], s[2:3]
	s_cbranch_execnz .LBB142_78
.LBB142_51:
	s_or_b64 exec, exec, s[6:7]
	s_and_saveexec_b64 s[6:7], s[4:5]
	s_cbranch_execz .LBB142_53
.LBB142_52:
	v_add_u32_e32 v10, v13, v8
	v_mov_b32_e32 v11, 0
	s_waitcnt lgkmcnt(0)
	v_lshl_add_u64 v[10:11], v[10:11], 1, s[12:13]
	global_store_short_d16_hi v[10:11], v9, off
.LBB142_53:
	s_or_b64 exec, exec, s[6:7]
	v_add3_u32 v9, v4, s15, 48
	v_cmp_gt_u32_e64 s[6:7], s10, v9
	s_and_b64 exec, exec, s[6:7]
	s_cbranch_execz .LBB142_3
; %bb.54:
	v_mul_lo_u32 v9, v9, s14
	s_and_saveexec_b64 s[6:7], vcc
	s_cbranch_execnz .LBB142_79
; %bb.55:
	s_or_b64 exec, exec, s[6:7]
	s_and_saveexec_b64 s[6:7], s[0:1]
	s_cbranch_execnz .LBB142_80
.LBB142_56:
	s_or_b64 exec, exec, s[6:7]
	s_and_saveexec_b64 s[6:7], s[2:3]
	s_cbranch_execnz .LBB142_81
.LBB142_57:
	s_or_b64 exec, exec, s[6:7]
	s_and_saveexec_b64 s[6:7], s[4:5]
	s_cbranch_execz .LBB142_59
.LBB142_58:
	v_add_u32_e32 v10, v9, v8
	v_mov_b32_e32 v11, 0
	s_waitcnt lgkmcnt(0)
	v_lshl_add_u64 v[10:11], v[10:11], 1, s[12:13]
	global_store_short v[10:11], v0, off
.LBB142_59:
	s_or_b64 exec, exec, s[6:7]
	v_add3_u32 v4, v4, s15, 56
	v_cmp_gt_u32_e64 s[6:7], s10, v4
	s_and_b64 exec, exec, s[6:7]
	s_cbranch_execz .LBB142_3
; %bb.60:
	v_mul_lo_u32 v4, v4, s14
	s_and_saveexec_b64 s[6:7], vcc
	s_cbranch_execnz .LBB142_82
; %bb.61:
	s_or_b64 exec, exec, s[6:7]
	s_and_saveexec_b64 s[6:7], s[0:1]
	s_cbranch_execnz .LBB142_83
.LBB142_62:
	s_or_b64 exec, exec, s[6:7]
	s_and_saveexec_b64 s[0:1], s[2:3]
	s_cbranch_execnz .LBB142_84
.LBB142_63:
	s_or_b64 exec, exec, s[0:1]
	s_and_b64 exec, exec, s[4:5]
	s_cbranch_execz .LBB142_3
	s_branch .LBB142_85
.LBB142_64:
	v_add_u32_e32 v22, v21, v5
	v_mov_b32_e32 v23, 0
	s_waitcnt lgkmcnt(0)
	v_lshl_add_u64 v[22:23], v[22:23], 1, s[12:13]
	global_store_short_d16_hi v[22:23], v20, off
	s_or_b64 exec, exec, s[6:7]
	s_and_saveexec_b64 s[6:7], s[0:1]
	s_cbranch_execz .LBB142_26
.LBB142_65:
	v_add_u32_e32 v22, v21, v6
	v_mov_b32_e32 v23, 0
	s_waitcnt lgkmcnt(0)
	v_lshl_add_u64 v[22:23], v[22:23], 1, s[12:13]
	global_store_short_d16_hi v[22:23], v19, off
	s_or_b64 exec, exec, s[6:7]
	s_and_saveexec_b64 s[6:7], s[2:3]
	s_cbranch_execz .LBB142_27
.LBB142_66:
	v_add_u32_e32 v22, v21, v7
	v_mov_b32_e32 v23, 0
	s_waitcnt lgkmcnt(0)
	v_lshl_add_u64 v[22:23], v[22:23], 1, s[12:13]
	global_store_short_d16_hi v[22:23], v18, off
	s_or_b64 exec, exec, s[6:7]
	s_and_saveexec_b64 s[6:7], s[4:5]
	s_cbranch_execnz .LBB142_28
	s_branch .LBB142_29
.LBB142_67:
	v_add_u32_e32 v18, v17, v5
	v_mov_b32_e32 v19, 0
	s_waitcnt lgkmcnt(0)
	v_lshl_add_u64 v[18:19], v[18:19], 1, s[12:13]
	global_store_short v[18:19], v16, off
	s_or_b64 exec, exec, s[6:7]
	s_and_saveexec_b64 s[6:7], s[0:1]
	s_cbranch_execz .LBB142_32
.LBB142_68:
	v_add_u32_e32 v18, v17, v6
	v_mov_b32_e32 v19, 0
	s_waitcnt lgkmcnt(0)
	v_lshl_add_u64 v[18:19], v[18:19], 1, s[12:13]
	global_store_short v[18:19], v15, off
	s_or_b64 exec, exec, s[6:7]
	s_and_saveexec_b64 s[6:7], s[2:3]
	s_cbranch_execz .LBB142_33
.LBB142_69:
	v_add_u32_e32 v18, v17, v7
	v_mov_b32_e32 v19, 0
	s_waitcnt lgkmcnt(0)
	v_lshl_add_u64 v[18:19], v[18:19], 1, s[12:13]
	global_store_short v[18:19], v14, off
	s_or_b64 exec, exec, s[6:7]
	s_and_saveexec_b64 s[6:7], s[4:5]
	s_cbranch_execnz .LBB142_34
	s_branch .LBB142_35
.LBB142_70:
	v_add_u32_e32 v18, v17, v5
	v_mov_b32_e32 v19, 0
	s_waitcnt lgkmcnt(0)
	v_lshl_add_u64 v[18:19], v[18:19], 1, s[12:13]
	global_store_short_d16_hi v[18:19], v16, off
	s_or_b64 exec, exec, s[6:7]
	s_and_saveexec_b64 s[6:7], s[0:1]
	s_cbranch_execz .LBB142_38
.LBB142_71:
	v_add_u32_e32 v18, v17, v6
	v_mov_b32_e32 v19, 0
	s_waitcnt lgkmcnt(0)
	v_lshl_add_u64 v[18:19], v[18:19], 1, s[12:13]
	global_store_short_d16_hi v[18:19], v15, off
	s_or_b64 exec, exec, s[6:7]
	s_and_saveexec_b64 s[6:7], s[2:3]
	s_cbranch_execz .LBB142_39
.LBB142_72:
	v_add_u32_e32 v18, v17, v7
	v_mov_b32_e32 v19, 0
	s_waitcnt lgkmcnt(0)
	v_lshl_add_u64 v[18:19], v[18:19], 1, s[12:13]
	global_store_short_d16_hi v[18:19], v14, off
	s_or_b64 exec, exec, s[6:7]
	s_and_saveexec_b64 s[6:7], s[4:5]
	s_cbranch_execnz .LBB142_40
	s_branch .LBB142_41
.LBB142_73:
	v_add_u32_e32 v14, v13, v5
	v_mov_b32_e32 v15, 0
	s_waitcnt lgkmcnt(0)
	v_lshl_add_u64 v[14:15], v[14:15], 1, s[12:13]
	global_store_short v[14:15], v12, off
	s_or_b64 exec, exec, s[6:7]
	s_and_saveexec_b64 s[6:7], s[0:1]
	s_cbranch_execz .LBB142_44
.LBB142_74:
	v_add_u32_e32 v14, v13, v6
	v_mov_b32_e32 v15, 0
	s_waitcnt lgkmcnt(0)
	v_lshl_add_u64 v[14:15], v[14:15], 1, s[12:13]
	global_store_short v[14:15], v11, off
	s_or_b64 exec, exec, s[6:7]
	s_and_saveexec_b64 s[6:7], s[2:3]
	s_cbranch_execz .LBB142_45
.LBB142_75:
	v_add_u32_e32 v14, v13, v7
	v_mov_b32_e32 v15, 0
	s_waitcnt lgkmcnt(0)
	v_lshl_add_u64 v[14:15], v[14:15], 1, s[12:13]
	global_store_short v[14:15], v10, off
	s_or_b64 exec, exec, s[6:7]
	s_and_saveexec_b64 s[6:7], s[4:5]
	s_cbranch_execnz .LBB142_46
	s_branch .LBB142_47
.LBB142_76:
	v_add_u32_e32 v14, v13, v5
	v_mov_b32_e32 v15, 0
	s_waitcnt lgkmcnt(0)
	v_lshl_add_u64 v[14:15], v[14:15], 1, s[12:13]
	global_store_short_d16_hi v[14:15], v12, off
	s_or_b64 exec, exec, s[6:7]
	s_and_saveexec_b64 s[6:7], s[0:1]
	s_cbranch_execz .LBB142_50
.LBB142_77:
	v_add_u32_e32 v14, v13, v6
	v_mov_b32_e32 v15, 0
	s_waitcnt lgkmcnt(0)
	v_lshl_add_u64 v[14:15], v[14:15], 1, s[12:13]
	global_store_short_d16_hi v[14:15], v11, off
	s_or_b64 exec, exec, s[6:7]
	s_and_saveexec_b64 s[6:7], s[2:3]
	s_cbranch_execz .LBB142_51
.LBB142_78:
	v_add_u32_e32 v14, v13, v7
	v_mov_b32_e32 v15, 0
	s_waitcnt lgkmcnt(0)
	v_lshl_add_u64 v[14:15], v[14:15], 1, s[12:13]
	global_store_short_d16_hi v[14:15], v10, off
	s_or_b64 exec, exec, s[6:7]
	s_and_saveexec_b64 s[6:7], s[4:5]
	s_cbranch_execnz .LBB142_52
	s_branch .LBB142_53
.LBB142_79:
	v_add_u32_e32 v10, v9, v5
	v_mov_b32_e32 v11, 0
	s_waitcnt lgkmcnt(0)
	v_lshl_add_u64 v[10:11], v[10:11], 1, s[12:13]
	global_store_short v[10:11], v3, off
	s_or_b64 exec, exec, s[6:7]
	s_and_saveexec_b64 s[6:7], s[0:1]
	s_cbranch_execz .LBB142_56
.LBB142_80:
	v_add_u32_e32 v10, v9, v6
	v_mov_b32_e32 v11, 0
	s_waitcnt lgkmcnt(0)
	v_lshl_add_u64 v[10:11], v[10:11], 1, s[12:13]
	global_store_short v[10:11], v2, off
	s_or_b64 exec, exec, s[6:7]
	s_and_saveexec_b64 s[6:7], s[2:3]
	s_cbranch_execz .LBB142_57
.LBB142_81:
	v_add_u32_e32 v10, v9, v7
	v_mov_b32_e32 v11, 0
	s_waitcnt lgkmcnt(0)
	v_lshl_add_u64 v[10:11], v[10:11], 1, s[12:13]
	global_store_short v[10:11], v1, off
	s_or_b64 exec, exec, s[6:7]
	s_and_saveexec_b64 s[6:7], s[4:5]
	s_cbranch_execnz .LBB142_58
	s_branch .LBB142_59
.LBB142_82:
	v_add_u32_e32 v10, v4, v5
	v_mov_b32_e32 v11, 0
	s_waitcnt lgkmcnt(0)
	v_lshl_add_u64 v[10:11], v[10:11], 1, s[12:13]
	global_store_short_d16_hi v[10:11], v3, off
	s_or_b64 exec, exec, s[6:7]
	s_and_saveexec_b64 s[6:7], s[0:1]
	s_cbranch_execz .LBB142_62
.LBB142_83:
	v_add_u32_e32 v10, v4, v6
	v_mov_b32_e32 v11, 0
	s_waitcnt lgkmcnt(0)
	v_lshl_add_u64 v[10:11], v[10:11], 1, s[12:13]
	global_store_short_d16_hi v[10:11], v2, off
	s_or_b64 exec, exec, s[6:7]
	s_and_saveexec_b64 s[0:1], s[2:3]
	s_cbranch_execz .LBB142_63
.LBB142_84:
	v_add_u32_e32 v2, v4, v7
	v_mov_b32_e32 v3, 0
	s_waitcnt lgkmcnt(0)
	v_lshl_add_u64 v[2:3], v[2:3], 1, s[12:13]
	global_store_short_d16_hi v[2:3], v1, off
	s_or_b64 exec, exec, s[0:1]
	s_and_b64 exec, exec, s[4:5]
	s_cbranch_execz .LBB142_3
.LBB142_85:
	v_add_u32_e32 v2, v4, v8
	v_mov_b32_e32 v3, 0
	s_waitcnt lgkmcnt(0)
	v_lshl_add_u64 v[2:3], v[2:3], 1, s[12:13]
	global_store_short_d16_hi v[2:3], v0, off
	s_endpgm
	.section	.rodata,"a",@progbits
	.p2align	6, 0x0
	.amdhsa_kernel _ZL12mul_mat_q5_0IN3c104HalfELb1EEvPKvS3_PT_iiiii
		.amdhsa_group_segment_fixed_size 46720
		.amdhsa_private_segment_fixed_size 0
		.amdhsa_kernarg_size 44
		.amdhsa_user_sgpr_count 2
		.amdhsa_user_sgpr_dispatch_ptr 0
		.amdhsa_user_sgpr_queue_ptr 0
		.amdhsa_user_sgpr_kernarg_segment_ptr 1
		.amdhsa_user_sgpr_dispatch_id 0
		.amdhsa_user_sgpr_kernarg_preload_length 0
		.amdhsa_user_sgpr_kernarg_preload_offset 0
		.amdhsa_user_sgpr_private_segment_size 0
		.amdhsa_uses_dynamic_stack 0
		.amdhsa_enable_private_segment 0
		.amdhsa_system_sgpr_workgroup_id_x 1
		.amdhsa_system_sgpr_workgroup_id_y 1
		.amdhsa_system_sgpr_workgroup_id_z 0
		.amdhsa_system_sgpr_workgroup_info 0
		.amdhsa_system_vgpr_workitem_id 1
		.amdhsa_next_free_vgpr 247
		.amdhsa_next_free_sgpr 96
		.amdhsa_accum_offset 248
		.amdhsa_reserve_vcc 1
		.amdhsa_float_round_mode_32 0
		.amdhsa_float_round_mode_16_64 0
		.amdhsa_float_denorm_mode_32 3
		.amdhsa_float_denorm_mode_16_64 3
		.amdhsa_dx10_clamp 1
		.amdhsa_ieee_mode 1
		.amdhsa_fp16_overflow 0
		.amdhsa_tg_split 0
		.amdhsa_exception_fp_ieee_invalid_op 0
		.amdhsa_exception_fp_denorm_src 0
		.amdhsa_exception_fp_ieee_div_zero 0
		.amdhsa_exception_fp_ieee_overflow 0
		.amdhsa_exception_fp_ieee_underflow 0
		.amdhsa_exception_fp_ieee_inexact 0
		.amdhsa_exception_int_div_zero 0
	.end_amdhsa_kernel
	.section	.text._ZL12mul_mat_q5_0IN3c104HalfELb1EEvPKvS3_PT_iiiii,"axG",@progbits,_ZL12mul_mat_q5_0IN3c104HalfELb1EEvPKvS3_PT_iiiii,comdat
.Lfunc_end142:
	.size	_ZL12mul_mat_q5_0IN3c104HalfELb1EEvPKvS3_PT_iiiii, .Lfunc_end142-_ZL12mul_mat_q5_0IN3c104HalfELb1EEvPKvS3_PT_iiiii
                                        ; -- End function
	.set _ZL12mul_mat_q5_0IN3c104HalfELb1EEvPKvS3_PT_iiiii.num_vgpr, 247
	.set _ZL12mul_mat_q5_0IN3c104HalfELb1EEvPKvS3_PT_iiiii.num_agpr, 0
	.set _ZL12mul_mat_q5_0IN3c104HalfELb1EEvPKvS3_PT_iiiii.numbered_sgpr, 20
	.set _ZL12mul_mat_q5_0IN3c104HalfELb1EEvPKvS3_PT_iiiii.num_named_barrier, 0
	.set _ZL12mul_mat_q5_0IN3c104HalfELb1EEvPKvS3_PT_iiiii.private_seg_size, 0
	.set _ZL12mul_mat_q5_0IN3c104HalfELb1EEvPKvS3_PT_iiiii.uses_vcc, 1
	.set _ZL12mul_mat_q5_0IN3c104HalfELb1EEvPKvS3_PT_iiiii.uses_flat_scratch, 0
	.set _ZL12mul_mat_q5_0IN3c104HalfELb1EEvPKvS3_PT_iiiii.has_dyn_sized_stack, 0
	.set _ZL12mul_mat_q5_0IN3c104HalfELb1EEvPKvS3_PT_iiiii.has_recursion, 0
	.set _ZL12mul_mat_q5_0IN3c104HalfELb1EEvPKvS3_PT_iiiii.has_indirect_call, 0
	.section	.AMDGPU.csdata,"",@progbits
; Kernel info:
; codeLenInByte = 14272
; TotalNumSgprs: 26
; NumVgprs: 247
; NumAgprs: 0
; TotalNumVgprs: 247
; ScratchSize: 0
; MemoryBound: 0
; FloatMode: 240
; IeeeMode: 1
; LDSByteSize: 46720 bytes/workgroup (compile time only)
; SGPRBlocks: 12
; VGPRBlocks: 30
; NumSGPRsForWavesPerEU: 102
; NumVGPRsForWavesPerEU: 247
; AccumOffset: 248
; Occupancy: 2
; WaveLimiterHint : 0
; COMPUTE_PGM_RSRC2:SCRATCH_EN: 0
; COMPUTE_PGM_RSRC2:USER_SGPR: 2
; COMPUTE_PGM_RSRC2:TRAP_HANDLER: 0
; COMPUTE_PGM_RSRC2:TGID_X_EN: 1
; COMPUTE_PGM_RSRC2:TGID_Y_EN: 1
; COMPUTE_PGM_RSRC2:TGID_Z_EN: 0
; COMPUTE_PGM_RSRC2:TIDIG_COMP_CNT: 1
; COMPUTE_PGM_RSRC3_GFX90A:ACCUM_OFFSET: 61
; COMPUTE_PGM_RSRC3_GFX90A:TG_SPLIT: 0
	.section	.text._ZL12mul_mat_q5_1IN3c104HalfELb0EEvPKvS3_PT_iiiii,"axG",@progbits,_ZL12mul_mat_q5_1IN3c104HalfELb0EEvPKvS3_PT_iiiii,comdat
	.globl	_ZL12mul_mat_q5_1IN3c104HalfELb0EEvPKvS3_PT_iiiii ; -- Begin function _ZL12mul_mat_q5_1IN3c104HalfELb0EEvPKvS3_PT_iiiii
	.p2align	8
	.type	_ZL12mul_mat_q5_1IN3c104HalfELb0EEvPKvS3_PT_iiiii,@function
_ZL12mul_mat_q5_1IN3c104HalfELb0EEvPKvS3_PT_iiiii: ; @_ZL12mul_mat_q5_1IN3c104HalfELb0EEvPKvS3_PT_iiiii
; %bb.0:
	s_load_dword s6, s[0:1], 0x18
	s_load_dwordx4 s[8:11], s[0:1], 0x20
	s_waitcnt lgkmcnt(0)
	s_lshl_b32 s11, s3, 6
	v_bfe_u32 v57, v0, 10, 10
	s_cmp_gt_i32 s6, 31
	s_cbranch_scc1 .LBB143_4
; %bb.1:
	v_bfe_u32 v4, v0, 10, 10
	v_and_b32_e32 v53, 0x3ff, v0
	v_add_u32_e32 v59, s11, v4
	s_load_dwordx2 s[12:13], s[0:1], 0x10
	s_lshl_b32 s4, s2, 7
	s_cbranch_execz .LBB143_5
; %bb.2:
	v_mov_b32_e32 v0, 0
	v_mov_b32_e32 v9, 0
	;; [unrolled: 1-line block ×16, first 2 shown]
	v_cmp_gt_u32_e32 vcc, s8, v59
	s_and_saveexec_b64 s[0:1], vcc
	s_cbranch_execnz .LBB143_15
.LBB143_3:
	s_endpgm
.LBB143_4:
                                        ; implicit-def: $vgpr4
                                        ; implicit-def: $vgpr53
                                        ; implicit-def: $vgpr59
	s_load_dwordx2 s[12:13], s[0:1], 0x10
	s_lshl_b32 s4, s2, 7
.LBB143_5:
	s_ashr_i32 s5, s6, 31
	s_lshr_b32 s5, s5, 27
	s_load_dwordx4 s[0:3], s[0:1], 0x0
	s_add_i32 s14, s6, s5
	s_ashr_i32 s6, s9, 31
	s_lshr_b32 s6, s6, 27
	s_ashr_i32 s5, s14, 5
	s_add_i32 s6, s9, s6
	s_ashr_i32 s15, s6, 5
	s_mul_i32 s6, s5, s4
	s_mul_hi_i32 s7, s6, 24
	s_mul_i32 s6, s6, 24
	s_waitcnt lgkmcnt(0)
	s_add_u32 s6, s0, s6
	s_addc_u32 s7, s1, s7
	v_mul_lo_u32 v56, s5, v57
	s_lshl_b32 s0, s5, 3
	v_add_u32_e32 v58, s0, v56
	v_add_u32_e32 v60, s0, v58
	;; [unrolled: 1-line block ×11, first 2 shown]
	v_and_b32_e32 v53, 0x3ff, v0
	v_add_u32_e32 v80, s0, v78
	v_lshlrev_b32_e32 v1, 3, v53
	s_movk_i32 s16, 0x104
	v_add_u32_e32 v82, s0, v80
	v_bfe_u32 v93, v0, 3, 7
	v_mad_u32_u24 v61, v57, s16, v1
	v_add_u32_e32 v84, s0, v82
	v_and_b32_e32 v88, 7, v0
	v_lshl_add_u32 v1, v57, 2, v93
	v_add_u32_e32 v86, s0, v84
	v_and_b32_e32 v3, 0x7fc, v1
	v_lshlrev_b32_e32 v4, 2, v88
	s_mov_b32 s0, 0xa200
	v_add3_u32 v8, v3, v4, s0
	v_add_u32_e32 v3, 32, v1
	v_mul_lo_u32 v90, s5, v1
	v_lshlrev_b32_e32 v9, 5, v1
	v_and_b32_e32 v5, 0xffc, v3
	v_lshlrev_b32_e32 v11, 5, v3
	v_add_u32_e32 v3, 64, v1
	v_add_u32_e32 v1, 0x60, v1
	v_add3_u32 v10, v5, v4, s0
	v_and_b32_e32 v5, 0xffc, v3
	v_lshlrev_b32_e32 v13, 5, v3
	v_and_b32_e32 v3, 0xffc, v1
	v_bfe_u32 v52, v0, 2, 8
	v_add3_u32 v14, v3, v4, s0
	v_and_b32_e32 v3, 31, v0
	v_mov_b32_e32 v15, 0x8200
	v_lshl_or_b32 v15, v3, 2, v15
	v_lshl_add_u32 v3, v57, 3, v52
	v_and_b32_e32 v3, 63, v3
	v_and_b32_e32 v2, 3, v0
	v_add3_u32 v12, v5, v4, s0
	s_add_i32 s0, s8, -1
	v_or_b32_e32 v16, s11, v3
	v_lshlrev_b32_e32 v54, 2, v2
	v_min_i32_e32 v16, s0, v16
	v_add_u32_e32 v59, s11, v57
	v_cvt_f64_i32_e32 v[4:5], s0
	v_mad_u64_u32 v[98:99], s[0:1], v16, s15, v[2:3]
	v_lshl_or_b32 v2, v3, 4, v54
	v_add_u32_e32 v95, 0xb280, v2
	v_cvt_f64_u32_e32 v[2:3], v59
	v_min_f64 v[2:3], v[2:3], v[4:5]
	v_cvt_i32_f64_e32 v2, v[2:3]
	v_mul_lo_u32 v97, s15, v2
	v_add_u32_e32 v2, 8, v59
	v_cvt_f64_u32_e32 v[2:3], v2
	v_min_f64 v[2:3], v[2:3], v[4:5]
	v_cvt_i32_f64_e32 v2, v[2:3]
	v_mul_lo_u32 v99, s15, v2
	;; [unrolled: 5-line block ×7, first 2 shown]
	v_add_u32_e32 v2, 56, v59
	v_mov_b32_e32 v55, 0
	v_lshlrev_b32_e32 v6, 2, v53
	v_cvt_f64_u32_e32 v[2:3], v2
	v_and_b32_e32 v6, 28, v6
	v_mov_b32_e32 v7, v55
	v_min_f64 v[2:3], v[2:3], v[4:5]
	s_andn2_b32 s14, s14, 31
	v_cvt_i32_f64_e32 v2, v[2:3]
	v_add_u32_e32 v3, 32, v53
	v_add_u32_e32 v4, 64, v53
	;; [unrolled: 1-line block ×3, first 2 shown]
	v_lshl_add_u64 v[100:101], s[2:3], 0, v[6:7]
	v_lshlrev_b32_e32 v6, 5, v53
	v_and_b32_e32 v0, 0xfc, v0
	v_add_u32_e32 v92, s14, v90
	v_lshlrev_b32_e32 v16, 7, v57
	v_lshrrev_b32_e32 v179, 3, v3
	v_and_b32_e32 v5, 0x1fc, v5
	v_and_b32_e32 v4, 0x1fc, v4
	;; [unrolled: 1-line block ×3, first 2 shown]
	v_add_u32_e32 v0, v6, v0
	v_add_u32_e32 v94, s14, v92
	v_lshlrev_b32_e32 v1, 5, v1
	v_add_u32_e32 v17, 0x400, v16
	v_add_u32_e32 v18, 0x800, v16
	;; [unrolled: 1-line block ×6, first 2 shown]
	v_mul_lo_u32 v177, s15, v2
	v_add_u32_e32 v2, 0x1c00, v16
	v_add_u32_e32 v5, v6, v5
	;; [unrolled: 1-line block ×5, first 2 shown]
	v_mov_b32_e32 v6, 0xb280
	v_add_u32_e32 v189, 0xa210, v0
	v_mov_b32_e32 v0, 0x80
	v_mov_b32_e32 v102, v55
	;; [unrolled: 1-line block ×3, first 2 shown]
	v_add_u32_e32 v63, 0x820, v61
	v_add_u32_e32 v65, 0x1040, v61
	;; [unrolled: 1-line block ×16, first 2 shown]
	s_add_i32 s9, s5, 3
	v_mul_u32_u24_e32 v178, 0x104, v53
	v_add_u32_e32 v180, 0xae00, v5
	v_add_u32_e32 v181, 0xaa00, v4
	v_add_u32_e32 v182, 0xa600, v3
	v_lshl_add_u32 v184, v57, 4, v6
	v_add_u32_e32 v185, 0x8200, v16
	v_add_u32_e32 v186, 0xae10, v5
	;; [unrolled: 1-line block ×4, first 2 shown]
	v_mad_u32_u24 v190, v53, s16, v0
	s_mov_b32 s14, 0
	v_add_u32_e32 v191, v8, v9
	v_add_u32_e32 v192, v10, v11
	;; [unrolled: 1-line block ×12, first 2 shown]
	v_mov_b64_e32 v[110:111], v[102:103]
	v_mov_b64_e32 v[106:107], v[102:103]
	;; [unrolled: 1-line block ×15, first 2 shown]
	s_branch .LBB143_7
.LBB143_6:                              ;   in Loop: Header=BB143_7 Depth=1
	s_add_i32 s14, s14, 8
	s_add_i32 s9, s9, -8
	s_cmp_ge_i32 s14, s5
	s_cbranch_scc1 .LBB143_14
.LBB143_7:                              ; =>This Loop Header: Depth=1
                                        ;     Child Loop BB143_9 Depth 2
                                        ;     Child Loop BB143_12 Depth 2
	s_mul_i32 s0, s14, 24
	s_mul_hi_u32 s1, s14, 24
	s_add_u32 s0, s6, s0
	s_addc_u32 s1, s7, s1
	v_mad_u64_u32 v[0:1], s[16:17], v52, 24, s[0:1]
	v_mad_u64_u32 v[2:3], s[16:17], v56, 24, v[0:1]
	;; [unrolled: 1-line block ×3, first 2 shown]
	v_lshl_add_u64 v[4:5], v[2:3], 0, v[54:55]
	v_mad_u64_u32 v[6:7], s[16:17], v58, 24, v[0:1]
	v_mad_u64_u32 v[8:9], s[16:17], v60, 24, v[0:1]
	global_load_dword v18, v[10:11], off offset:4
	global_load_dword v19, v[8:9], off offset:4
	;; [unrolled: 1-line block ×5, first 2 shown]
	v_lshl_add_u64 v[2:3], v[6:7], 0, v[54:55]
	global_load_dword v23, v[2:3], off offset:8
	v_lshl_add_u64 v[2:3], v[8:9], 0, v[54:55]
	v_lshl_add_u64 v[4:5], v[10:11], 0, v[54:55]
	global_load_dword v24, v[2:3], off offset:8
	global_load_dword v25, v[4:5], off offset:8
	v_mad_u64_u32 v[2:3], s[16:17], v64, 24, v[0:1]
	v_mad_u64_u32 v[4:5], s[16:17], v66, 24, v[0:1]
	;; [unrolled: 1-line block ×4, first 2 shown]
	v_lshl_add_u64 v[10:11], v[2:3], 0, v[54:55]
	v_lshl_add_u64 v[12:13], v[4:5], 0, v[54:55]
	v_lshl_add_u64 v[14:15], v[6:7], 0, v[54:55]
	v_lshl_add_u64 v[16:17], v[8:9], 0, v[54:55]
	global_load_dword v10, v[10:11], off offset:8
	s_nop 0
	global_load_dword v11, v[12:13], off offset:8
	global_load_dword v26, v[14:15], off offset:8
	;; [unrolled: 1-line block ×5, first 2 shown]
	s_nop 0
	global_load_dword v4, v[4:5], off offset:4
	s_nop 0
	global_load_dword v2, v[2:3], off offset:4
	s_cmp_gt_u32 s9, 3
	s_waitcnt vmcnt(13)
	v_ashrrev_i32_e32 v7, v54, v20
	s_waitcnt vmcnt(12)
	v_ashrrev_i32_e32 v3, v54, v21
	s_waitcnt vmcnt(11)
	v_lshrrev_b32_e32 v5, 4, v22
	v_lshlrev_b32_e32 v12, 4, v3
	v_lshrrev_b32_e32 v14, 12, v3
	v_and_b32_e32 v6, 0xf0f0f0f, v22
	v_lshlrev_b32_e32 v13, 11, v3
	v_lshrrev_b32_e32 v15, 5, v3
	v_and_b32_e32 v5, 0xf0f0f0f, v5
	v_and_b32_e32 v14, 16, v14
	;; [unrolled: 1-line block ×3, first 2 shown]
	v_lshlrev_b32_e32 v16, 2, v3
	v_lshlrev_b32_e32 v17, 18, v3
	v_and_b32_e32 v15, 0x1000, v15
	v_and_b32_e32 v13, 0x1000, v13
	v_or_b32_e32 v5, v14, v5
	v_or_b32_e32 v6, v12, v6
	s_waitcnt vmcnt(10)
	v_lshrrev_b32_e32 v8, 4, v23
	v_and_b32_e32 v9, 0xf0f0f0f, v23
	v_lshlrev_b32_e32 v20, 9, v3
	v_lshlrev_b32_e32 v3, 25, v3
	v_lshlrev_b32_e32 v21, 4, v7
	v_lshrrev_b32_e32 v23, 12, v7
	v_and_b32_e32 v16, 0x100000, v16
	v_and_b32_e32 v17, 0x100000, v17
	v_or_b32_e32 v5, v5, v15
	v_or_b32_e32 v6, v6, v13
	v_lshlrev_b32_e32 v22, 11, v7
	v_lshrrev_b32_e32 v30, 5, v7
	v_and_b32_e32 v8, 0xf0f0f0f, v8
	v_and_b32_e32 v20, 0x10000000, v20
	;; [unrolled: 1-line block ×5, first 2 shown]
	v_or_b32_e32 v5, v5, v16
	v_or_b32_e32 v6, v6, v17
	v_lshlrev_b32_e32 v31, 2, v7
	v_lshlrev_b32_e32 v32, 18, v7
	v_and_b32_e32 v30, 0x1000, v30
	v_and_b32_e32 v22, 0x1000, v22
	v_or_b32_e32 v8, v23, v8
	v_or_b32_e32 v9, v21, v9
	;; [unrolled: 1-line block ×4, first 2 shown]
	v_and_b32_e32 v31, 0x100000, v31
	v_or_b32_e32 v8, v8, v30
	v_or_b32_e32 v9, v9, v22
	ds_write2_b32 v61, v3, v5 offset1:1
	v_and_b32_e32 v3, 0x100000, v32
	v_lshlrev_b32_e32 v6, 9, v7
	v_lshlrev_b32_e32 v7, 25, v7
	v_or_b32_e32 v5, v8, v31
	v_or_b32_e32 v3, v9, v3
	v_and_b32_e32 v6, 0x10000000, v6
	v_and_b32_e32 v7, 0x10000000, v7
	v_or_b32_e32 v5, v5, v6
	v_or_b32_e32 v3, v3, v7
	ds_write2_b32 v63, v3, v5 offset1:1
	v_ashrrev_i32_e32 v3, v54, v19
	v_lshlrev_b32_e32 v5, 4, v3
	v_lshlrev_b32_e32 v6, 11, v3
	s_waitcnt vmcnt(9)
	v_lshrrev_b32_e32 v7, 4, v24
	v_lshrrev_b32_e32 v8, 12, v3
	v_and_b32_e32 v12, 0xf0f0f0f, v24
	v_and_b32_e32 v5, 16, v5
	v_lshrrev_b32_e32 v9, 5, v3
	v_and_b32_e32 v7, 0xf0f0f0f, v7
	v_and_b32_e32 v8, 16, v8
	v_or_b32_e32 v5, v5, v12
	v_and_b32_e32 v6, 0x1000, v6
	v_or_b32_e32 v7, v8, v7
	;; [unrolled: 2-line block ×3, first 2 shown]
	v_lshlrev_b32_e32 v6, 2, v3
	v_or_b32_e32 v7, v7, v8
	v_lshlrev_b32_e32 v8, 18, v3
	v_and_b32_e32 v6, 0x100000, v6
	v_and_b32_e32 v8, 0x100000, v8
	v_or_b32_e32 v6, v7, v6
	v_lshlrev_b32_e32 v7, 9, v3
	v_lshlrev_b32_e32 v3, 25, v3
	v_or_b32_e32 v5, v5, v8
	v_and_b32_e32 v7, 0x10000000, v7
	v_and_b32_e32 v3, 0x10000000, v3
	v_or_b32_e32 v6, v6, v7
	v_or_b32_e32 v3, v5, v3
	ds_write2_b32 v65, v3, v6 offset1:1
	v_ashrrev_i32_e32 v3, v54, v18
	v_lshlrev_b32_e32 v5, 4, v3
	v_lshlrev_b32_e32 v6, 11, v3
	s_waitcnt vmcnt(8)
	v_lshrrev_b32_e32 v7, 4, v25
	v_lshrrev_b32_e32 v8, 12, v3
	v_and_b32_e32 v12, 0xf0f0f0f, v25
	v_and_b32_e32 v5, 16, v5
	v_lshrrev_b32_e32 v9, 5, v3
	v_and_b32_e32 v7, 0xf0f0f0f, v7
	v_and_b32_e32 v8, 16, v8
	v_or_b32_e32 v5, v5, v12
	v_and_b32_e32 v6, 0x1000, v6
	v_or_b32_e32 v7, v8, v7
	;; [unrolled: 2-line block ×3, first 2 shown]
	v_lshlrev_b32_e32 v6, 2, v3
	v_or_b32_e32 v7, v7, v8
	v_lshlrev_b32_e32 v8, 18, v3
	v_and_b32_e32 v6, 0x100000, v6
	v_and_b32_e32 v8, 0x100000, v8
	v_or_b32_e32 v6, v7, v6
	v_lshlrev_b32_e32 v7, 9, v3
	v_lshlrev_b32_e32 v3, 25, v3
	v_or_b32_e32 v5, v5, v8
	v_and_b32_e32 v7, 0x10000000, v7
	v_and_b32_e32 v3, 0x10000000, v3
	v_or_b32_e32 v6, v6, v7
	v_or_b32_e32 v3, v5, v3
	s_waitcnt vmcnt(0)
	v_ashrrev_i32_e32 v2, v54, v2
	ds_write2_b32 v67, v3, v6 offset1:1
	v_lshlrev_b32_e32 v3, 4, v2
	v_lshlrev_b32_e32 v5, 11, v2
	v_lshrrev_b32_e32 v6, 4, v10
	v_lshrrev_b32_e32 v7, 12, v2
	v_and_b32_e32 v9, 0xf0f0f0f, v10
	v_and_b32_e32 v3, 16, v3
	v_lshrrev_b32_e32 v8, 5, v2
	v_and_b32_e32 v6, 0xf0f0f0f, v6
	v_and_b32_e32 v7, 16, v7
	v_or_b32_e32 v3, v3, v9
	v_and_b32_e32 v5, 0x1000, v5
	v_or_b32_e32 v6, v7, v6
	;; [unrolled: 2-line block ×3, first 2 shown]
	v_lshlrev_b32_e32 v5, 2, v2
	v_or_b32_e32 v6, v6, v7
	v_lshlrev_b32_e32 v7, 18, v2
	v_and_b32_e32 v5, 0x100000, v5
	v_and_b32_e32 v7, 0x100000, v7
	v_or_b32_e32 v5, v6, v5
	v_lshlrev_b32_e32 v6, 9, v2
	v_lshlrev_b32_e32 v2, 25, v2
	v_or_b32_e32 v3, v3, v7
	v_and_b32_e32 v6, 0x10000000, v6
	v_and_b32_e32 v2, 0x10000000, v2
	v_or_b32_e32 v5, v5, v6
	v_or_b32_e32 v2, v3, v2
	ds_write2_b32 v69, v2, v5 offset1:1
	v_lshrrev_b32_e32 v2, 4, v11
	v_and_b32_e32 v23, 0xf0f0f0f, v2
	v_mad_u64_u32 v[2:3], s[16:17], v72, 24, v[0:1]
	v_mad_u64_u32 v[14:15], s[16:17], v78, 24, v[0:1]
	v_ashrrev_i32_e32 v18, v54, v4
	v_and_b32_e32 v24, 0xf0f0f0f, v11
	v_lshl_add_u64 v[4:5], v[2:3], 0, v[54:55]
	v_mad_u64_u32 v[6:7], s[16:17], v74, 24, v[0:1]
	v_mad_u64_u32 v[10:11], s[16:17], v76, 24, v[0:1]
	v_lshl_add_u64 v[16:17], v[14:15], 0, v[54:55]
	v_lshl_add_u64 v[8:9], v[6:7], 0, v[54:55]
	v_lshl_add_u64 v[12:13], v[10:11], 0, v[54:55]
	global_load_dword v4, v[4:5], off offset:8
	s_nop 0
	global_load_dword v5, v[8:9], off offset:8
	global_load_dword v25, v[12:13], off offset:8
	s_nop 0
	global_load_dword v16, v[16:17], off offset:8
	s_nop 0
	global_load_dword v17, v[14:15], off offset:4
	global_load_dword v30, v[10:11], off offset:4
	s_nop 0
	global_load_dword v6, v[6:7], off offset:4
	s_nop 0
	global_load_dword v2, v[2:3], off offset:4
	v_lshlrev_b32_e32 v19, 4, v18
	v_lshrrev_b32_e32 v21, 12, v18
	v_lshlrev_b32_e32 v20, 11, v18
	v_lshrrev_b32_e32 v22, 5, v18
	v_and_b32_e32 v3, 16, v21
	v_and_b32_e32 v7, 16, v19
	v_or_b32_e32 v3, v3, v23
	v_or_b32_e32 v7, v7, v24
	v_and_b32_e32 v8, 0x1000, v22
	v_and_b32_e32 v9, 0x1000, v20
	v_or_b32_e32 v3, v3, v8
	v_or_b32_e32 v7, v7, v9
	v_lshlrev_b32_e32 v8, 2, v18
	v_lshlrev_b32_e32 v9, 18, v18
	v_and_b32_e32 v8, 0x100000, v8
	v_and_b32_e32 v9, 0x100000, v9
	v_or_b32_e32 v3, v3, v8
	v_or_b32_e32 v7, v7, v9
	v_lshlrev_b32_e32 v8, 9, v18
	v_lshlrev_b32_e32 v9, 25, v18
	v_and_b32_e32 v8, 0x10000000, v8
	v_and_b32_e32 v9, 0x10000000, v9
	v_or_b32_e32 v3, v3, v8
	v_or_b32_e32 v7, v7, v9
	ds_write2_b32 v71, v7, v3 offset1:1
	v_ashrrev_i32_e32 v3, v54, v29
	v_lshlrev_b32_e32 v7, 4, v3
	v_lshlrev_b32_e32 v8, 11, v3
	v_lshrrev_b32_e32 v9, 4, v26
	v_lshrrev_b32_e32 v10, 12, v3
	v_and_b32_e32 v12, 0xf0f0f0f, v26
	v_and_b32_e32 v7, 16, v7
	v_lshrrev_b32_e32 v11, 5, v3
	v_and_b32_e32 v9, 0xf0f0f0f, v9
	v_and_b32_e32 v10, 16, v10
	v_or_b32_e32 v7, v7, v12
	v_and_b32_e32 v8, 0x1000, v8
	v_or_b32_e32 v9, v10, v9
	;; [unrolled: 2-line block ×3, first 2 shown]
	v_lshlrev_b32_e32 v8, 2, v3
	v_or_b32_e32 v9, v9, v10
	v_lshlrev_b32_e32 v10, 18, v3
	v_and_b32_e32 v8, 0x100000, v8
	v_and_b32_e32 v10, 0x100000, v10
	v_or_b32_e32 v8, v9, v8
	v_lshlrev_b32_e32 v9, 9, v3
	v_lshlrev_b32_e32 v3, 25, v3
	v_or_b32_e32 v7, v7, v10
	v_and_b32_e32 v9, 0x10000000, v9
	v_and_b32_e32 v3, 0x10000000, v3
	v_or_b32_e32 v8, v8, v9
	v_or_b32_e32 v3, v7, v3
	ds_write2_b32 v73, v3, v8 offset1:1
	v_ashrrev_i32_e32 v3, v54, v28
	v_lshlrev_b32_e32 v7, 4, v3
	v_lshlrev_b32_e32 v8, 11, v3
	v_lshrrev_b32_e32 v9, 4, v27
	v_lshrrev_b32_e32 v10, 12, v3
	v_and_b32_e32 v12, 0xf0f0f0f, v27
	v_and_b32_e32 v7, 16, v7
	v_lshrrev_b32_e32 v11, 5, v3
	v_and_b32_e32 v9, 0xf0f0f0f, v9
	v_and_b32_e32 v10, 16, v10
	v_or_b32_e32 v7, v7, v12
	v_and_b32_e32 v8, 0x1000, v8
	v_or_b32_e32 v9, v10, v9
	;; [unrolled: 2-line block ×3, first 2 shown]
	v_lshlrev_b32_e32 v8, 2, v3
	v_or_b32_e32 v9, v9, v10
	v_lshlrev_b32_e32 v10, 18, v3
	v_and_b32_e32 v8, 0x100000, v8
	v_and_b32_e32 v10, 0x100000, v10
	v_or_b32_e32 v8, v9, v8
	v_lshlrev_b32_e32 v9, 9, v3
	v_lshlrev_b32_e32 v3, 25, v3
	v_or_b32_e32 v7, v7, v10
	v_and_b32_e32 v9, 0x10000000, v9
	v_and_b32_e32 v3, 0x10000000, v3
	v_or_b32_e32 v8, v8, v9
	v_or_b32_e32 v3, v7, v3
	s_waitcnt vmcnt(0)
	v_ashrrev_i32_e32 v2, v54, v2
	ds_write2_b32 v75, v3, v8 offset1:1
	v_lshlrev_b32_e32 v3, 4, v2
	v_lshlrev_b32_e32 v7, 11, v2
	v_lshrrev_b32_e32 v8, 4, v4
	v_lshrrev_b32_e32 v9, 12, v2
	v_and_b32_e32 v4, 0xf0f0f0f, v4
	v_and_b32_e32 v3, 16, v3
	v_lshrrev_b32_e32 v10, 5, v2
	v_and_b32_e32 v8, 0xf0f0f0f, v8
	v_and_b32_e32 v9, 16, v9
	v_or_b32_e32 v3, v3, v4
	v_and_b32_e32 v7, 0x1000, v7
	v_or_b32_e32 v8, v9, v8
	v_and_b32_e32 v4, 0x1000, v10
	v_or_b32_e32 v3, v3, v7
	v_lshlrev_b32_e32 v7, 2, v2
	v_or_b32_e32 v4, v8, v4
	v_lshlrev_b32_e32 v8, 18, v2
	v_and_b32_e32 v7, 0x100000, v7
	v_and_b32_e32 v8, 0x100000, v8
	v_or_b32_e32 v4, v4, v7
	v_lshlrev_b32_e32 v7, 9, v2
	v_lshlrev_b32_e32 v2, 25, v2
	v_or_b32_e32 v3, v3, v8
	v_and_b32_e32 v7, 0x10000000, v7
	v_and_b32_e32 v2, 0x10000000, v2
	v_or_b32_e32 v4, v4, v7
	v_or_b32_e32 v2, v3, v2
	ds_write2_b32 v77, v2, v4 offset1:1
	v_lshrrev_b32_e32 v2, 4, v5
	v_ashrrev_i32_e32 v18, v54, v6
	v_and_b32_e32 v23, 0xf0f0f0f, v2
	v_mad_u64_u32 v[2:3], s[16:17], v80, 24, v[0:1]
	v_mad_u64_u32 v[6:7], s[16:17], v82, 24, v[0:1]
	;; [unrolled: 1-line block ×3, first 2 shown]
	v_and_b32_e32 v24, 0xf0f0f0f, v5
	v_lshl_add_u64 v[4:5], v[2:3], 0, v[54:55]
	v_lshl_add_u64 v[8:9], v[6:7], 0, v[54:55]
	;; [unrolled: 1-line block ×3, first 2 shown]
	v_mad_u64_u32 v[0:1], s[16:17], v86, 24, v[0:1]
	v_lshl_add_u64 v[14:15], v[0:1], 0, v[54:55]
	global_load_dword v4, v[4:5], off offset:8
	s_nop 0
	global_load_dword v5, v[8:9], off offset:8
	s_nop 0
	global_load_dword v8, v[12:13], off offset:8
	global_load_dword v9, v[14:15], off offset:8
	s_nop 0
	global_load_dword v12, v[0:1], off offset:4
	s_nop 0
	global_load_dword v10, v[10:11], off offset:4
	s_nop 0
	global_load_dword v0, v[6:7], off offset:4
	global_load_dword v1, v[2:3], off offset:4
	v_lshlrev_b32_e32 v19, 4, v18
	v_lshrrev_b32_e32 v21, 12, v18
	v_lshlrev_b32_e32 v20, 11, v18
	v_lshrrev_b32_e32 v22, 5, v18
	v_and_b32_e32 v2, 16, v21
	v_and_b32_e32 v3, 16, v19
	v_or_b32_e32 v2, v2, v23
	v_or_b32_e32 v3, v3, v24
	v_and_b32_e32 v6, 0x1000, v22
	v_and_b32_e32 v7, 0x1000, v20
	v_or_b32_e32 v2, v2, v6
	v_or_b32_e32 v3, v3, v7
	v_lshlrev_b32_e32 v6, 2, v18
	v_lshlrev_b32_e32 v7, 18, v18
	v_and_b32_e32 v6, 0x100000, v6
	v_and_b32_e32 v7, 0x100000, v7
	v_or_b32_e32 v2, v2, v6
	v_or_b32_e32 v3, v3, v7
	v_lshlrev_b32_e32 v6, 9, v18
	v_lshlrev_b32_e32 v7, 25, v18
	v_and_b32_e32 v6, 0x10000000, v6
	v_and_b32_e32 v7, 0x10000000, v7
	v_or_b32_e32 v2, v2, v6
	v_or_b32_e32 v3, v3, v7
	ds_write2_b32 v79, v3, v2 offset1:1
	v_ashrrev_i32_e32 v2, v54, v30
	v_lshlrev_b32_e32 v3, 4, v2
	v_lshlrev_b32_e32 v6, 11, v2
	v_lshrrev_b32_e32 v7, 4, v25
	v_lshrrev_b32_e32 v11, 12, v2
	v_and_b32_e32 v14, 0xf0f0f0f, v25
	v_and_b32_e32 v3, 16, v3
	v_lshrrev_b32_e32 v13, 5, v2
	v_and_b32_e32 v7, 0xf0f0f0f, v7
	v_and_b32_e32 v11, 16, v11
	v_or_b32_e32 v3, v3, v14
	v_and_b32_e32 v6, 0x1000, v6
	v_or_b32_e32 v7, v11, v7
	;; [unrolled: 2-line block ×3, first 2 shown]
	v_lshlrev_b32_e32 v6, 2, v2
	v_or_b32_e32 v7, v7, v11
	v_lshlrev_b32_e32 v11, 18, v2
	v_and_b32_e32 v6, 0x100000, v6
	v_and_b32_e32 v11, 0x100000, v11
	v_or_b32_e32 v6, v7, v6
	v_lshlrev_b32_e32 v7, 9, v2
	v_lshlrev_b32_e32 v2, 25, v2
	v_or_b32_e32 v3, v3, v11
	v_and_b32_e32 v7, 0x10000000, v7
	v_and_b32_e32 v2, 0x10000000, v2
	v_or_b32_e32 v6, v6, v7
	v_or_b32_e32 v2, v3, v2
	ds_write2_b32 v81, v2, v6 offset1:1
	v_ashrrev_i32_e32 v2, v54, v17
	v_lshlrev_b32_e32 v3, 4, v2
	v_lshlrev_b32_e32 v6, 11, v2
	v_lshrrev_b32_e32 v7, 4, v16
	v_lshrrev_b32_e32 v11, 12, v2
	v_and_b32_e32 v14, 0xf0f0f0f, v16
	v_and_b32_e32 v3, 16, v3
	v_lshrrev_b32_e32 v13, 5, v2
	v_and_b32_e32 v7, 0xf0f0f0f, v7
	v_and_b32_e32 v11, 16, v11
	v_or_b32_e32 v3, v3, v14
	v_and_b32_e32 v6, 0x1000, v6
	v_or_b32_e32 v7, v11, v7
	;; [unrolled: 2-line block ×3, first 2 shown]
	v_lshlrev_b32_e32 v6, 2, v2
	v_or_b32_e32 v7, v7, v11
	v_lshlrev_b32_e32 v11, 18, v2
	v_and_b32_e32 v6, 0x100000, v6
	v_and_b32_e32 v11, 0x100000, v11
	v_or_b32_e32 v6, v7, v6
	v_lshlrev_b32_e32 v7, 9, v2
	v_lshlrev_b32_e32 v2, 25, v2
	v_or_b32_e32 v3, v3, v11
	v_and_b32_e32 v7, 0x10000000, v7
	v_and_b32_e32 v2, 0x10000000, v2
	v_or_b32_e32 v6, v6, v7
	v_or_b32_e32 v2, v3, v2
	s_waitcnt vmcnt(0)
	v_ashrrev_i32_e32 v1, v54, v1
	ds_write2_b32 v83, v2, v6 offset1:1
	v_lshlrev_b32_e32 v2, 4, v1
	v_lshlrev_b32_e32 v3, 11, v1
	v_lshrrev_b32_e32 v6, 4, v4
	v_lshrrev_b32_e32 v7, 12, v1
	v_and_b32_e32 v4, 0xf0f0f0f, v4
	v_and_b32_e32 v2, 16, v2
	v_lshrrev_b32_e32 v11, 5, v1
	v_and_b32_e32 v6, 0xf0f0f0f, v6
	v_and_b32_e32 v7, 16, v7
	v_or_b32_e32 v2, v2, v4
	v_and_b32_e32 v3, 0x1000, v3
	v_or_b32_e32 v6, v7, v6
	;; [unrolled: 2-line block ×3, first 2 shown]
	v_lshlrev_b32_e32 v3, 2, v1
	v_or_b32_e32 v4, v6, v4
	v_lshlrev_b32_e32 v6, 18, v1
	v_and_b32_e32 v3, 0x100000, v3
	v_and_b32_e32 v6, 0x100000, v6
	v_or_b32_e32 v3, v4, v3
	v_lshlrev_b32_e32 v4, 9, v1
	v_lshlrev_b32_e32 v1, 25, v1
	v_or_b32_e32 v2, v2, v6
	v_and_b32_e32 v4, 0x10000000, v4
	v_and_b32_e32 v1, 0x10000000, v1
	v_or_b32_e32 v3, v3, v4
	v_or_b32_e32 v1, v2, v1
	v_ashrrev_i32_e32 v11, v54, v0
	ds_write2_b32 v85, v1, v3 offset1:1
	v_lshlrev_b32_e32 v0, 4, v11
	v_lshrrev_b32_e32 v1, 4, v5
	v_lshrrev_b32_e32 v2, 12, v11
	v_and_b32_e32 v1, 0xf0f0f0f, v1
	v_and_b32_e32 v3, 0xf0f0f0f, v5
	;; [unrolled: 1-line block ×4, first 2 shown]
	v_or_b32_e32 v15, v2, v1
	v_or_b32_e32 v16, v0, v3
	v_mad_u64_u32 v[0:1], s[0:1], v88, 24, s[0:1]
	v_mad_u64_u32 v[2:3], s[0:1], v90, 24, v[0:1]
	;; [unrolled: 1-line block ×5, first 2 shown]
	global_load_dword v2, v[2:3], off
	s_nop 0
	global_load_dword v3, v[4:5], off
	s_nop 0
	global_load_dword v4, v[6:7], off
	v_lshlrev_b32_e32 v13, 11, v11
	global_load_dword v0, v[0:1], off
	v_lshrrev_b32_e32 v14, 5, v11
	v_and_b32_e32 v1, 0x1000, v14
	v_and_b32_e32 v5, 0x1000, v13
	v_lshlrev_b32_e32 v6, 2, v11
	v_lshlrev_b32_e32 v7, 18, v11
	v_or_b32_e32 v1, v15, v1
	v_or_b32_e32 v5, v16, v5
	v_and_b32_e32 v6, 0x100000, v6
	v_and_b32_e32 v7, 0x100000, v7
	v_or_b32_e32 v1, v1, v6
	v_or_b32_e32 v5, v5, v7
	v_lshlrev_b32_e32 v6, 9, v11
	v_lshlrev_b32_e32 v7, 25, v11
	v_and_b32_e32 v6, 0x10000000, v6
	v_and_b32_e32 v7, 0x10000000, v7
	v_or_b32_e32 v1, v1, v6
	v_or_b32_e32 v5, v5, v7
	ds_write2_b32 v87, v5, v1 offset1:1
	v_ashrrev_i32_e32 v1, v54, v10
	v_lshlrev_b32_e32 v5, 4, v1
	v_lshlrev_b32_e32 v6, 11, v1
	v_lshrrev_b32_e32 v7, 4, v8
	v_lshrrev_b32_e32 v10, 12, v1
	v_and_b32_e32 v8, 0xf0f0f0f, v8
	v_and_b32_e32 v5, 16, v5
	v_lshrrev_b32_e32 v11, 5, v1
	v_and_b32_e32 v7, 0xf0f0f0f, v7
	v_and_b32_e32 v10, 16, v10
	v_or_b32_e32 v5, v5, v8
	v_and_b32_e32 v6, 0x1000, v6
	v_or_b32_e32 v7, v10, v7
	;; [unrolled: 2-line block ×3, first 2 shown]
	v_lshlrev_b32_e32 v6, 2, v1
	v_or_b32_e32 v7, v7, v8
	v_lshlrev_b32_e32 v8, 18, v1
	v_and_b32_e32 v6, 0x100000, v6
	v_and_b32_e32 v8, 0x100000, v8
	v_or_b32_e32 v6, v7, v6
	v_lshlrev_b32_e32 v7, 9, v1
	v_lshlrev_b32_e32 v1, 25, v1
	v_or_b32_e32 v5, v5, v8
	v_and_b32_e32 v7, 0x10000000, v7
	v_and_b32_e32 v1, 0x10000000, v1
	v_or_b32_e32 v6, v6, v7
	v_or_b32_e32 v1, v5, v1
	ds_write2_b32 v89, v1, v6 offset1:1
	v_ashrrev_i32_e32 v1, v54, v12
	v_lshlrev_b32_e32 v5, 4, v1
	v_lshlrev_b32_e32 v6, 11, v1
	v_lshrrev_b32_e32 v7, 4, v9
	v_lshrrev_b32_e32 v8, 12, v1
	v_and_b32_e32 v9, 0xf0f0f0f, v9
	v_and_b32_e32 v5, 16, v5
	v_lshrrev_b32_e32 v10, 5, v1
	v_and_b32_e32 v7, 0xf0f0f0f, v7
	v_and_b32_e32 v8, 16, v8
	v_or_b32_e32 v5, v5, v9
	v_and_b32_e32 v6, 0x1000, v6
	v_or_b32_e32 v7, v8, v7
	;; [unrolled: 2-line block ×3, first 2 shown]
	v_lshlrev_b32_e32 v6, 2, v1
	v_or_b32_e32 v7, v7, v8
	v_lshlrev_b32_e32 v8, 18, v1
	v_and_b32_e32 v6, 0x100000, v6
	v_and_b32_e32 v8, 0x100000, v8
	v_or_b32_e32 v6, v7, v6
	v_lshlrev_b32_e32 v7, 9, v1
	v_lshlrev_b32_e32 v1, 25, v1
	v_or_b32_e32 v5, v5, v8
	v_and_b32_e32 v7, 0x10000000, v7
	v_and_b32_e32 v1, 0x10000000, v1
	v_or_b32_e32 v6, v6, v7
	v_or_b32_e32 v1, v5, v1
	ds_write2_b32 v91, v1, v6 offset1:1
	s_waitcnt vmcnt(3)
	ds_write_b32 v191, v2
	s_waitcnt vmcnt(2)
	ds_write_b32 v192, v3
	;; [unrolled: 2-line block ×4, first 2 shown]
	s_cbranch_scc0 .LBB143_6
; %bb.8:                                ;   in Loop: Header=BB143_7 Depth=1
	v_add_u32_e32 v14, s14, v93
	v_add_u32_e32 v203, s14, v98
	;; [unrolled: 1-line block ×6, first 2 shown]
	v_mad_i64_i32 v[0:1], s[0:1], v0, 36, v[100:101]
	v_mad_i64_i32 v[2:3], s[0:1], v2, 36, v[100:101]
	;; [unrolled: 1-line block ×4, first 2 shown]
	v_add_u32_e32 v8, v14, v174
	v_add_u32_e32 v10, v14, v175
	;; [unrolled: 1-line block ×4, first 2 shown]
	v_mad_u64_u32 v[16:17], s[0:1], v203, 36, s[2:3]
	v_mad_i64_i32 v[8:9], s[0:1], v8, 36, v[100:101]
	v_mad_i64_i32 v[10:11], s[0:1], v10, 36, v[100:101]
	;; [unrolled: 1-line block ×4, first 2 shown]
	global_load_dword v16, v[16:17], off
	s_nop 0
	global_load_dword v0, v[0:1], off offset:4
	s_nop 0
	global_load_dword v1, v[2:3], off offset:4
	;; [unrolled: 2-line block ×3, first 2 shown]
	global_load_dword v3, v[6:7], off offset:4
	s_nop 0
	global_load_dword v4, v[8:9], off offset:4
	global_load_dword v5, v[10:11], off offset:4
	;; [unrolled: 1-line block ×3, first 2 shown]
                                        ; kill: killed $vgpr10_vgpr11
                                        ; kill: killed $vgpr12_vgpr13
	global_load_dword v7, v[14:15], off offset:4
	s_mov_b32 s0, -4
	v_mov_b32_e32 v204, v185
	v_mov_b32_e32 v205, v178
	;; [unrolled: 1-line block ×7, first 2 shown]
	s_waitcnt vmcnt(8)
	ds_write_b32 v95, v16
	s_waitcnt vmcnt(7)
	ds_write_b32 v195, v0
	;; [unrolled: 2-line block ×9, first 2 shown]
	s_waitcnt lgkmcnt(0)
	s_barrier
.LBB143_9:                              ;   Parent Loop BB143_7 Depth=1
                                        ; =>  This Inner Loop Header: Depth=2
	ds_read_b128 v[12:15], v204
	ds_read_b128 v[8:11], v204 offset:16
	ds_read2_b32 v[148:149], v206 offset1:32
	v_add_u32_e32 v136, 0x2080, v205
	v_add_u32_e32 v137, 0x2088, v205
	;; [unrolled: 1-line block ×10, first 2 shown]
	ds_read2_b32 v[146:147], v205 offset1:1
	ds_read2_b32 v[144:145], v205 offset0:2 offset1:3
	ds_read2_b32 v[142:143], v205 offset0:4 offset1:5
	;; [unrolled: 1-line block ×3, first 2 shown]
	ds_read_b32 v238, v207
	ds_read_b32 v237, v208
	;; [unrolled: 1-line block ×4, first 2 shown]
	v_add_u32_e32 v233, 0x6190, v205
	v_add_u32_e32 v234, 0x6198, v205
	ds_read_b128 v[44:47], v204 offset:1024
	ds_read_b128 v[16:19], v204 offset:1040
	;; [unrolled: 1-line block ×4, first 2 shown]
	ds_read2_b32 v[170:171], v206 offset0:64 offset1:96
	ds_read_b128 v[40:43], v204 offset:3072
	ds_read_b128 v[24:27], v204 offset:3088
	;; [unrolled: 1-line block ×4, first 2 shown]
	ds_read2_b32 v[150:151], v206 offset0:128 offset1:160
	ds_read_b128 v[28:31], v204 offset:5120
	ds_read_b128 v[4:7], v204 offset:5136
	;; [unrolled: 1-line block ×3, first 2 shown]
	ds_read2_b32 v[168:169], v136 offset1:1
	ds_read2_b32 v[158:159], v137 offset1:1
	;; [unrolled: 1-line block ×12, first 2 shown]
	v_mov_b32_e32 v231, 0
	v_mov_b32_e32 v211, 0
	;; [unrolled: 1-line block ×4, first 2 shown]
	s_waitcnt lgkmcnt(14)
	v_dot4c_i32_i8_e32 v231, v146, v12
	s_waitcnt lgkmcnt(11)
	v_dot4c_i32_i8_e32 v211, v168, v12
	;; [unrolled: 2-line block ×4, first 2 shown]
	v_dot4c_i32_i8_e32 v231, v147, v8
	v_dot4c_i32_i8_e32 v211, v169, v8
	;; [unrolled: 1-line block ×7, first 2 shown]
	s_waitcnt lgkmcnt(2)
	v_dot4c_i32_i8_e32 v213, v162, v13
	v_mov_b32_e32 v224, 0
	v_mov_b32_e32 v223, 0
	;; [unrolled: 1-line block ×4, first 2 shown]
	v_dot4c_i32_i8_e32 v231, v145, v9
	v_dot4c_i32_i8_e32 v211, v159, v9
	v_dot4c_i32_i8_e32 v212, v161, v9
	v_dot4c_i32_i8_e32 v213, v163, v9
	v_mov_b32_e32 v239, 0
	v_mov_b32_e32 v217, 0
	;; [unrolled: 1-line block ×4, first 2 shown]
	v_dot4c_i32_i8_e32 v231, v142, v14
	v_dot4c_i32_i8_e32 v211, v156, v14
	;; [unrolled: 1-line block ×3, first 2 shown]
	s_waitcnt lgkmcnt(1)
	v_dot4c_i32_i8_e32 v213, v152, v14
	v_dot4c_i32_i8_e32 v224, v146, v48
	v_dot4c_i32_i8_e32 v223, v168, v48
	v_dot4c_i32_i8_e32 v225, v166, v48
	v_dot4c_i32_i8_e32 v226, v164, v48
	v_dot4c_i32_i8_e32 v231, v143, v10
	v_dot4c_i32_i8_e32 v211, v157, v10
	v_dot4c_i32_i8_e32 v212, v155, v10
	v_dot4c_i32_i8_e32 v213, v153, v10
	v_dot4c_i32_i8_e32 v239, v146, v36
	v_dot4c_i32_i8_e32 v217, v168, v36
	v_dot4c_i32_i8_e32 v218, v166, v36
	v_dot4c_i32_i8_e32 v219, v164, v36
	v_dot4c_i32_i8_e32 v224, v147, v0
	v_dot4c_i32_i8_e32 v223, v169, v0
	v_dot4c_i32_i8_e32 v225, v167, v0
	v_dot4c_i32_i8_e32 v226, v165, v0
	v_mov_b32_e32 v227, 0
	v_mov_b32_e32 v228, 0
	;; [unrolled: 1-line block ×4, first 2 shown]
	v_dot4c_i32_i8_e32 v231, v134, v15
	v_dot4c_i32_i8_e32 v211, v136, v15
	;; [unrolled: 1-line block ×3, first 2 shown]
	s_waitcnt lgkmcnt(0)
	v_dot4c_i32_i8_e32 v213, v140, v15
	ds_read_b128 v[12:15], v204 offset:6160
	v_dot4c_i32_i8_e32 v239, v147, v20
	v_dot4c_i32_i8_e32 v217, v169, v20
	;; [unrolled: 1-line block ×20, first 2 shown]
	v_mov_b32_e32 v241, 0
	v_mov_b32_e32 v220, 0
	;; [unrolled: 1-line block ×4, first 2 shown]
	v_dot4c_i32_i8_e32 v239, v145, v21
	v_dot4c_i32_i8_e32 v217, v159, v21
	;; [unrolled: 1-line block ×12, first 2 shown]
	v_mov_b32_e32 v234, 0
	v_mov_b32_e32 v233, 0
	;; [unrolled: 1-line block ×3, first 2 shown]
	v_dot4c_i32_i8_e32 v239, v142, v38
	v_dot4c_i32_i8_e32 v217, v156, v38
	;; [unrolled: 1-line block ×12, first 2 shown]
	v_mov_b32_e32 v2, 0
	v_dot4c_i32_i8_e32 v227, v144, v29
	v_dot4c_i32_i8_e32 v228, v158, v29
	;; [unrolled: 1-line block ×32, first 2 shown]
	ds_read_b128 v[38:41], v204 offset:7168
	s_waitcnt lgkmcnt(1)
	v_dot4c_i32_i8_e32 v234, v147, v12
	v_dot4c_i32_i8_e32 v233, v169, v12
	;; [unrolled: 1-line block ×20, first 2 shown]
	ds_read_b128 v[28:31], v204 offset:7184
	v_dot4c_i32_i8_e32 v241, v145, v25
	v_dot4c_i32_i8_e32 v220, v159, v25
	;; [unrolled: 1-line block ×8, first 2 shown]
	v_mov_b32_e32 v232, 0
	v_mov_b32_e32 v214, 0
	;; [unrolled: 1-line block ×4, first 2 shown]
	v_dot4c_i32_i8_e32 v241, v142, v42
	v_dot4c_i32_i8_e32 v220, v156, v42
	;; [unrolled: 1-line block ×8, first 2 shown]
	v_mov_b32_e32 v14, 0
	v_dot4c_i32_i8_e32 v232, v146, v44
	v_dot4c_i32_i8_e32 v214, v168, v44
	;; [unrolled: 1-line block ×8, first 2 shown]
	v_pk_mul_f16 v36, v238, v170
	v_pk_mul_f16 v26, v237, v170
	;; [unrolled: 1-line block ×4, first 2 shown]
	v_mov_b32_e32 v170, 0
	v_mov_b32_e32 v6, 0
	s_waitcnt lgkmcnt(1)
	v_dot4c_i32_i8_e32 v14, v166, v38
	v_mov_b32_e32 v166, 0
	v_dot4c_i32_i8_e32 v232, v147, v16
	v_dot4c_i32_i8_e32 v170, v146, v38
	;; [unrolled: 1-line block ×8, first 2 shown]
	s_waitcnt lgkmcnt(0)
	v_dot4c_i32_i8_e32 v170, v147, v28
	v_dot4c_i32_i8_e32 v6, v169, v28
	;; [unrolled: 1-line block ×8, first 2 shown]
	ds_read2_b32 v[0:1], v206 offset0:192 offset1:224
	v_dot4c_i32_i8_e32 v170, v144, v39
	v_dot4c_i32_i8_e32 v6, v158, v39
	;; [unrolled: 1-line block ×32, first 2 shown]
	v_pk_mul_f16 v8, v148, v238
	v_pk_mul_f16 v9, v238, v149
	v_dot4c_i32_i8_e32 v220, v136, v43
	v_dot4c_i32_i8_e32 v221, v138, v43
	;; [unrolled: 1-line block ×7, first 2 shown]
	v_pk_mul_f16 v42, v238, v171
	v_dot4c_i32_i8_e32 v234, v134, v35
	v_dot4c_i32_i8_e32 v233, v136, v35
	;; [unrolled: 1-line block ×12, first 2 shown]
	v_pk_mul_f16 v16, v148, v237
	v_pk_mul_f16 v18, v148, v236
	;; [unrolled: 1-line block ×17, first 2 shown]
	s_waitcnt lgkmcnt(0)
	v_pk_mul_f16 v242, v238, v0
	v_pk_mul_f16 v238, v238, v1
	;; [unrolled: 1-line block ×8, first 2 shown]
	v_cvt_f32_f16_e32 v1, v9
	v_cvt_f32_f16_e32 v0, v8
	v_cvt_f32_f16_sdwa v9, v9 dst_sel:DWORD dst_unused:UNUSED_PAD src0_sel:WORD_1
	v_cvt_f32_f16_sdwa v8, v8 dst_sel:DWORD dst_unused:UNUSED_PAD src0_sel:WORD_1
	v_cvt_f32_f16_e32 v35, v42
	v_cvt_f32_f16_e32 v34, v36
	v_cvt_f32_f16_sdwa v39, v42 dst_sel:DWORD dst_unused:UNUSED_PAD src0_sel:WORD_1
	v_cvt_f32_f16_sdwa v38, v36 dst_sel:DWORD dst_unused:UNUSED_PAD src0_sel:WORD_1
	v_dot4c_i32_i8_e32 v211, v137, v11
	v_dot4c_i32_i8_e32 v212, v139, v11
	;; [unrolled: 1-line block ×16, first 2 shown]
	v_cvt_f32_i32_e32 v161, v232
	v_cvt_f32_i32_e32 v160, v231
	v_cvt_f32_i32_e32 v163, v241
	v_cvt_f32_i32_e32 v162, v239
	v_dot4c_i32_i8_e32 v223, v137, v3
	v_dot4c_i32_i8_e32 v225, v139, v3
	;; [unrolled: 1-line block ×12, first 2 shown]
	v_cvt_f32_f16_e32 v5, v17
	v_cvt_f32_f16_e32 v4, v16
	v_cvt_f32_f16_sdwa v13, v17 dst_sel:DWORD dst_unused:UNUSED_PAD src0_sel:WORD_1
	v_cvt_f32_f16_sdwa v12, v16 dst_sel:DWORD dst_unused:UNUSED_PAD src0_sel:WORD_1
	v_cvt_f32_f16_e32 v17, v20
	v_cvt_f32_f16_e32 v16, v18
	v_cvt_f32_f16_sdwa v21, v20 dst_sel:DWORD dst_unused:UNUSED_PAD src0_sel:WORD_1
	v_cvt_f32_f16_sdwa v20, v18 dst_sel:DWORD dst_unused:UNUSED_PAD src0_sel:WORD_1
	;; [unrolled: 4-line block ×14, first 2 shown]
	v_cvt_f32_i32_e32 v165, v227
	v_cvt_f32_i32_e32 v164, v224
	;; [unrolled: 1-line block ×28, first 2 shown]
	v_pk_fma_f32 v[0:1], v[0:1], v[160:161], v[8:9]
	v_pk_fma_f32 v[8:9], v[162:163], v[34:35], v[38:39]
	s_add_i32 s0, s0, 4
	v_pk_fma_f32 v[34:35], v[164:165], v[50:51], v[144:145]
	v_pk_fma_f32 v[38:39], v[168:169], v[154:155], v[156:157]
	v_pk_add_f32 v[102:103], v[102:103], v[0:1]
	v_pk_fma_f32 v[0:1], v[4:5], v[30:31], v[12:13]
	v_pk_fma_f32 v[4:5], v[16:17], v[136:137], v[20:21]
	;; [unrolled: 1-line block ×3, first 2 shown]
	v_pk_add_f32 v[110:111], v[110:111], v[8:9]
	v_pk_fma_f32 v[8:9], v[140:141], v[32:33], v[36:37]
	v_pk_fma_f32 v[16:17], v[170:171], v[40:41], v[42:43]
	;; [unrolled: 1-line block ×9, first 2 shown]
	v_add_u32_e32 v210, 4, v210
	v_add_u32_e32 v209, 4, v209
	;; [unrolled: 1-line block ×7, first 2 shown]
	s_cmp_lt_u32 s0, 12
	v_pk_add_f32 v[106:107], v[106:107], v[34:35]
	v_pk_add_f32 v[104:105], v[104:105], v[38:39]
	;; [unrolled: 1-line block ×14, first 2 shown]
	s_cbranch_scc1 .LBB143_9
; %bb.10:                               ;   in Loop: Header=BB143_7 Depth=1
	s_and_b32 s0, s9, -4
	s_cmp_eq_u32 s0, 4
	s_barrier
	s_cbranch_scc1 .LBB143_6
; %bb.11:                               ;   in Loop: Header=BB143_7 Depth=1
	v_add_u32_e32 v14, s14, v179
	v_add_u32_e32 v0, v14, v97
	;; [unrolled: 1-line block ×6, first 2 shown]
	v_mad_i64_i32 v[0:1], s[0:1], v0, 36, v[100:101]
	v_mad_i64_i32 v[2:3], s[0:1], v2, 36, v[100:101]
	;; [unrolled: 1-line block ×4, first 2 shown]
	v_add_u32_e32 v8, v14, v174
	v_add_u32_e32 v10, v14, v175
	;; [unrolled: 1-line block ×4, first 2 shown]
	v_mad_u64_u32 v[16:17], s[0:1], v16, 36, s[2:3]
	v_mad_i64_i32 v[8:9], s[0:1], v8, 36, v[100:101]
	v_mad_i64_i32 v[10:11], s[0:1], v10, 36, v[100:101]
	;; [unrolled: 1-line block ×4, first 2 shown]
	global_load_dword v16, v[16:17], off
	s_nop 0
	global_load_dword v0, v[0:1], off offset:4
	s_nop 0
	global_load_dword v1, v[2:3], off offset:4
	;; [unrolled: 2-line block ×3, first 2 shown]
	global_load_dword v3, v[6:7], off offset:4
	s_nop 0
	global_load_dword v4, v[8:9], off offset:4
	global_load_dword v5, v[10:11], off offset:4
                                        ; kill: killed $vgpr8_vgpr9
                                        ; kill: killed $vgpr10_vgpr11
	global_load_dword v6, v[12:13], off offset:4
	global_load_dword v7, v[14:15], off offset:4
	s_mov_b32 s0, 12
	v_mov_b32_e32 v42, v184
	v_mov_b32_e32 v43, v185
	;; [unrolled: 1-line block ×7, first 2 shown]
	s_waitcnt vmcnt(8)
	ds_write_b32 v95, v16
	s_waitcnt vmcnt(7)
	ds_write_b32 v195, v0
	;; [unrolled: 2-line block ×9, first 2 shown]
	s_waitcnt lgkmcnt(0)
	s_barrier
.LBB143_12:                             ;   Parent Loop BB143_7 Depth=1
                                        ; =>  This Inner Loop Header: Depth=2
	v_add_u32_e32 v8, 0x2080, v44
	ds_read_b128 v[0:3], v43
	ds_read_b128 v[4:7], v43 offset:16
	ds_read2_b32 v[40:41], v42 offset1:32
	ds_read_b32 v134, v45
	ds_read2_b32 v[26:27], v44 offset1:1
	ds_read2_b32 v[32:33], v44 offset0:2 offset1:3
	ds_read2_b32 v[36:37], v44 offset0:4 offset1:5
	;; [unrolled: 1-line block ×3, first 2 shown]
	ds_read_b32 v51, v46
	ds_read2_b32 v[14:15], v8 offset1:1
	v_add_u32_e32 v8, 0x2088, v44
	ds_read2_b32 v[22:23], v8 offset1:1
	v_add_u32_e32 v8, 0x2090, v44
	;; [unrolled: 2-line block ×4, first 2 shown]
	ds_read_b32 v50, v47
	ds_read2_b32 v[10:11], v8 offset1:1
	v_add_u32_e32 v8, 0x4108, v44
	ds_read2_b32 v[16:17], v8 offset1:1
	v_add_u32_e32 v8, 0x4110, v44
	;; [unrolled: 2-line block ×4, first 2 shown]
	ds_read_b32 v49, v48
	ds_read2_b32 v[8:9], v8 offset1:1
	v_mov_b32_e32 v135, 0
	v_mov_b32_e32 v142, 0
	;; [unrolled: 1-line block ×4, first 2 shown]
	s_waitcnt lgkmcnt(14)
	v_dot4c_i32_i8_e32 v135, v26, v0
	s_waitcnt lgkmcnt(10)
	v_dot4c_i32_i8_e32 v142, v14, v0
	;; [unrolled: 2-line block ×4, first 2 shown]
	v_add_u32_e32 v0, 0x6188, v44
	ds_read2_b32 v[12:13], v0 offset1:1
	v_add_u32_e32 v0, 0x6190, v44
	ds_read2_b32 v[18:19], v0 offset1:1
	v_add_u32_e32 v0, 0x6198, v44
	v_dot4c_i32_i8_e32 v135, v27, v4
	v_dot4c_i32_i8_e32 v142, v15, v4
	;; [unrolled: 1-line block ×4, first 2 shown]
	ds_read2_b32 v[24:25], v0 offset1:1
	v_dot4c_i32_i8_e32 v135, v32, v1
	v_dot4c_i32_i8_e32 v142, v22, v1
	v_dot4c_i32_i8_e32 v144, v16, v1
	s_waitcnt lgkmcnt(2)
	v_dot4c_i32_i8_e32 v146, v12, v1
	v_dot4c_i32_i8_e32 v135, v33, v5
	v_dot4c_i32_i8_e32 v142, v23, v5
	v_dot4c_i32_i8_e32 v144, v17, v5
	v_dot4c_i32_i8_e32 v146, v13, v5
	v_dot4c_i32_i8_e32 v135, v36, v2
	v_dot4c_i32_i8_e32 v142, v30, v2
	v_dot4c_i32_i8_e32 v144, v20, v2
	s_waitcnt lgkmcnt(1)
	v_dot4c_i32_i8_e32 v146, v18, v2
	v_dot4c_i32_i8_e32 v135, v37, v6
	v_dot4c_i32_i8_e32 v142, v31, v6
	v_dot4c_i32_i8_e32 v144, v21, v6
	v_dot4c_i32_i8_e32 v146, v19, v6
	;; [unrolled: 9-line block ×3, first 2 shown]
	ds_read_b128 v[0:3], v43 offset:1024
	ds_read_b128 v[4:7], v43 offset:1040
	v_mov_b32_e32 v140, 0
	v_pk_mul_f16 v138, v40, v134
	v_pk_mul_f16 v139, v134, v41
	s_waitcnt lgkmcnt(1)
	v_dot4c_i32_i8_e32 v140, v26, v0
	s_waitcnt lgkmcnt(0)
	v_dot4c_i32_i8_e32 v140, v27, v4
	v_dot4c_i32_i8_e32 v140, v32, v1
	;; [unrolled: 1-line block ×7, first 2 shown]
	v_cvt_f32_f16_e32 v137, v139
	v_cvt_f32_f16_e32 v136, v138
	v_cvt_f32_f16_sdwa v139, v139 dst_sel:DWORD dst_unused:UNUSED_PAD src0_sel:WORD_1
	v_cvt_f32_i32_e32 v141, v140
	v_cvt_f32_i32_e32 v140, v135
	v_mov_b32_e32 v135, 0
	v_dot4c_i32_i8_e32 v135, v14, v0
	v_dot4c_i32_i8_e32 v135, v15, v4
	;; [unrolled: 1-line block ×4, first 2 shown]
	v_cvt_f32_f16_sdwa v138, v138 dst_sel:DWORD dst_unused:UNUSED_PAD src0_sel:WORD_1
	v_dot4c_i32_i8_e32 v135, v30, v2
	v_dot4c_i32_i8_e32 v135, v31, v6
	v_dot4c_i32_i8_e32 v135, v34, v3
	v_dot4c_i32_i8_e32 v135, v35, v7
	v_pk_fma_f32 v[136:137], v[136:137], v[140:141], v[138:139]
	v_pk_mul_f16 v143, v40, v51
	v_pk_mul_f16 v138, v51, v41
	v_cvt_f32_i32_e32 v141, v135
	v_mov_b32_e32 v135, 0
	v_dot4c_i32_i8_e32 v135, v10, v0
	v_dot4c_i32_i8_e32 v135, v11, v4
	;; [unrolled: 1-line block ×4, first 2 shown]
	v_pk_add_f32 v[102:103], v[102:103], v[136:137]
	v_cvt_f32_f16_e32 v137, v138
	v_cvt_f32_f16_e32 v136, v143
	v_cvt_f32_f16_sdwa v139, v138 dst_sel:DWORD dst_unused:UNUSED_PAD src0_sel:WORD_1
	v_cvt_f32_f16_sdwa v138, v143 dst_sel:DWORD dst_unused:UNUSED_PAD src0_sel:WORD_1
	v_cvt_f32_i32_e32 v140, v142
	v_dot4c_i32_i8_e32 v135, v20, v2
	v_dot4c_i32_i8_e32 v135, v21, v6
	v_dot4c_i32_i8_e32 v135, v28, v3
	v_dot4c_i32_i8_e32 v135, v29, v7
	v_pk_fma_f32 v[136:137], v[136:137], v[140:141], v[138:139]
	v_pk_mul_f16 v145, v40, v50
	v_pk_mul_f16 v40, v40, v49
	v_cvt_f32_i32_e32 v141, v135
	v_mov_b32_e32 v135, 0
	v_dot4c_i32_i8_e32 v135, v8, v0
	v_dot4c_i32_i8_e32 v135, v9, v4
	;; [unrolled: 1-line block ×8, first 2 shown]
	v_pk_mul_f16 v2, v49, v41
	v_cvt_f32_f16_e32 v0, v40
	v_cvt_f32_f16_e32 v1, v2
	v_cvt_f32_f16_sdwa v3, v2 dst_sel:DWORD dst_unused:UNUSED_PAD src0_sel:WORD_1
	v_cvt_f32_f16_sdwa v2, v40 dst_sel:DWORD dst_unused:UNUSED_PAD src0_sel:WORD_1
	v_cvt_f32_i32_e32 v5, v135
	v_cvt_f32_i32_e32 v4, v146
	v_pk_mul_f16 v138, v50, v41
	v_cvt_f32_i32_e32 v140, v144
	v_mov_b32_e32 v135, 0
	v_pk_fma_f32 v[0:1], v[0:1], v[4:5], v[2:3]
	v_mov_b32_e32 v142, 0
	v_pk_add_f32 v[132:133], v[132:133], v[0:1]
	ds_read_b128 v[0:3], v43 offset:2048
	ds_read_b128 v[4:7], v43 offset:2064
	ds_read2_b32 v[40:41], v42 offset0:64 offset1:96
	v_mov_b32_e32 v144, 0
	v_mov_b32_e32 v146, 0
	s_waitcnt lgkmcnt(2)
	v_dot4c_i32_i8_e32 v135, v26, v0
	v_dot4c_i32_i8_e32 v142, v14, v0
	;; [unrolled: 1-line block ×4, first 2 shown]
	s_waitcnt lgkmcnt(1)
	v_dot4c_i32_i8_e32 v135, v27, v4
	v_dot4c_i32_i8_e32 v142, v15, v4
	;; [unrolled: 1-line block ×20, first 2 shown]
	v_pk_add_f32 v[122:123], v[122:123], v[136:137]
	v_cvt_f32_f16_e32 v137, v138
	v_cvt_f32_f16_e32 v136, v145
	v_cvt_f32_f16_sdwa v139, v138 dst_sel:DWORD dst_unused:UNUSED_PAD src0_sel:WORD_1
	v_cvt_f32_f16_sdwa v138, v145 dst_sel:DWORD dst_unused:UNUSED_PAD src0_sel:WORD_1
	v_dot4c_i32_i8_e32 v135, v38, v3
	v_dot4c_i32_i8_e32 v142, v34, v3
	;; [unrolled: 1-line block ×8, first 2 shown]
	ds_read_b128 v[0:3], v43 offset:3072
	ds_read_b128 v[4:7], v43 offset:3088
	v_pk_fma_f32 v[136:137], v[136:137], v[140:141], v[138:139]
	v_mov_b32_e32 v140, 0
	s_waitcnt lgkmcnt(2)
	v_pk_mul_f16 v138, v134, v40
	s_waitcnt lgkmcnt(1)
	v_dot4c_i32_i8_e32 v140, v26, v0
	s_waitcnt lgkmcnt(0)
	v_dot4c_i32_i8_e32 v140, v27, v4
	v_dot4c_i32_i8_e32 v140, v32, v1
	;; [unrolled: 1-line block ×7, first 2 shown]
	v_pk_mul_f16 v139, v134, v41
	v_pk_add_f32 v[128:129], v[128:129], v[136:137]
	v_cvt_f32_f16_e32 v137, v139
	v_cvt_f32_i32_e32 v141, v140
	v_cvt_f32_i32_e32 v140, v135
	v_mov_b32_e32 v135, 0
	v_dot4c_i32_i8_e32 v135, v14, v0
	v_dot4c_i32_i8_e32 v135, v15, v4
	;; [unrolled: 1-line block ×4, first 2 shown]
	v_cvt_f32_f16_e32 v136, v138
	v_cvt_f32_f16_sdwa v139, v139 dst_sel:DWORD dst_unused:UNUSED_PAD src0_sel:WORD_1
	v_cvt_f32_f16_sdwa v138, v138 dst_sel:DWORD dst_unused:UNUSED_PAD src0_sel:WORD_1
	v_dot4c_i32_i8_e32 v135, v30, v2
	v_dot4c_i32_i8_e32 v135, v31, v6
	;; [unrolled: 1-line block ×4, first 2 shown]
	v_pk_fma_f32 v[136:137], v[140:141], v[136:137], v[138:139]
	v_pk_mul_f16 v143, v51, v40
	v_pk_mul_f16 v138, v51, v41
	v_cvt_f32_i32_e32 v141, v135
	v_mov_b32_e32 v135, 0
	v_dot4c_i32_i8_e32 v135, v10, v0
	v_dot4c_i32_i8_e32 v135, v11, v4
	;; [unrolled: 1-line block ×4, first 2 shown]
	v_pk_add_f32 v[110:111], v[110:111], v[136:137]
	v_cvt_f32_f16_e32 v137, v138
	v_cvt_f32_f16_e32 v136, v143
	v_cvt_f32_f16_sdwa v139, v138 dst_sel:DWORD dst_unused:UNUSED_PAD src0_sel:WORD_1
	v_cvt_f32_f16_sdwa v138, v143 dst_sel:DWORD dst_unused:UNUSED_PAD src0_sel:WORD_1
	v_cvt_f32_i32_e32 v140, v142
	v_dot4c_i32_i8_e32 v135, v20, v2
	v_dot4c_i32_i8_e32 v135, v21, v6
	;; [unrolled: 1-line block ×4, first 2 shown]
	v_pk_fma_f32 v[136:137], v[140:141], v[136:137], v[138:139]
	v_pk_mul_f16 v145, v50, v40
	v_pk_mul_f16 v40, v49, v40
	v_cvt_f32_i32_e32 v141, v135
	v_mov_b32_e32 v135, 0
	v_dot4c_i32_i8_e32 v135, v8, v0
	v_dot4c_i32_i8_e32 v135, v9, v4
	;; [unrolled: 1-line block ×8, first 2 shown]
	v_pk_mul_f16 v2, v49, v41
	v_cvt_f32_f16_e32 v0, v40
	v_cvt_f32_f16_e32 v1, v2
	v_cvt_f32_f16_sdwa v3, v2 dst_sel:DWORD dst_unused:UNUSED_PAD src0_sel:WORD_1
	v_cvt_f32_f16_sdwa v2, v40 dst_sel:DWORD dst_unused:UNUSED_PAD src0_sel:WORD_1
	v_cvt_f32_i32_e32 v5, v135
	v_cvt_f32_i32_e32 v4, v146
	v_pk_mul_f16 v138, v50, v41
	v_cvt_f32_i32_e32 v140, v144
	v_mov_b32_e32 v135, 0
	v_pk_fma_f32 v[0:1], v[4:5], v[0:1], v[2:3]
	v_mov_b32_e32 v142, 0
	v_pk_add_f32 v[130:131], v[130:131], v[0:1]
	ds_read_b128 v[0:3], v43 offset:4096
	ds_read_b128 v[4:7], v43 offset:4112
	ds_read2_b32 v[40:41], v42 offset0:128 offset1:160
	v_mov_b32_e32 v144, 0
	v_mov_b32_e32 v146, 0
	s_waitcnt lgkmcnt(2)
	v_dot4c_i32_i8_e32 v135, v26, v0
	v_dot4c_i32_i8_e32 v142, v14, v0
	;; [unrolled: 1-line block ×4, first 2 shown]
	s_waitcnt lgkmcnt(1)
	v_dot4c_i32_i8_e32 v135, v27, v4
	v_dot4c_i32_i8_e32 v142, v15, v4
	v_dot4c_i32_i8_e32 v144, v11, v4
	v_dot4c_i32_i8_e32 v146, v9, v4
	v_dot4c_i32_i8_e32 v135, v32, v1
	v_dot4c_i32_i8_e32 v142, v22, v1
	v_dot4c_i32_i8_e32 v144, v16, v1
	v_dot4c_i32_i8_e32 v146, v12, v1
	v_dot4c_i32_i8_e32 v135, v33, v5
	v_dot4c_i32_i8_e32 v142, v23, v5
	v_dot4c_i32_i8_e32 v144, v17, v5
	v_dot4c_i32_i8_e32 v146, v13, v5
	v_dot4c_i32_i8_e32 v135, v36, v2
	v_dot4c_i32_i8_e32 v142, v30, v2
	v_dot4c_i32_i8_e32 v144, v20, v2
	v_dot4c_i32_i8_e32 v146, v18, v2
	v_dot4c_i32_i8_e32 v135, v37, v6
	v_dot4c_i32_i8_e32 v142, v31, v6
	v_dot4c_i32_i8_e32 v144, v21, v6
	v_dot4c_i32_i8_e32 v146, v19, v6
	v_pk_add_f32 v[116:117], v[116:117], v[136:137]
	v_cvt_f32_f16_e32 v137, v138
	v_cvt_f32_f16_e32 v136, v145
	v_cvt_f32_f16_sdwa v139, v138 dst_sel:DWORD dst_unused:UNUSED_PAD src0_sel:WORD_1
	v_cvt_f32_f16_sdwa v138, v145 dst_sel:DWORD dst_unused:UNUSED_PAD src0_sel:WORD_1
	v_dot4c_i32_i8_e32 v135, v38, v3
	v_dot4c_i32_i8_e32 v142, v34, v3
	;; [unrolled: 1-line block ×8, first 2 shown]
	ds_read_b128 v[0:3], v43 offset:5120
	ds_read_b128 v[4:7], v43 offset:5136
	v_pk_fma_f32 v[136:137], v[140:141], v[136:137], v[138:139]
	v_mov_b32_e32 v140, 0
	s_waitcnt lgkmcnt(2)
	v_pk_mul_f16 v138, v134, v40
	s_waitcnt lgkmcnt(1)
	v_dot4c_i32_i8_e32 v140, v26, v0
	s_waitcnt lgkmcnt(0)
	v_dot4c_i32_i8_e32 v140, v27, v4
	v_dot4c_i32_i8_e32 v140, v32, v1
	;; [unrolled: 1-line block ×7, first 2 shown]
	v_pk_mul_f16 v139, v134, v41
	v_pk_add_f32 v[124:125], v[124:125], v[136:137]
	v_cvt_f32_f16_e32 v137, v139
	v_cvt_f32_i32_e32 v141, v140
	v_cvt_f32_i32_e32 v140, v135
	v_mov_b32_e32 v135, 0
	v_dot4c_i32_i8_e32 v135, v14, v0
	v_dot4c_i32_i8_e32 v135, v15, v4
	;; [unrolled: 1-line block ×4, first 2 shown]
	v_cvt_f32_f16_e32 v136, v138
	v_cvt_f32_f16_sdwa v139, v139 dst_sel:DWORD dst_unused:UNUSED_PAD src0_sel:WORD_1
	v_cvt_f32_f16_sdwa v138, v138 dst_sel:DWORD dst_unused:UNUSED_PAD src0_sel:WORD_1
	v_dot4c_i32_i8_e32 v135, v30, v2
	v_dot4c_i32_i8_e32 v135, v31, v6
	;; [unrolled: 1-line block ×4, first 2 shown]
	v_pk_fma_f32 v[136:137], v[140:141], v[136:137], v[138:139]
	v_pk_mul_f16 v143, v51, v40
	v_pk_mul_f16 v138, v51, v41
	v_cvt_f32_i32_e32 v141, v135
	v_mov_b32_e32 v135, 0
	v_dot4c_i32_i8_e32 v135, v10, v0
	v_dot4c_i32_i8_e32 v135, v11, v4
	;; [unrolled: 1-line block ×4, first 2 shown]
	v_pk_add_f32 v[106:107], v[106:107], v[136:137]
	v_cvt_f32_f16_e32 v137, v138
	v_cvt_f32_f16_e32 v136, v143
	v_cvt_f32_f16_sdwa v139, v138 dst_sel:DWORD dst_unused:UNUSED_PAD src0_sel:WORD_1
	v_cvt_f32_f16_sdwa v138, v143 dst_sel:DWORD dst_unused:UNUSED_PAD src0_sel:WORD_1
	v_cvt_f32_i32_e32 v140, v142
	v_dot4c_i32_i8_e32 v135, v20, v2
	v_dot4c_i32_i8_e32 v135, v21, v6
	;; [unrolled: 1-line block ×4, first 2 shown]
	v_pk_fma_f32 v[136:137], v[140:141], v[136:137], v[138:139]
	v_pk_mul_f16 v145, v50, v40
	v_pk_mul_f16 v40, v49, v40
	v_cvt_f32_i32_e32 v141, v135
	v_mov_b32_e32 v135, 0
	v_dot4c_i32_i8_e32 v135, v8, v0
	v_dot4c_i32_i8_e32 v135, v9, v4
	;; [unrolled: 1-line block ×8, first 2 shown]
	v_pk_mul_f16 v2, v49, v41
	v_cvt_f32_f16_e32 v0, v40
	v_cvt_f32_f16_e32 v1, v2
	v_cvt_f32_f16_sdwa v3, v2 dst_sel:DWORD dst_unused:UNUSED_PAD src0_sel:WORD_1
	v_cvt_f32_f16_sdwa v2, v40 dst_sel:DWORD dst_unused:UNUSED_PAD src0_sel:WORD_1
	v_cvt_f32_i32_e32 v5, v135
	v_cvt_f32_i32_e32 v4, v146
	v_pk_mul_f16 v138, v50, v41
	v_pk_add_f32 v[112:113], v[112:113], v[136:137]
	v_cvt_f32_f16_e32 v137, v138
	v_cvt_f32_f16_e32 v136, v145
	v_cvt_f32_f16_sdwa v139, v138 dst_sel:DWORD dst_unused:UNUSED_PAD src0_sel:WORD_1
	v_cvt_f32_f16_sdwa v138, v145 dst_sel:DWORD dst_unused:UNUSED_PAD src0_sel:WORD_1
	v_cvt_f32_i32_e32 v140, v144
	v_pk_fma_f32 v[0:1], v[4:5], v[0:1], v[2:3]
	v_mov_b32_e32 v135, 0
	v_pk_add_f32 v[126:127], v[126:127], v[0:1]
	ds_read_b128 v[0:3], v43 offset:6144
	ds_read_b128 v[4:7], v43 offset:6160
	ds_read2_b32 v[40:41], v42 offset0:192 offset1:224
	v_pk_fma_f32 v[136:137], v[140:141], v[136:137], v[138:139]
	v_mov_b32_e32 v139, 0
	v_pk_add_f32 v[118:119], v[118:119], v[136:137]
	v_mov_b32_e32 v137, 0
	v_mov_b32_e32 v141, 0
	s_waitcnt lgkmcnt(2)
	v_dot4c_i32_i8_e32 v135, v26, v0
	v_dot4c_i32_i8_e32 v137, v14, v0
	;; [unrolled: 1-line block ×4, first 2 shown]
	s_waitcnt lgkmcnt(1)
	v_dot4c_i32_i8_e32 v135, v27, v4
	v_dot4c_i32_i8_e32 v137, v15, v4
	v_dot4c_i32_i8_e32 v139, v11, v4
	v_dot4c_i32_i8_e32 v141, v9, v4
	v_dot4c_i32_i8_e32 v135, v32, v1
	v_dot4c_i32_i8_e32 v137, v22, v1
	v_dot4c_i32_i8_e32 v139, v16, v1
	v_dot4c_i32_i8_e32 v141, v12, v1
	v_dot4c_i32_i8_e32 v135, v33, v5
	v_dot4c_i32_i8_e32 v137, v23, v5
	v_dot4c_i32_i8_e32 v139, v17, v5
	v_dot4c_i32_i8_e32 v141, v13, v5
	v_dot4c_i32_i8_e32 v135, v36, v2
	v_dot4c_i32_i8_e32 v137, v30, v2
	v_dot4c_i32_i8_e32 v139, v20, v2
	v_dot4c_i32_i8_e32 v141, v18, v2
	v_dot4c_i32_i8_e32 v135, v37, v6
	v_dot4c_i32_i8_e32 v137, v31, v6
	v_dot4c_i32_i8_e32 v139, v21, v6
	v_dot4c_i32_i8_e32 v141, v19, v6
	v_dot4c_i32_i8_e32 v135, v38, v3
	v_dot4c_i32_i8_e32 v137, v34, v3
	v_dot4c_i32_i8_e32 v139, v28, v3
	v_dot4c_i32_i8_e32 v141, v24, v3
	v_dot4c_i32_i8_e32 v135, v39, v7
	v_dot4c_i32_i8_e32 v137, v35, v7
	v_dot4c_i32_i8_e32 v139, v29, v7
	v_dot4c_i32_i8_e32 v141, v25, v7
	ds_read_b128 v[0:3], v43 offset:7168
	ds_read_b128 v[4:7], v43 offset:7184
	v_mov_b32_e32 v142, 0
	s_waitcnt lgkmcnt(2)
	v_pk_mul_f16 v136, v134, v40
	v_pk_mul_f16 v138, v51, v40
	s_waitcnt lgkmcnt(1)
	v_dot4c_i32_i8_e32 v142, v26, v0
	s_waitcnt lgkmcnt(0)
	v_dot4c_i32_i8_e32 v142, v27, v4
	v_dot4c_i32_i8_e32 v142, v32, v1
	;; [unrolled: 1-line block ×7, first 2 shown]
	v_pk_mul_f16 v32, v134, v41
	v_cvt_f32_f16_e32 v26, v136
	v_cvt_f32_f16_e32 v27, v32
	v_cvt_f32_f16_sdwa v33, v32 dst_sel:DWORD dst_unused:UNUSED_PAD src0_sel:WORD_1
	v_cvt_f32_f16_sdwa v32, v136 dst_sel:DWORD dst_unused:UNUSED_PAD src0_sel:WORD_1
	v_cvt_f32_i32_e32 v37, v142
	v_cvt_f32_i32_e32 v36, v135
	v_pk_mul_f16 v140, v50, v40
	v_pk_mul_f16 v40, v49, v40
	s_add_i32 s0, s0, 4
	v_pk_fma_f32 v[26:27], v[36:37], v[26:27], v[32:33]
	v_add_u32_e32 v48, 4, v48
	v_pk_add_f32 v[104:105], v[104:105], v[26:27]
	v_mov_b32_e32 v26, 0
	v_dot4c_i32_i8_e32 v26, v14, v0
	v_dot4c_i32_i8_e32 v26, v15, v4
	v_dot4c_i32_i8_e32 v26, v22, v1
	v_dot4c_i32_i8_e32 v26, v23, v5
	v_dot4c_i32_i8_e32 v26, v30, v2
	v_dot4c_i32_i8_e32 v26, v31, v6
	v_dot4c_i32_i8_e32 v26, v34, v3
	v_dot4c_i32_i8_e32 v26, v35, v7
	v_pk_mul_f16 v22, v51, v41
	v_cvt_f32_f16_e32 v14, v138
	v_cvt_f32_f16_e32 v15, v22
	v_cvt_f32_f16_sdwa v23, v22 dst_sel:DWORD dst_unused:UNUSED_PAD src0_sel:WORD_1
	v_cvt_f32_f16_sdwa v22, v138 dst_sel:DWORD dst_unused:UNUSED_PAD src0_sel:WORD_1
	v_cvt_f32_i32_e32 v27, v26
	v_cvt_f32_i32_e32 v26, v137
	v_add_u32_e32 v47, 4, v47
	v_add_u32_e32 v46, 4, v46
	;; [unrolled: 1-line block ×3, first 2 shown]
	v_pk_fma_f32 v[14:15], v[26:27], v[14:15], v[22:23]
	v_mov_b32_e32 v22, 0
	v_dot4c_i32_i8_e32 v22, v10, v0
	v_dot4c_i32_i8_e32 v22, v11, v4
	;; [unrolled: 1-line block ×7, first 2 shown]
	v_pk_add_f32 v[108:109], v[108:109], v[14:15]
	v_dot4c_i32_i8_e32 v22, v29, v7
	v_pk_mul_f16 v14, v50, v41
	v_cvt_f32_f16_e32 v10, v140
	v_cvt_f32_f16_e32 v11, v14
	v_cvt_f32_f16_sdwa v15, v14 dst_sel:DWORD dst_unused:UNUSED_PAD src0_sel:WORD_1
	v_cvt_f32_f16_sdwa v14, v140 dst_sel:DWORD dst_unused:UNUSED_PAD src0_sel:WORD_1
	v_cvt_f32_i32_e32 v17, v22
	v_cvt_f32_i32_e32 v16, v139
	v_add_u32_e32 v44, 32, v44
	v_add_u32_e32 v43, 32, v43
	;; [unrolled: 1-line block ×3, first 2 shown]
	v_pk_fma_f32 v[10:11], v[16:17], v[10:11], v[14:15]
	s_cmp_lt_u32 s0, 28
	v_pk_add_f32 v[114:115], v[114:115], v[10:11]
	v_mov_b32_e32 v10, 0
	v_dot4c_i32_i8_e32 v10, v8, v0
	v_dot4c_i32_i8_e32 v10, v9, v4
	;; [unrolled: 1-line block ×8, first 2 shown]
	v_pk_mul_f16 v2, v49, v41
	v_cvt_f32_f16_e32 v0, v40
	v_cvt_f32_f16_e32 v1, v2
	v_cvt_f32_f16_sdwa v3, v2 dst_sel:DWORD dst_unused:UNUSED_PAD src0_sel:WORD_1
	v_cvt_f32_f16_sdwa v2, v40 dst_sel:DWORD dst_unused:UNUSED_PAD src0_sel:WORD_1
	v_cvt_f32_i32_e32 v5, v10
	v_cvt_f32_i32_e32 v4, v141
	v_pk_fma_f32 v[0:1], v[4:5], v[0:1], v[2:3]
	s_nop 0
	v_pk_add_f32 v[120:121], v[120:121], v[0:1]
	s_cbranch_scc1 .LBB143_12
; %bb.13:                               ;   in Loop: Header=BB143_7 Depth=1
	s_barrier
	s_branch .LBB143_6
.LBB143_14:
	v_cvt_pk_f16_f32 v20, v102, v103
	v_cvt_pk_f16_f32 v19, v122, v123
	;; [unrolled: 1-line block ×16, first 2 shown]
	v_mov_b32_e32 v4, v57
	v_cmp_gt_u32_e32 vcc, s8, v59
	s_and_saveexec_b64 s[0:1], vcc
	s_cbranch_execz .LBB143_3
.LBB143_15:
	v_add_u32_e32 v5, s4, v53
	v_mul_lo_u32 v21, v59, s10
	v_cmp_gt_u32_e32 vcc, s10, v5
	s_and_saveexec_b64 s[0:1], vcc
	s_cbranch_execz .LBB143_17
; %bb.16:
	v_add_u32_e32 v6, v5, v21
	v_mov_b32_e32 v7, 0
	s_waitcnt lgkmcnt(0)
	v_lshl_add_u64 v[6:7], v[6:7], 1, s[12:13]
	global_store_short v[6:7], v20, off
.LBB143_17:
	s_or_b64 exec, exec, s[0:1]
	v_add_u32_e32 v6, 32, v5
	v_cmp_gt_u32_e64 s[0:1], s10, v6
	s_and_saveexec_b64 s[2:3], s[0:1]
	s_cbranch_execz .LBB143_19
; %bb.18:
	v_add_u32_e32 v22, v6, v21
	v_mov_b32_e32 v23, 0
	s_waitcnt lgkmcnt(0)
	v_lshl_add_u64 v[22:23], v[22:23], 1, s[12:13]
	global_store_short v[22:23], v19, off
.LBB143_19:
	s_or_b64 exec, exec, s[2:3]
	v_add_u32_e32 v7, 64, v5
	v_cmp_gt_u32_e64 s[2:3], s10, v7
	s_and_saveexec_b64 s[4:5], s[2:3]
	;; [unrolled: 12-line block ×3, first 2 shown]
	s_cbranch_execz .LBB143_23
; %bb.22:
	v_add_u32_e32 v22, v8, v21
	v_mov_b32_e32 v23, 0
	s_waitcnt lgkmcnt(0)
	v_lshl_add_u64 v[22:23], v[22:23], 1, s[12:13]
	global_store_short v[22:23], v17, off
.LBB143_23:
	s_or_b64 exec, exec, s[6:7]
	v_add3_u32 v21, v4, s11, 8
	v_cmp_gt_u32_e64 s[6:7], s8, v21
	s_and_b64 exec, exec, s[6:7]
	s_cbranch_execz .LBB143_3
; %bb.24:
	v_mul_lo_u32 v21, v21, s10
	s_and_saveexec_b64 s[6:7], vcc
	s_cbranch_execnz .LBB143_64
; %bb.25:
	s_or_b64 exec, exec, s[6:7]
	s_and_saveexec_b64 s[6:7], s[0:1]
	s_cbranch_execnz .LBB143_65
.LBB143_26:
	s_or_b64 exec, exec, s[6:7]
	s_and_saveexec_b64 s[6:7], s[2:3]
	s_cbranch_execnz .LBB143_66
.LBB143_27:
	s_or_b64 exec, exec, s[6:7]
	s_and_saveexec_b64 s[6:7], s[4:5]
	s_cbranch_execz .LBB143_29
.LBB143_28:
	v_add_u32_e32 v18, v21, v8
	v_mov_b32_e32 v19, 0
	s_waitcnt lgkmcnt(0)
	v_lshl_add_u64 v[18:19], v[18:19], 1, s[12:13]
	global_store_short_d16_hi v[18:19], v17, off
.LBB143_29:
	s_or_b64 exec, exec, s[6:7]
	v_add3_u32 v17, v4, s11, 16
	v_cmp_gt_u32_e64 s[6:7], s8, v17
	s_and_b64 exec, exec, s[6:7]
	s_cbranch_execz .LBB143_3
; %bb.30:
	v_mul_lo_u32 v17, v17, s10
	s_and_saveexec_b64 s[6:7], vcc
	s_cbranch_execnz .LBB143_67
; %bb.31:
	s_or_b64 exec, exec, s[6:7]
	s_and_saveexec_b64 s[6:7], s[0:1]
	s_cbranch_execnz .LBB143_68
.LBB143_32:
	s_or_b64 exec, exec, s[6:7]
	s_and_saveexec_b64 s[6:7], s[2:3]
	s_cbranch_execnz .LBB143_69
.LBB143_33:
	s_or_b64 exec, exec, s[6:7]
	s_and_saveexec_b64 s[6:7], s[4:5]
	s_cbranch_execz .LBB143_35
.LBB143_34:
	v_add_u32_e32 v18, v17, v8
	v_mov_b32_e32 v19, 0
	s_waitcnt lgkmcnt(0)
	v_lshl_add_u64 v[18:19], v[18:19], 1, s[12:13]
	global_store_short v[18:19], v13, off
.LBB143_35:
	s_or_b64 exec, exec, s[6:7]
	v_add3_u32 v17, v4, s11, 24
	v_cmp_gt_u32_e64 s[6:7], s8, v17
	s_and_b64 exec, exec, s[6:7]
	s_cbranch_execz .LBB143_3
; %bb.36:
	v_mul_lo_u32 v17, v17, s10
	s_and_saveexec_b64 s[6:7], vcc
	s_cbranch_execnz .LBB143_70
; %bb.37:
	s_or_b64 exec, exec, s[6:7]
	s_and_saveexec_b64 s[6:7], s[0:1]
	s_cbranch_execnz .LBB143_71
.LBB143_38:
	s_or_b64 exec, exec, s[6:7]
	s_and_saveexec_b64 s[6:7], s[2:3]
	s_cbranch_execnz .LBB143_72
.LBB143_39:
	s_or_b64 exec, exec, s[6:7]
	s_and_saveexec_b64 s[6:7], s[4:5]
	s_cbranch_execz .LBB143_41
.LBB143_40:
	v_add_u32_e32 v14, v17, v8
	v_mov_b32_e32 v15, 0
	s_waitcnt lgkmcnt(0)
	v_lshl_add_u64 v[14:15], v[14:15], 1, s[12:13]
	global_store_short_d16_hi v[14:15], v13, off
.LBB143_41:
	s_or_b64 exec, exec, s[6:7]
	v_add3_u32 v13, v4, s11, 32
	v_cmp_gt_u32_e64 s[6:7], s8, v13
	s_and_b64 exec, exec, s[6:7]
	s_cbranch_execz .LBB143_3
; %bb.42:
	v_mul_lo_u32 v13, v13, s10
	s_and_saveexec_b64 s[6:7], vcc
	s_cbranch_execnz .LBB143_73
; %bb.43:
	s_or_b64 exec, exec, s[6:7]
	s_and_saveexec_b64 s[6:7], s[0:1]
	s_cbranch_execnz .LBB143_74
.LBB143_44:
	s_or_b64 exec, exec, s[6:7]
	s_and_saveexec_b64 s[6:7], s[2:3]
	s_cbranch_execnz .LBB143_75
.LBB143_45:
	s_or_b64 exec, exec, s[6:7]
	s_and_saveexec_b64 s[6:7], s[4:5]
	s_cbranch_execz .LBB143_47
.LBB143_46:
	v_add_u32_e32 v14, v13, v8
	v_mov_b32_e32 v15, 0
	s_waitcnt lgkmcnt(0)
	v_lshl_add_u64 v[14:15], v[14:15], 1, s[12:13]
	global_store_short v[14:15], v9, off
.LBB143_47:
	s_or_b64 exec, exec, s[6:7]
	v_add3_u32 v13, v4, s11, 40
	v_cmp_gt_u32_e64 s[6:7], s8, v13
	s_and_b64 exec, exec, s[6:7]
	s_cbranch_execz .LBB143_3
; %bb.48:
	v_mul_lo_u32 v13, v13, s10
	s_and_saveexec_b64 s[6:7], vcc
	s_cbranch_execnz .LBB143_76
; %bb.49:
	s_or_b64 exec, exec, s[6:7]
	s_and_saveexec_b64 s[6:7], s[0:1]
	s_cbranch_execnz .LBB143_77
.LBB143_50:
	s_or_b64 exec, exec, s[6:7]
	s_and_saveexec_b64 s[6:7], s[2:3]
	s_cbranch_execnz .LBB143_78
.LBB143_51:
	s_or_b64 exec, exec, s[6:7]
	s_and_saveexec_b64 s[6:7], s[4:5]
	s_cbranch_execz .LBB143_53
.LBB143_52:
	v_add_u32_e32 v10, v13, v8
	v_mov_b32_e32 v11, 0
	s_waitcnt lgkmcnt(0)
	v_lshl_add_u64 v[10:11], v[10:11], 1, s[12:13]
	global_store_short_d16_hi v[10:11], v9, off
.LBB143_53:
	s_or_b64 exec, exec, s[6:7]
	v_add3_u32 v9, v4, s11, 48
	v_cmp_gt_u32_e64 s[6:7], s8, v9
	s_and_b64 exec, exec, s[6:7]
	s_cbranch_execz .LBB143_3
; %bb.54:
	v_mul_lo_u32 v9, v9, s10
	s_and_saveexec_b64 s[6:7], vcc
	s_cbranch_execnz .LBB143_79
; %bb.55:
	s_or_b64 exec, exec, s[6:7]
	s_and_saveexec_b64 s[6:7], s[0:1]
	s_cbranch_execnz .LBB143_80
.LBB143_56:
	s_or_b64 exec, exec, s[6:7]
	s_and_saveexec_b64 s[6:7], s[2:3]
	s_cbranch_execnz .LBB143_81
.LBB143_57:
	s_or_b64 exec, exec, s[6:7]
	s_and_saveexec_b64 s[6:7], s[4:5]
	s_cbranch_execz .LBB143_59
.LBB143_58:
	v_add_u32_e32 v10, v9, v8
	v_mov_b32_e32 v11, 0
	s_waitcnt lgkmcnt(0)
	v_lshl_add_u64 v[10:11], v[10:11], 1, s[12:13]
	global_store_short v[10:11], v0, off
.LBB143_59:
	s_or_b64 exec, exec, s[6:7]
	v_add3_u32 v4, v4, s11, 56
	v_cmp_gt_u32_e64 s[6:7], s8, v4
	s_and_b64 exec, exec, s[6:7]
	s_cbranch_execz .LBB143_3
; %bb.60:
	v_mul_lo_u32 v4, v4, s10
	s_and_saveexec_b64 s[6:7], vcc
	s_cbranch_execnz .LBB143_82
; %bb.61:
	s_or_b64 exec, exec, s[6:7]
	s_and_saveexec_b64 s[6:7], s[0:1]
	s_cbranch_execnz .LBB143_83
.LBB143_62:
	s_or_b64 exec, exec, s[6:7]
	s_and_saveexec_b64 s[0:1], s[2:3]
	s_cbranch_execnz .LBB143_84
.LBB143_63:
	s_or_b64 exec, exec, s[0:1]
	s_and_b64 exec, exec, s[4:5]
	s_cbranch_execz .LBB143_3
	s_branch .LBB143_85
.LBB143_64:
	v_add_u32_e32 v22, v21, v5
	v_mov_b32_e32 v23, 0
	s_waitcnt lgkmcnt(0)
	v_lshl_add_u64 v[22:23], v[22:23], 1, s[12:13]
	global_store_short_d16_hi v[22:23], v20, off
	s_or_b64 exec, exec, s[6:7]
	s_and_saveexec_b64 s[6:7], s[0:1]
	s_cbranch_execz .LBB143_26
.LBB143_65:
	v_add_u32_e32 v22, v21, v6
	v_mov_b32_e32 v23, 0
	s_waitcnt lgkmcnt(0)
	v_lshl_add_u64 v[22:23], v[22:23], 1, s[12:13]
	global_store_short_d16_hi v[22:23], v19, off
	s_or_b64 exec, exec, s[6:7]
	s_and_saveexec_b64 s[6:7], s[2:3]
	s_cbranch_execz .LBB143_27
.LBB143_66:
	v_add_u32_e32 v22, v21, v7
	v_mov_b32_e32 v23, 0
	s_waitcnt lgkmcnt(0)
	v_lshl_add_u64 v[22:23], v[22:23], 1, s[12:13]
	global_store_short_d16_hi v[22:23], v18, off
	s_or_b64 exec, exec, s[6:7]
	s_and_saveexec_b64 s[6:7], s[4:5]
	s_cbranch_execnz .LBB143_28
	s_branch .LBB143_29
.LBB143_67:
	v_add_u32_e32 v18, v17, v5
	v_mov_b32_e32 v19, 0
	s_waitcnt lgkmcnt(0)
	v_lshl_add_u64 v[18:19], v[18:19], 1, s[12:13]
	global_store_short v[18:19], v16, off
	s_or_b64 exec, exec, s[6:7]
	s_and_saveexec_b64 s[6:7], s[0:1]
	s_cbranch_execz .LBB143_32
.LBB143_68:
	v_add_u32_e32 v18, v17, v6
	v_mov_b32_e32 v19, 0
	s_waitcnt lgkmcnt(0)
	v_lshl_add_u64 v[18:19], v[18:19], 1, s[12:13]
	global_store_short v[18:19], v15, off
	s_or_b64 exec, exec, s[6:7]
	s_and_saveexec_b64 s[6:7], s[2:3]
	s_cbranch_execz .LBB143_33
.LBB143_69:
	v_add_u32_e32 v18, v17, v7
	v_mov_b32_e32 v19, 0
	s_waitcnt lgkmcnt(0)
	v_lshl_add_u64 v[18:19], v[18:19], 1, s[12:13]
	global_store_short v[18:19], v14, off
	s_or_b64 exec, exec, s[6:7]
	s_and_saveexec_b64 s[6:7], s[4:5]
	s_cbranch_execnz .LBB143_34
	s_branch .LBB143_35
.LBB143_70:
	v_add_u32_e32 v18, v17, v5
	v_mov_b32_e32 v19, 0
	s_waitcnt lgkmcnt(0)
	v_lshl_add_u64 v[18:19], v[18:19], 1, s[12:13]
	global_store_short_d16_hi v[18:19], v16, off
	s_or_b64 exec, exec, s[6:7]
	s_and_saveexec_b64 s[6:7], s[0:1]
	s_cbranch_execz .LBB143_38
.LBB143_71:
	v_add_u32_e32 v18, v17, v6
	v_mov_b32_e32 v19, 0
	s_waitcnt lgkmcnt(0)
	v_lshl_add_u64 v[18:19], v[18:19], 1, s[12:13]
	global_store_short_d16_hi v[18:19], v15, off
	s_or_b64 exec, exec, s[6:7]
	s_and_saveexec_b64 s[6:7], s[2:3]
	s_cbranch_execz .LBB143_39
.LBB143_72:
	v_add_u32_e32 v18, v17, v7
	v_mov_b32_e32 v19, 0
	s_waitcnt lgkmcnt(0)
	v_lshl_add_u64 v[18:19], v[18:19], 1, s[12:13]
	global_store_short_d16_hi v[18:19], v14, off
	s_or_b64 exec, exec, s[6:7]
	s_and_saveexec_b64 s[6:7], s[4:5]
	s_cbranch_execnz .LBB143_40
	s_branch .LBB143_41
.LBB143_73:
	v_add_u32_e32 v14, v13, v5
	v_mov_b32_e32 v15, 0
	s_waitcnt lgkmcnt(0)
	v_lshl_add_u64 v[14:15], v[14:15], 1, s[12:13]
	global_store_short v[14:15], v12, off
	s_or_b64 exec, exec, s[6:7]
	s_and_saveexec_b64 s[6:7], s[0:1]
	s_cbranch_execz .LBB143_44
.LBB143_74:
	v_add_u32_e32 v14, v13, v6
	v_mov_b32_e32 v15, 0
	s_waitcnt lgkmcnt(0)
	v_lshl_add_u64 v[14:15], v[14:15], 1, s[12:13]
	global_store_short v[14:15], v11, off
	s_or_b64 exec, exec, s[6:7]
	s_and_saveexec_b64 s[6:7], s[2:3]
	s_cbranch_execz .LBB143_45
.LBB143_75:
	v_add_u32_e32 v14, v13, v7
	v_mov_b32_e32 v15, 0
	s_waitcnt lgkmcnt(0)
	v_lshl_add_u64 v[14:15], v[14:15], 1, s[12:13]
	global_store_short v[14:15], v10, off
	s_or_b64 exec, exec, s[6:7]
	s_and_saveexec_b64 s[6:7], s[4:5]
	s_cbranch_execnz .LBB143_46
	s_branch .LBB143_47
.LBB143_76:
	v_add_u32_e32 v14, v13, v5
	v_mov_b32_e32 v15, 0
	s_waitcnt lgkmcnt(0)
	v_lshl_add_u64 v[14:15], v[14:15], 1, s[12:13]
	global_store_short_d16_hi v[14:15], v12, off
	s_or_b64 exec, exec, s[6:7]
	s_and_saveexec_b64 s[6:7], s[0:1]
	s_cbranch_execz .LBB143_50
.LBB143_77:
	v_add_u32_e32 v14, v13, v6
	v_mov_b32_e32 v15, 0
	s_waitcnt lgkmcnt(0)
	v_lshl_add_u64 v[14:15], v[14:15], 1, s[12:13]
	global_store_short_d16_hi v[14:15], v11, off
	s_or_b64 exec, exec, s[6:7]
	s_and_saveexec_b64 s[6:7], s[2:3]
	s_cbranch_execz .LBB143_51
.LBB143_78:
	v_add_u32_e32 v14, v13, v7
	v_mov_b32_e32 v15, 0
	s_waitcnt lgkmcnt(0)
	v_lshl_add_u64 v[14:15], v[14:15], 1, s[12:13]
	global_store_short_d16_hi v[14:15], v10, off
	s_or_b64 exec, exec, s[6:7]
	s_and_saveexec_b64 s[6:7], s[4:5]
	s_cbranch_execnz .LBB143_52
	s_branch .LBB143_53
.LBB143_79:
	v_add_u32_e32 v10, v9, v5
	v_mov_b32_e32 v11, 0
	s_waitcnt lgkmcnt(0)
	v_lshl_add_u64 v[10:11], v[10:11], 1, s[12:13]
	global_store_short v[10:11], v3, off
	s_or_b64 exec, exec, s[6:7]
	s_and_saveexec_b64 s[6:7], s[0:1]
	s_cbranch_execz .LBB143_56
.LBB143_80:
	v_add_u32_e32 v10, v9, v6
	v_mov_b32_e32 v11, 0
	s_waitcnt lgkmcnt(0)
	v_lshl_add_u64 v[10:11], v[10:11], 1, s[12:13]
	global_store_short v[10:11], v2, off
	s_or_b64 exec, exec, s[6:7]
	s_and_saveexec_b64 s[6:7], s[2:3]
	s_cbranch_execz .LBB143_57
.LBB143_81:
	v_add_u32_e32 v10, v9, v7
	v_mov_b32_e32 v11, 0
	s_waitcnt lgkmcnt(0)
	v_lshl_add_u64 v[10:11], v[10:11], 1, s[12:13]
	global_store_short v[10:11], v1, off
	s_or_b64 exec, exec, s[6:7]
	s_and_saveexec_b64 s[6:7], s[4:5]
	s_cbranch_execnz .LBB143_58
	s_branch .LBB143_59
.LBB143_82:
	v_add_u32_e32 v10, v4, v5
	v_mov_b32_e32 v11, 0
	s_waitcnt lgkmcnt(0)
	v_lshl_add_u64 v[10:11], v[10:11], 1, s[12:13]
	global_store_short_d16_hi v[10:11], v3, off
	s_or_b64 exec, exec, s[6:7]
	s_and_saveexec_b64 s[6:7], s[0:1]
	s_cbranch_execz .LBB143_62
.LBB143_83:
	v_add_u32_e32 v10, v4, v6
	v_mov_b32_e32 v11, 0
	s_waitcnt lgkmcnt(0)
	v_lshl_add_u64 v[10:11], v[10:11], 1, s[12:13]
	global_store_short_d16_hi v[10:11], v2, off
	s_or_b64 exec, exec, s[6:7]
	s_and_saveexec_b64 s[0:1], s[2:3]
	s_cbranch_execz .LBB143_63
.LBB143_84:
	v_add_u32_e32 v2, v4, v7
	v_mov_b32_e32 v3, 0
	s_waitcnt lgkmcnt(0)
	v_lshl_add_u64 v[2:3], v[2:3], 1, s[12:13]
	global_store_short_d16_hi v[2:3], v1, off
	s_or_b64 exec, exec, s[0:1]
	s_and_b64 exec, exec, s[4:5]
	s_cbranch_execz .LBB143_3
.LBB143_85:
	v_add_u32_e32 v2, v4, v8
	v_mov_b32_e32 v3, 0
	s_waitcnt lgkmcnt(0)
	v_lshl_add_u64 v[2:3], v[2:3], 1, s[12:13]
	global_store_short_d16_hi v[2:3], v0, off
	s_endpgm
	.section	.rodata,"a",@progbits
	.p2align	6, 0x0
	.amdhsa_kernel _ZL12mul_mat_q5_1IN3c104HalfELb0EEvPKvS3_PT_iiiii
		.amdhsa_group_segment_fixed_size 46720
		.amdhsa_private_segment_fixed_size 0
		.amdhsa_kernarg_size 44
		.amdhsa_user_sgpr_count 2
		.amdhsa_user_sgpr_dispatch_ptr 0
		.amdhsa_user_sgpr_queue_ptr 0
		.amdhsa_user_sgpr_kernarg_segment_ptr 1
		.amdhsa_user_sgpr_dispatch_id 0
		.amdhsa_user_sgpr_kernarg_preload_length 0
		.amdhsa_user_sgpr_kernarg_preload_offset 0
		.amdhsa_user_sgpr_private_segment_size 0
		.amdhsa_uses_dynamic_stack 0
		.amdhsa_enable_private_segment 0
		.amdhsa_system_sgpr_workgroup_id_x 1
		.amdhsa_system_sgpr_workgroup_id_y 1
		.amdhsa_system_sgpr_workgroup_id_z 0
		.amdhsa_system_sgpr_workgroup_info 0
		.amdhsa_system_vgpr_workitem_id 1
		.amdhsa_next_free_vgpr 246
		.amdhsa_next_free_sgpr 96
		.amdhsa_accum_offset 248
		.amdhsa_reserve_vcc 1
		.amdhsa_float_round_mode_32 0
		.amdhsa_float_round_mode_16_64 0
		.amdhsa_float_denorm_mode_32 3
		.amdhsa_float_denorm_mode_16_64 3
		.amdhsa_dx10_clamp 1
		.amdhsa_ieee_mode 1
		.amdhsa_fp16_overflow 0
		.amdhsa_tg_split 0
		.amdhsa_exception_fp_ieee_invalid_op 0
		.amdhsa_exception_fp_denorm_src 0
		.amdhsa_exception_fp_ieee_div_zero 0
		.amdhsa_exception_fp_ieee_overflow 0
		.amdhsa_exception_fp_ieee_underflow 0
		.amdhsa_exception_fp_ieee_inexact 0
		.amdhsa_exception_int_div_zero 0
	.end_amdhsa_kernel
	.section	.text._ZL12mul_mat_q5_1IN3c104HalfELb0EEvPKvS3_PT_iiiii,"axG",@progbits,_ZL12mul_mat_q5_1IN3c104HalfELb0EEvPKvS3_PT_iiiii,comdat
.Lfunc_end143:
	.size	_ZL12mul_mat_q5_1IN3c104HalfELb0EEvPKvS3_PT_iiiii, .Lfunc_end143-_ZL12mul_mat_q5_1IN3c104HalfELb0EEvPKvS3_PT_iiiii
                                        ; -- End function
	.set _ZL12mul_mat_q5_1IN3c104HalfELb0EEvPKvS3_PT_iiiii.num_vgpr, 246
	.set _ZL12mul_mat_q5_1IN3c104HalfELb0EEvPKvS3_PT_iiiii.num_agpr, 0
	.set _ZL12mul_mat_q5_1IN3c104HalfELb0EEvPKvS3_PT_iiiii.numbered_sgpr, 18
	.set _ZL12mul_mat_q5_1IN3c104HalfELb0EEvPKvS3_PT_iiiii.num_named_barrier, 0
	.set _ZL12mul_mat_q5_1IN3c104HalfELb0EEvPKvS3_PT_iiiii.private_seg_size, 0
	.set _ZL12mul_mat_q5_1IN3c104HalfELb0EEvPKvS3_PT_iiiii.uses_vcc, 1
	.set _ZL12mul_mat_q5_1IN3c104HalfELb0EEvPKvS3_PT_iiiii.uses_flat_scratch, 0
	.set _ZL12mul_mat_q5_1IN3c104HalfELb0EEvPKvS3_PT_iiiii.has_dyn_sized_stack, 0
	.set _ZL12mul_mat_q5_1IN3c104HalfELb0EEvPKvS3_PT_iiiii.has_recursion, 0
	.set _ZL12mul_mat_q5_1IN3c104HalfELb0EEvPKvS3_PT_iiiii.has_indirect_call, 0
	.section	.AMDGPU.csdata,"",@progbits
; Kernel info:
; codeLenInByte = 12628
; TotalNumSgprs: 24
; NumVgprs: 246
; NumAgprs: 0
; TotalNumVgprs: 246
; ScratchSize: 0
; MemoryBound: 0
; FloatMode: 240
; IeeeMode: 1
; LDSByteSize: 46720 bytes/workgroup (compile time only)
; SGPRBlocks: 12
; VGPRBlocks: 30
; NumSGPRsForWavesPerEU: 102
; NumVGPRsForWavesPerEU: 246
; AccumOffset: 248
; Occupancy: 2
; WaveLimiterHint : 0
; COMPUTE_PGM_RSRC2:SCRATCH_EN: 0
; COMPUTE_PGM_RSRC2:USER_SGPR: 2
; COMPUTE_PGM_RSRC2:TRAP_HANDLER: 0
; COMPUTE_PGM_RSRC2:TGID_X_EN: 1
; COMPUTE_PGM_RSRC2:TGID_Y_EN: 1
; COMPUTE_PGM_RSRC2:TGID_Z_EN: 0
; COMPUTE_PGM_RSRC2:TIDIG_COMP_CNT: 1
; COMPUTE_PGM_RSRC3_GFX90A:ACCUM_OFFSET: 61
; COMPUTE_PGM_RSRC3_GFX90A:TG_SPLIT: 0
	.section	.text._ZL12mul_mat_q5_1IN3c104HalfELb1EEvPKvS3_PT_iiiii,"axG",@progbits,_ZL12mul_mat_q5_1IN3c104HalfELb1EEvPKvS3_PT_iiiii,comdat
	.globl	_ZL12mul_mat_q5_1IN3c104HalfELb1EEvPKvS3_PT_iiiii ; -- Begin function _ZL12mul_mat_q5_1IN3c104HalfELb1EEvPKvS3_PT_iiiii
	.p2align	8
	.type	_ZL12mul_mat_q5_1IN3c104HalfELb1EEvPKvS3_PT_iiiii,@function
_ZL12mul_mat_q5_1IN3c104HalfELb1EEvPKvS3_PT_iiiii: ; @_ZL12mul_mat_q5_1IN3c104HalfELb1EEvPKvS3_PT_iiiii
; %bb.0:
	s_load_dwordx4 s[8:11], s[0:1], 0x18
	s_load_dword s14, s[0:1], 0x28
	s_lshl_b32 s15, s3, 6
	v_bfe_u32 v57, v0, 10, 10
	s_waitcnt lgkmcnt(0)
	s_cmp_gt_i32 s8, 31
	s_cbranch_scc1 .LBB144_4
; %bb.1:
	v_bfe_u32 v4, v0, 10, 10
	v_and_b32_e32 v53, 0x3ff, v0
	v_add_u32_e32 v59, s15, v4
	s_load_dwordx2 s[12:13], s[0:1], 0x10
	s_lshl_b32 s4, s2, 7
	s_cbranch_execz .LBB144_5
; %bb.2:
	v_mov_b32_e32 v0, 0
	v_mov_b32_e32 v9, 0
	v_mov_b32_e32 v13, 0
	v_mov_b32_e32 v17, 0
	v_mov_b32_e32 v1, 0
	v_mov_b32_e32 v10, 0
	v_mov_b32_e32 v14, 0
	v_mov_b32_e32 v18, 0
	v_mov_b32_e32 v2, 0
	v_mov_b32_e32 v11, 0
	v_mov_b32_e32 v15, 0
	v_mov_b32_e32 v19, 0
	v_mov_b32_e32 v3, 0
	v_mov_b32_e32 v12, 0
	v_mov_b32_e32 v16, 0
	v_mov_b32_e32 v20, 0
	v_cmp_gt_u32_e32 vcc, s10, v59
	s_and_saveexec_b64 s[0:1], vcc
	s_cbranch_execnz .LBB144_15
.LBB144_3:
	s_endpgm
.LBB144_4:
                                        ; implicit-def: $vgpr4
                                        ; implicit-def: $vgpr53
                                        ; implicit-def: $vgpr59
	s_load_dwordx2 s[12:13], s[0:1], 0x10
	s_lshl_b32 s4, s2, 7
.LBB144_5:
	s_ashr_i32 s5, s8, 31
	s_load_dwordx4 s[0:3], s[0:1], 0x0
	s_lshr_b32 s5, s5, 27
	s_ashr_i32 s6, s11, 31
	s_add_i32 s5, s8, s5
	s_lshr_b32 s6, s6, 27
	s_ashr_i32 s5, s5, 5
	s_add_i32 s6, s11, s6
	s_ashr_i32 s11, s6, 5
	s_mul_i32 s6, s5, s4
	s_mul_hi_i32 s7, s6, 24
	s_mul_i32 s6, s6, 24
	s_waitcnt lgkmcnt(0)
	s_add_u32 s6, s0, s6
	s_addc_u32 s7, s1, s7
	s_not_b32 s0, s4
	s_add_i32 s1, s9, s0
	v_and_b32_e32 v53, 0x3ff, v0
	v_min_i32_e32 v1, s1, v57
	v_lshlrev_b32_e32 v4, 3, v53
	s_movk_i32 s0, 0x104
	v_mul_lo_u32 v56, v1, s5
	v_mad_u64_u32 v[58:59], s[8:9], v1, s0, v[4:5]
	v_add_u32_e32 v1, 8, v57
	v_min_i32_e32 v3, s1, v1
	v_add_u32_e32 v8, 16, v57
	v_mul_lo_u32 v60, v3, s5
	v_mad_u64_u32 v[62:63], s[8:9], v3, s0, v[4:5]
	v_min_i32_e32 v3, s1, v8
	v_add_u32_e32 v9, 24, v57
	v_mul_lo_u32 v64, v3, s5
	v_mad_u64_u32 v[66:67], s[8:9], v3, s0, v[4:5]
	v_min_i32_e32 v3, s1, v9
	v_add_u32_e32 v10, 32, v57
	v_mul_lo_u32 v68, v3, s5
	v_mad_u64_u32 v[70:71], s[8:9], v3, s0, v[4:5]
	v_min_i32_e32 v3, s1, v10
	v_add_u32_e32 v11, 40, v57
	v_mul_lo_u32 v72, v3, s5
	v_mad_u64_u32 v[74:75], s[8:9], v3, s0, v[4:5]
	v_min_i32_e32 v3, s1, v11
	v_add_u32_e32 v12, 48, v57
	v_mul_lo_u32 v76, v3, s5
	v_mad_u64_u32 v[78:79], s[8:9], v3, s0, v[4:5]
	v_min_i32_e32 v3, s1, v12
	v_add_u32_e32 v13, 56, v57
	v_mul_lo_u32 v80, v3, s5
	v_mad_u64_u32 v[82:83], s[8:9], v3, s0, v[4:5]
	v_min_i32_e32 v3, s1, v13
	v_mul_lo_u32 v84, v3, s5
	v_mad_u64_u32 v[86:87], s[8:9], v3, s0, v[4:5]
	v_add_u32_e32 v3, 64, v57
	v_min_i32_e32 v3, s1, v3
	v_mul_lo_u32 v88, v3, s5
	v_mad_u64_u32 v[90:91], s[8:9], v3, s0, v[4:5]
	v_add_u32_e32 v3, 0x48, v57
	;; [unrolled: 4-line block ×8, first 2 shown]
	v_min_i32_e32 v3, s1, v3
	v_bfe_u32 v61, v0, 3, 7
	v_mul_lo_u32 v116, v3, s5
	v_mad_u64_u32 v[118:119], s[8:9], v3, s0, v[4:5]
	v_lshl_add_u32 v3, v57, 2, v61
	v_min_i32_e32 v4, s1, v3
	v_ashrrev_i32_e32 v5, 31, v4
	v_lshrrev_b32_e32 v5, 30, v5
	v_and_b32_e32 v120, 7, v0
	v_mul_lo_u32 v122, v4, s5
	v_add_u32_e32 v5, v4, v5
	v_lshlrev_b32_e32 v15, 5, v4
	v_add_u32_e32 v4, 32, v3
	v_and_b32_e32 v5, -4, v5
	v_lshlrev_b32_e32 v6, 2, v120
	s_mov_b32 s8, 0xa200
	v_min_i32_e32 v4, s1, v4
	v_add3_u32 v14, v5, v6, s8
	v_ashrrev_i32_e32 v5, 31, v4
	v_lshrrev_b32_e32 v5, 30, v5
	v_mul_lo_u32 v124, v4, s5
	v_add_u32_e32 v5, v4, v5
	v_lshlrev_b32_e32 v17, 5, v4
	v_add_u32_e32 v4, 64, v3
	v_and_b32_e32 v5, -4, v5
	v_min_i32_e32 v4, s1, v4
	v_add3_u32 v16, v5, v6, s8
	v_ashrrev_i32_e32 v5, 31, v4
	v_add_u32_e32 v3, 0x60, v3
	v_lshrrev_b32_e32 v5, 30, v5
	v_min_i32_e32 v3, s1, v3
	v_mul_lo_u32 v126, v4, s5
	v_add_u32_e32 v5, v4, v5
	v_lshlrev_b32_e32 v19, 5, v4
	v_ashrrev_i32_e32 v4, 31, v3
	v_lshrrev_b32_e32 v4, 30, v4
	v_bfe_u32 v52, v0, 2, 8
	v_mul_lo_u32 v128, v3, s5
	v_add_u32_e32 v4, v3, v4
	v_lshlrev_b32_e32 v21, 5, v3
	v_and_b32_e32 v3, 31, v0
	v_mov_b32_e32 v22, 0x8200
	v_lshl_or_b32 v22, v3, 2, v22
	v_lshl_add_u32 v3, v57, 3, v52
	v_and_b32_e32 v3, 63, v3
	v_and_b32_e32 v2, 3, v0
	s_add_i32 s1, s10, -1
	v_or_b32_e32 v23, s15, v3
	v_lshlrev_b32_e32 v54, 2, v2
	v_and_b32_e32 v5, -4, v5
	v_and_b32_e32 v4, -4, v4
	v_min_i32_e32 v23, s1, v23
	v_add3_u32 v18, v5, v6, s8
	v_add3_u32 v20, v4, v6, s8
	v_add_u32_e32 v59, s15, v57
	v_mad_u64_u32 v[130:131], s[8:9], v23, s11, v[2:3]
	v_lshl_or_b32 v2, v3, 4, v54
	v_cvt_f64_i32_e32 v[4:5], s1
	v_add_u32_e32 v63, 0xb280, v2
	v_cvt_f64_u32_e32 v[2:3], v59
	v_min_f64 v[2:3], v[2:3], v[4:5]
	v_cvt_i32_f64_e32 v2, v[2:3]
	v_mul_lo_u32 v65, s11, v2
	v_add_u32_e32 v2, 8, v59
	v_cvt_f64_u32_e32 v[2:3], v2
	v_min_f64 v[2:3], v[2:3], v[4:5]
	v_cvt_i32_f64_e32 v2, v[2:3]
	v_mul_lo_u32 v67, s11, v2
	;; [unrolled: 5-line block ×7, first 2 shown]
	v_add_u32_e32 v2, 56, v59
	v_mov_b32_e32 v55, 0
	v_lshlrev_b32_e32 v6, 2, v53
	v_cvt_f64_u32_e32 v[2:3], v2
	v_and_b32_e32 v6, 28, v6
	v_mov_b32_e32 v7, v55
	v_min_f64 v[2:3], v[2:3], v[4:5]
	v_cvt_i32_f64_e32 v2, v[2:3]
	v_add_u32_e32 v3, 32, v53
	v_add_u32_e32 v4, 64, v53
	;; [unrolled: 1-line block ×3, first 2 shown]
	v_lshl_add_u64 v[132:133], s[2:3], 0, v[6:7]
	v_lshlrev_b32_e32 v6, 5, v53
	v_and_b32_e32 v0, 0xfc, v0
	v_lshrrev_b32_e32 v83, 3, v3
	v_and_b32_e32 v5, 0x1fc, v5
	v_and_b32_e32 v4, 0x1fc, v4
	;; [unrolled: 1-line block ×3, first 2 shown]
	v_add_u32_e32 v0, v6, v0
	v_lshlrev_b32_e32 v23, 7, v57
	v_lshlrev_b32_e32 v1, 7, v1
	;; [unrolled: 1-line block ×7, first 2 shown]
	v_mul_lo_u32 v79, s11, v2
	v_lshlrev_b32_e32 v2, 7, v13
	v_add_u32_e32 v5, v6, v5
	v_add_u32_e32 v4, v6, v4
	;; [unrolled: 1-line block ×4, first 2 shown]
	v_mov_b32_e32 v6, 0xb280
	v_add_u32_e32 v103, 0xa210, v0
	v_mov_b32_e32 v0, 0x80
	v_mov_b32_e32 v134, v55
	;; [unrolled: 1-line block ×3, first 2 shown]
	s_add_i32 s8, s5, 3
	v_mul_u32_u24_e32 v81, 0x104, v53
	v_add_u32_e32 v85, 0xae00, v5
	v_add_u32_e32 v87, 0xaa00, v4
	;; [unrolled: 1-line block ×3, first 2 shown]
	v_lshl_add_u32 v93, v57, 4, v6
	v_add_u32_e32 v95, 0x8200, v23
	v_add_u32_e32 v97, 0xae10, v5
	;; [unrolled: 1-line block ×4, first 2 shown]
	v_mad_u32_u24 v105, v53, s0, v0
	s_mov_b32 s9, 0
	v_add_u32_e32 v107, v14, v15
	v_add_u32_e32 v109, v16, v17
	;; [unrolled: 1-line block ×12, first 2 shown]
	v_mov_b64_e32 v[142:143], v[134:135]
	v_mov_b64_e32 v[138:139], v[134:135]
	;; [unrolled: 1-line block ×15, first 2 shown]
	s_branch .LBB144_7
.LBB144_6:                              ;   in Loop: Header=BB144_7 Depth=1
	s_add_i32 s9, s9, 8
	s_add_i32 s8, s8, -8
	s_cmp_ge_i32 s9, s5
	s_cbranch_scc1 .LBB144_14
.LBB144_7:                              ; =>This Loop Header: Depth=1
                                        ;     Child Loop BB144_9 Depth 2
                                        ;     Child Loop BB144_12 Depth 2
	s_mul_i32 s0, s9, 24
	s_mul_hi_u32 s1, s9, 24
	s_add_u32 s0, s6, s0
	s_addc_u32 s1, s7, s1
	v_mad_u64_u32 v[0:1], s[16:17], v52, 24, s[0:1]
	v_mad_i64_i32 v[2:3], s[16:17], v56, 24, v[0:1]
	v_mad_i64_i32 v[10:11], s[16:17], v68, 24, v[0:1]
	v_lshl_add_u64 v[4:5], v[2:3], 0, v[54:55]
	v_mad_i64_i32 v[6:7], s[16:17], v60, 24, v[0:1]
	v_mad_i64_i32 v[8:9], s[16:17], v64, 24, v[0:1]
	global_load_dword v18, v[10:11], off offset:4
	global_load_dword v19, v[8:9], off offset:4
	;; [unrolled: 1-line block ×5, first 2 shown]
	v_lshl_add_u64 v[2:3], v[6:7], 0, v[54:55]
	global_load_dword v23, v[2:3], off offset:8
	v_lshl_add_u64 v[2:3], v[8:9], 0, v[54:55]
	v_lshl_add_u64 v[4:5], v[10:11], 0, v[54:55]
	global_load_dword v24, v[2:3], off offset:8
	global_load_dword v25, v[4:5], off offset:8
	v_mad_i64_i32 v[2:3], s[16:17], v72, 24, v[0:1]
	v_mad_i64_i32 v[4:5], s[16:17], v76, 24, v[0:1]
	;; [unrolled: 1-line block ×4, first 2 shown]
	v_lshl_add_u64 v[10:11], v[2:3], 0, v[54:55]
	v_lshl_add_u64 v[12:13], v[4:5], 0, v[54:55]
	;; [unrolled: 1-line block ×4, first 2 shown]
	global_load_dword v10, v[10:11], off offset:8
	s_nop 0
	global_load_dword v11, v[12:13], off offset:8
	global_load_dword v26, v[14:15], off offset:8
	;; [unrolled: 1-line block ×5, first 2 shown]
	s_nop 0
	global_load_dword v4, v[4:5], off offset:4
	s_nop 0
	global_load_dword v2, v[2:3], off offset:4
	s_cmp_gt_u32 s8, 3
	s_waitcnt vmcnt(13)
	v_ashrrev_i32_e32 v7, v54, v20
	s_waitcnt vmcnt(12)
	v_ashrrev_i32_e32 v3, v54, v21
	s_waitcnt vmcnt(11)
	v_lshrrev_b32_e32 v5, 4, v22
	v_lshlrev_b32_e32 v12, 4, v3
	v_lshrrev_b32_e32 v14, 12, v3
	v_and_b32_e32 v6, 0xf0f0f0f, v22
	v_lshlrev_b32_e32 v13, 11, v3
	v_lshrrev_b32_e32 v15, 5, v3
	v_and_b32_e32 v5, 0xf0f0f0f, v5
	v_and_b32_e32 v14, 16, v14
	;; [unrolled: 1-line block ×3, first 2 shown]
	v_lshlrev_b32_e32 v16, 2, v3
	v_lshlrev_b32_e32 v17, 18, v3
	v_and_b32_e32 v15, 0x1000, v15
	v_and_b32_e32 v13, 0x1000, v13
	v_or_b32_e32 v5, v14, v5
	v_or_b32_e32 v6, v12, v6
	s_waitcnt vmcnt(10)
	v_lshrrev_b32_e32 v8, 4, v23
	v_and_b32_e32 v9, 0xf0f0f0f, v23
	v_lshlrev_b32_e32 v20, 9, v3
	v_lshlrev_b32_e32 v3, 25, v3
	;; [unrolled: 1-line block ×3, first 2 shown]
	v_lshrrev_b32_e32 v23, 12, v7
	v_and_b32_e32 v16, 0x100000, v16
	v_and_b32_e32 v17, 0x100000, v17
	v_or_b32_e32 v5, v5, v15
	v_or_b32_e32 v6, v6, v13
	v_lshlrev_b32_e32 v22, 11, v7
	v_lshrrev_b32_e32 v30, 5, v7
	v_and_b32_e32 v8, 0xf0f0f0f, v8
	v_and_b32_e32 v20, 0x10000000, v20
	;; [unrolled: 1-line block ×5, first 2 shown]
	v_or_b32_e32 v5, v5, v16
	v_or_b32_e32 v6, v6, v17
	v_lshlrev_b32_e32 v31, 2, v7
	v_lshlrev_b32_e32 v32, 18, v7
	v_and_b32_e32 v30, 0x1000, v30
	v_and_b32_e32 v22, 0x1000, v22
	v_or_b32_e32 v8, v23, v8
	v_or_b32_e32 v9, v21, v9
	;; [unrolled: 1-line block ×4, first 2 shown]
	v_and_b32_e32 v31, 0x100000, v31
	v_or_b32_e32 v8, v8, v30
	v_or_b32_e32 v9, v9, v22
	ds_write2_b32 v58, v3, v5 offset1:1
	v_and_b32_e32 v3, 0x100000, v32
	v_lshlrev_b32_e32 v6, 9, v7
	v_lshlrev_b32_e32 v7, 25, v7
	v_or_b32_e32 v5, v8, v31
	v_or_b32_e32 v3, v9, v3
	v_and_b32_e32 v6, 0x10000000, v6
	v_and_b32_e32 v7, 0x10000000, v7
	v_or_b32_e32 v5, v5, v6
	v_or_b32_e32 v3, v3, v7
	ds_write2_b32 v62, v3, v5 offset1:1
	v_ashrrev_i32_e32 v3, v54, v19
	v_lshlrev_b32_e32 v5, 4, v3
	v_lshlrev_b32_e32 v6, 11, v3
	s_waitcnt vmcnt(9)
	v_lshrrev_b32_e32 v7, 4, v24
	v_lshrrev_b32_e32 v8, 12, v3
	v_and_b32_e32 v12, 0xf0f0f0f, v24
	v_and_b32_e32 v5, 16, v5
	v_lshrrev_b32_e32 v9, 5, v3
	v_and_b32_e32 v7, 0xf0f0f0f, v7
	v_and_b32_e32 v8, 16, v8
	v_or_b32_e32 v5, v5, v12
	v_and_b32_e32 v6, 0x1000, v6
	v_or_b32_e32 v7, v8, v7
	;; [unrolled: 2-line block ×3, first 2 shown]
	v_lshlrev_b32_e32 v6, 2, v3
	v_or_b32_e32 v7, v7, v8
	v_lshlrev_b32_e32 v8, 18, v3
	v_and_b32_e32 v6, 0x100000, v6
	v_and_b32_e32 v8, 0x100000, v8
	v_or_b32_e32 v6, v7, v6
	v_lshlrev_b32_e32 v7, 9, v3
	v_lshlrev_b32_e32 v3, 25, v3
	v_or_b32_e32 v5, v5, v8
	v_and_b32_e32 v7, 0x10000000, v7
	v_and_b32_e32 v3, 0x10000000, v3
	v_or_b32_e32 v6, v6, v7
	v_or_b32_e32 v3, v5, v3
	ds_write2_b32 v66, v3, v6 offset1:1
	v_ashrrev_i32_e32 v3, v54, v18
	v_lshlrev_b32_e32 v5, 4, v3
	v_lshlrev_b32_e32 v6, 11, v3
	s_waitcnt vmcnt(8)
	v_lshrrev_b32_e32 v7, 4, v25
	v_lshrrev_b32_e32 v8, 12, v3
	v_and_b32_e32 v12, 0xf0f0f0f, v25
	v_and_b32_e32 v5, 16, v5
	v_lshrrev_b32_e32 v9, 5, v3
	v_and_b32_e32 v7, 0xf0f0f0f, v7
	v_and_b32_e32 v8, 16, v8
	v_or_b32_e32 v5, v5, v12
	v_and_b32_e32 v6, 0x1000, v6
	v_or_b32_e32 v7, v8, v7
	;; [unrolled: 2-line block ×3, first 2 shown]
	v_lshlrev_b32_e32 v6, 2, v3
	v_or_b32_e32 v7, v7, v8
	v_lshlrev_b32_e32 v8, 18, v3
	v_and_b32_e32 v6, 0x100000, v6
	v_and_b32_e32 v8, 0x100000, v8
	v_or_b32_e32 v6, v7, v6
	v_lshlrev_b32_e32 v7, 9, v3
	v_lshlrev_b32_e32 v3, 25, v3
	v_or_b32_e32 v5, v5, v8
	v_and_b32_e32 v7, 0x10000000, v7
	v_and_b32_e32 v3, 0x10000000, v3
	v_or_b32_e32 v6, v6, v7
	v_or_b32_e32 v3, v5, v3
	s_waitcnt vmcnt(0)
	v_ashrrev_i32_e32 v2, v54, v2
	ds_write2_b32 v70, v3, v6 offset1:1
	v_lshlrev_b32_e32 v3, 4, v2
	v_lshlrev_b32_e32 v5, 11, v2
	v_lshrrev_b32_e32 v6, 4, v10
	v_lshrrev_b32_e32 v7, 12, v2
	v_and_b32_e32 v9, 0xf0f0f0f, v10
	v_and_b32_e32 v3, 16, v3
	v_lshrrev_b32_e32 v8, 5, v2
	v_and_b32_e32 v6, 0xf0f0f0f, v6
	v_and_b32_e32 v7, 16, v7
	v_or_b32_e32 v3, v3, v9
	v_and_b32_e32 v5, 0x1000, v5
	v_or_b32_e32 v6, v7, v6
	;; [unrolled: 2-line block ×3, first 2 shown]
	v_lshlrev_b32_e32 v5, 2, v2
	v_or_b32_e32 v6, v6, v7
	v_lshlrev_b32_e32 v7, 18, v2
	v_and_b32_e32 v5, 0x100000, v5
	v_and_b32_e32 v7, 0x100000, v7
	v_or_b32_e32 v5, v6, v5
	v_lshlrev_b32_e32 v6, 9, v2
	v_lshlrev_b32_e32 v2, 25, v2
	v_or_b32_e32 v3, v3, v7
	v_and_b32_e32 v6, 0x10000000, v6
	v_and_b32_e32 v2, 0x10000000, v2
	v_or_b32_e32 v5, v5, v6
	v_or_b32_e32 v2, v3, v2
	ds_write2_b32 v74, v2, v5 offset1:1
	v_lshrrev_b32_e32 v2, 4, v11
	v_and_b32_e32 v23, 0xf0f0f0f, v2
	v_mad_i64_i32 v[2:3], s[16:17], v88, 24, v[0:1]
	v_mad_i64_i32 v[14:15], s[16:17], v100, 24, v[0:1]
	v_ashrrev_i32_e32 v18, v54, v4
	v_and_b32_e32 v24, 0xf0f0f0f, v11
	v_lshl_add_u64 v[4:5], v[2:3], 0, v[54:55]
	v_mad_i64_i32 v[6:7], s[16:17], v92, 24, v[0:1]
	v_mad_i64_i32 v[10:11], s[16:17], v96, 24, v[0:1]
	v_lshl_add_u64 v[16:17], v[14:15], 0, v[54:55]
	v_lshl_add_u64 v[8:9], v[6:7], 0, v[54:55]
	;; [unrolled: 1-line block ×3, first 2 shown]
	global_load_dword v4, v[4:5], off offset:8
	s_nop 0
	global_load_dword v5, v[8:9], off offset:8
	global_load_dword v25, v[12:13], off offset:8
	s_nop 0
	global_load_dword v16, v[16:17], off offset:8
	s_nop 0
	global_load_dword v17, v[14:15], off offset:4
	global_load_dword v30, v[10:11], off offset:4
	s_nop 0
	global_load_dword v6, v[6:7], off offset:4
	s_nop 0
	global_load_dword v2, v[2:3], off offset:4
	v_lshlrev_b32_e32 v19, 4, v18
	v_lshrrev_b32_e32 v21, 12, v18
	v_lshlrev_b32_e32 v20, 11, v18
	v_lshrrev_b32_e32 v22, 5, v18
	v_and_b32_e32 v3, 16, v21
	v_and_b32_e32 v7, 16, v19
	v_or_b32_e32 v3, v3, v23
	v_or_b32_e32 v7, v7, v24
	v_and_b32_e32 v8, 0x1000, v22
	v_and_b32_e32 v9, 0x1000, v20
	v_or_b32_e32 v3, v3, v8
	v_or_b32_e32 v7, v7, v9
	v_lshlrev_b32_e32 v8, 2, v18
	v_lshlrev_b32_e32 v9, 18, v18
	v_and_b32_e32 v8, 0x100000, v8
	v_and_b32_e32 v9, 0x100000, v9
	v_or_b32_e32 v3, v3, v8
	v_or_b32_e32 v7, v7, v9
	v_lshlrev_b32_e32 v8, 9, v18
	v_lshlrev_b32_e32 v9, 25, v18
	v_and_b32_e32 v8, 0x10000000, v8
	v_and_b32_e32 v9, 0x10000000, v9
	v_or_b32_e32 v3, v3, v8
	v_or_b32_e32 v7, v7, v9
	ds_write2_b32 v78, v7, v3 offset1:1
	v_ashrrev_i32_e32 v3, v54, v29
	v_lshlrev_b32_e32 v7, 4, v3
	v_lshlrev_b32_e32 v8, 11, v3
	v_lshrrev_b32_e32 v9, 4, v26
	v_lshrrev_b32_e32 v10, 12, v3
	v_and_b32_e32 v12, 0xf0f0f0f, v26
	v_and_b32_e32 v7, 16, v7
	v_lshrrev_b32_e32 v11, 5, v3
	v_and_b32_e32 v9, 0xf0f0f0f, v9
	v_and_b32_e32 v10, 16, v10
	v_or_b32_e32 v7, v7, v12
	v_and_b32_e32 v8, 0x1000, v8
	v_or_b32_e32 v9, v10, v9
	;; [unrolled: 2-line block ×3, first 2 shown]
	v_lshlrev_b32_e32 v8, 2, v3
	v_or_b32_e32 v9, v9, v10
	v_lshlrev_b32_e32 v10, 18, v3
	v_and_b32_e32 v8, 0x100000, v8
	v_and_b32_e32 v10, 0x100000, v10
	v_or_b32_e32 v8, v9, v8
	v_lshlrev_b32_e32 v9, 9, v3
	v_lshlrev_b32_e32 v3, 25, v3
	v_or_b32_e32 v7, v7, v10
	v_and_b32_e32 v9, 0x10000000, v9
	v_and_b32_e32 v3, 0x10000000, v3
	v_or_b32_e32 v8, v8, v9
	v_or_b32_e32 v3, v7, v3
	ds_write2_b32 v82, v3, v8 offset1:1
	v_ashrrev_i32_e32 v3, v54, v28
	v_lshlrev_b32_e32 v7, 4, v3
	v_lshlrev_b32_e32 v8, 11, v3
	v_lshrrev_b32_e32 v9, 4, v27
	v_lshrrev_b32_e32 v10, 12, v3
	v_and_b32_e32 v12, 0xf0f0f0f, v27
	v_and_b32_e32 v7, 16, v7
	v_lshrrev_b32_e32 v11, 5, v3
	v_and_b32_e32 v9, 0xf0f0f0f, v9
	v_and_b32_e32 v10, 16, v10
	v_or_b32_e32 v7, v7, v12
	v_and_b32_e32 v8, 0x1000, v8
	v_or_b32_e32 v9, v10, v9
	;; [unrolled: 2-line block ×3, first 2 shown]
	v_lshlrev_b32_e32 v8, 2, v3
	v_or_b32_e32 v9, v9, v10
	v_lshlrev_b32_e32 v10, 18, v3
	v_and_b32_e32 v8, 0x100000, v8
	v_and_b32_e32 v10, 0x100000, v10
	v_or_b32_e32 v8, v9, v8
	v_lshlrev_b32_e32 v9, 9, v3
	v_lshlrev_b32_e32 v3, 25, v3
	v_or_b32_e32 v7, v7, v10
	v_and_b32_e32 v9, 0x10000000, v9
	v_and_b32_e32 v3, 0x10000000, v3
	v_or_b32_e32 v8, v8, v9
	v_or_b32_e32 v3, v7, v3
	s_waitcnt vmcnt(0)
	v_ashrrev_i32_e32 v2, v54, v2
	ds_write2_b32 v86, v3, v8 offset1:1
	v_lshlrev_b32_e32 v3, 4, v2
	v_lshlrev_b32_e32 v7, 11, v2
	v_lshrrev_b32_e32 v8, 4, v4
	v_lshrrev_b32_e32 v9, 12, v2
	v_and_b32_e32 v4, 0xf0f0f0f, v4
	v_and_b32_e32 v3, 16, v3
	v_lshrrev_b32_e32 v10, 5, v2
	v_and_b32_e32 v8, 0xf0f0f0f, v8
	v_and_b32_e32 v9, 16, v9
	v_or_b32_e32 v3, v3, v4
	v_and_b32_e32 v7, 0x1000, v7
	v_or_b32_e32 v8, v9, v8
	;; [unrolled: 2-line block ×3, first 2 shown]
	v_lshlrev_b32_e32 v7, 2, v2
	v_or_b32_e32 v4, v8, v4
	v_lshlrev_b32_e32 v8, 18, v2
	v_and_b32_e32 v7, 0x100000, v7
	v_and_b32_e32 v8, 0x100000, v8
	v_or_b32_e32 v4, v4, v7
	v_lshlrev_b32_e32 v7, 9, v2
	v_lshlrev_b32_e32 v2, 25, v2
	v_or_b32_e32 v3, v3, v8
	v_and_b32_e32 v7, 0x10000000, v7
	v_and_b32_e32 v2, 0x10000000, v2
	v_or_b32_e32 v4, v4, v7
	v_or_b32_e32 v2, v3, v2
	ds_write2_b32 v90, v2, v4 offset1:1
	v_lshrrev_b32_e32 v2, 4, v5
	v_ashrrev_i32_e32 v18, v54, v6
	v_and_b32_e32 v23, 0xf0f0f0f, v2
	v_mad_i64_i32 v[2:3], s[16:17], v104, 24, v[0:1]
	v_mad_i64_i32 v[6:7], s[16:17], v108, 24, v[0:1]
	;; [unrolled: 1-line block ×3, first 2 shown]
	v_and_b32_e32 v24, 0xf0f0f0f, v5
	v_lshl_add_u64 v[4:5], v[2:3], 0, v[54:55]
	v_lshl_add_u64 v[8:9], v[6:7], 0, v[54:55]
	;; [unrolled: 1-line block ×3, first 2 shown]
	v_mad_i64_i32 v[0:1], s[16:17], v116, 24, v[0:1]
	v_lshl_add_u64 v[14:15], v[0:1], 0, v[54:55]
	global_load_dword v4, v[4:5], off offset:8
	s_nop 0
	global_load_dword v5, v[8:9], off offset:8
	s_nop 0
	global_load_dword v8, v[12:13], off offset:8
	global_load_dword v9, v[14:15], off offset:8
	s_nop 0
	global_load_dword v12, v[0:1], off offset:4
	s_nop 0
	;; [unrolled: 2-line block ×3, first 2 shown]
	global_load_dword v0, v[6:7], off offset:4
	global_load_dword v1, v[2:3], off offset:4
	v_lshlrev_b32_e32 v19, 4, v18
	v_lshrrev_b32_e32 v21, 12, v18
	v_lshlrev_b32_e32 v20, 11, v18
	v_lshrrev_b32_e32 v22, 5, v18
	v_and_b32_e32 v2, 16, v21
	v_and_b32_e32 v3, 16, v19
	v_or_b32_e32 v2, v2, v23
	v_or_b32_e32 v3, v3, v24
	v_and_b32_e32 v6, 0x1000, v22
	v_and_b32_e32 v7, 0x1000, v20
	v_or_b32_e32 v2, v2, v6
	v_or_b32_e32 v3, v3, v7
	v_lshlrev_b32_e32 v6, 2, v18
	v_lshlrev_b32_e32 v7, 18, v18
	v_and_b32_e32 v6, 0x100000, v6
	v_and_b32_e32 v7, 0x100000, v7
	v_or_b32_e32 v2, v2, v6
	v_or_b32_e32 v3, v3, v7
	v_lshlrev_b32_e32 v6, 9, v18
	v_lshlrev_b32_e32 v7, 25, v18
	v_and_b32_e32 v6, 0x10000000, v6
	v_and_b32_e32 v7, 0x10000000, v7
	v_or_b32_e32 v2, v2, v6
	v_or_b32_e32 v3, v3, v7
	ds_write2_b32 v94, v3, v2 offset1:1
	v_ashrrev_i32_e32 v2, v54, v30
	v_lshlrev_b32_e32 v3, 4, v2
	v_lshlrev_b32_e32 v6, 11, v2
	v_lshrrev_b32_e32 v7, 4, v25
	v_lshrrev_b32_e32 v11, 12, v2
	v_and_b32_e32 v14, 0xf0f0f0f, v25
	v_and_b32_e32 v3, 16, v3
	v_lshrrev_b32_e32 v13, 5, v2
	v_and_b32_e32 v7, 0xf0f0f0f, v7
	v_and_b32_e32 v11, 16, v11
	v_or_b32_e32 v3, v3, v14
	v_and_b32_e32 v6, 0x1000, v6
	v_or_b32_e32 v7, v11, v7
	;; [unrolled: 2-line block ×3, first 2 shown]
	v_lshlrev_b32_e32 v6, 2, v2
	v_or_b32_e32 v7, v7, v11
	v_lshlrev_b32_e32 v11, 18, v2
	v_and_b32_e32 v6, 0x100000, v6
	v_and_b32_e32 v11, 0x100000, v11
	v_or_b32_e32 v6, v7, v6
	v_lshlrev_b32_e32 v7, 9, v2
	v_lshlrev_b32_e32 v2, 25, v2
	v_or_b32_e32 v3, v3, v11
	v_and_b32_e32 v7, 0x10000000, v7
	v_and_b32_e32 v2, 0x10000000, v2
	v_or_b32_e32 v6, v6, v7
	v_or_b32_e32 v2, v3, v2
	ds_write2_b32 v98, v2, v6 offset1:1
	v_ashrrev_i32_e32 v2, v54, v17
	v_lshlrev_b32_e32 v3, 4, v2
	v_lshlrev_b32_e32 v6, 11, v2
	v_lshrrev_b32_e32 v7, 4, v16
	v_lshrrev_b32_e32 v11, 12, v2
	v_and_b32_e32 v14, 0xf0f0f0f, v16
	v_and_b32_e32 v3, 16, v3
	v_lshrrev_b32_e32 v13, 5, v2
	v_and_b32_e32 v7, 0xf0f0f0f, v7
	v_and_b32_e32 v11, 16, v11
	v_or_b32_e32 v3, v3, v14
	v_and_b32_e32 v6, 0x1000, v6
	v_or_b32_e32 v7, v11, v7
	;; [unrolled: 2-line block ×3, first 2 shown]
	v_lshlrev_b32_e32 v6, 2, v2
	v_or_b32_e32 v7, v7, v11
	v_lshlrev_b32_e32 v11, 18, v2
	v_and_b32_e32 v6, 0x100000, v6
	v_and_b32_e32 v11, 0x100000, v11
	v_or_b32_e32 v6, v7, v6
	v_lshlrev_b32_e32 v7, 9, v2
	v_lshlrev_b32_e32 v2, 25, v2
	v_or_b32_e32 v3, v3, v11
	v_and_b32_e32 v7, 0x10000000, v7
	v_and_b32_e32 v2, 0x10000000, v2
	v_or_b32_e32 v6, v6, v7
	v_or_b32_e32 v2, v3, v2
	s_waitcnt vmcnt(0)
	v_ashrrev_i32_e32 v1, v54, v1
	ds_write2_b32 v102, v2, v6 offset1:1
	v_lshlrev_b32_e32 v2, 4, v1
	v_lshlrev_b32_e32 v3, 11, v1
	v_lshrrev_b32_e32 v6, 4, v4
	v_lshrrev_b32_e32 v7, 12, v1
	v_and_b32_e32 v4, 0xf0f0f0f, v4
	v_and_b32_e32 v2, 16, v2
	v_lshrrev_b32_e32 v11, 5, v1
	v_and_b32_e32 v6, 0xf0f0f0f, v6
	v_and_b32_e32 v7, 16, v7
	v_or_b32_e32 v2, v2, v4
	v_and_b32_e32 v3, 0x1000, v3
	v_or_b32_e32 v6, v7, v6
	;; [unrolled: 2-line block ×3, first 2 shown]
	v_lshlrev_b32_e32 v3, 2, v1
	v_or_b32_e32 v4, v6, v4
	v_lshlrev_b32_e32 v6, 18, v1
	v_and_b32_e32 v3, 0x100000, v3
	v_and_b32_e32 v6, 0x100000, v6
	v_or_b32_e32 v3, v4, v3
	v_lshlrev_b32_e32 v4, 9, v1
	v_lshlrev_b32_e32 v1, 25, v1
	v_or_b32_e32 v2, v2, v6
	v_and_b32_e32 v4, 0x10000000, v4
	v_and_b32_e32 v1, 0x10000000, v1
	v_or_b32_e32 v3, v3, v4
	v_or_b32_e32 v1, v2, v1
	v_ashrrev_i32_e32 v11, v54, v0
	ds_write2_b32 v106, v1, v3 offset1:1
	v_lshlrev_b32_e32 v0, 4, v11
	v_lshrrev_b32_e32 v1, 4, v5
	v_lshrrev_b32_e32 v2, 12, v11
	v_and_b32_e32 v1, 0xf0f0f0f, v1
	v_and_b32_e32 v3, 0xf0f0f0f, v5
	;; [unrolled: 1-line block ×4, first 2 shown]
	v_or_b32_e32 v15, v2, v1
	v_or_b32_e32 v16, v0, v3
	v_mad_u64_u32 v[0:1], s[0:1], v120, 24, s[0:1]
	v_mad_i64_i32 v[2:3], s[0:1], v122, 24, v[0:1]
	v_mad_i64_i32 v[4:5], s[0:1], v124, 24, v[0:1]
	v_mad_i64_i32 v[6:7], s[0:1], v126, 24, v[0:1]
	v_mad_i64_i32 v[0:1], s[0:1], v128, 24, v[0:1]
	global_load_dword v2, v[2:3], off
	s_nop 0
	global_load_dword v3, v[4:5], off
	s_nop 0
	global_load_dword v4, v[6:7], off
	v_lshlrev_b32_e32 v13, 11, v11
	global_load_dword v0, v[0:1], off
	v_lshrrev_b32_e32 v14, 5, v11
	v_and_b32_e32 v1, 0x1000, v14
	v_and_b32_e32 v5, 0x1000, v13
	v_lshlrev_b32_e32 v6, 2, v11
	v_lshlrev_b32_e32 v7, 18, v11
	v_or_b32_e32 v1, v15, v1
	v_or_b32_e32 v5, v16, v5
	v_and_b32_e32 v6, 0x100000, v6
	v_and_b32_e32 v7, 0x100000, v7
	v_or_b32_e32 v1, v1, v6
	v_or_b32_e32 v5, v5, v7
	v_lshlrev_b32_e32 v6, 9, v11
	v_lshlrev_b32_e32 v7, 25, v11
	v_and_b32_e32 v6, 0x10000000, v6
	v_and_b32_e32 v7, 0x10000000, v7
	v_or_b32_e32 v1, v1, v6
	v_or_b32_e32 v5, v5, v7
	ds_write2_b32 v110, v5, v1 offset1:1
	v_ashrrev_i32_e32 v1, v54, v10
	v_lshlrev_b32_e32 v5, 4, v1
	v_lshlrev_b32_e32 v6, 11, v1
	v_lshrrev_b32_e32 v7, 4, v8
	v_lshrrev_b32_e32 v10, 12, v1
	v_and_b32_e32 v8, 0xf0f0f0f, v8
	v_and_b32_e32 v5, 16, v5
	v_lshrrev_b32_e32 v11, 5, v1
	v_and_b32_e32 v7, 0xf0f0f0f, v7
	v_and_b32_e32 v10, 16, v10
	v_or_b32_e32 v5, v5, v8
	v_and_b32_e32 v6, 0x1000, v6
	v_or_b32_e32 v7, v10, v7
	;; [unrolled: 2-line block ×3, first 2 shown]
	v_lshlrev_b32_e32 v6, 2, v1
	v_or_b32_e32 v7, v7, v8
	v_lshlrev_b32_e32 v8, 18, v1
	v_and_b32_e32 v6, 0x100000, v6
	v_and_b32_e32 v8, 0x100000, v8
	v_or_b32_e32 v6, v7, v6
	v_lshlrev_b32_e32 v7, 9, v1
	v_lshlrev_b32_e32 v1, 25, v1
	v_or_b32_e32 v5, v5, v8
	v_and_b32_e32 v7, 0x10000000, v7
	v_and_b32_e32 v1, 0x10000000, v1
	v_or_b32_e32 v6, v6, v7
	v_or_b32_e32 v1, v5, v1
	ds_write2_b32 v114, v1, v6 offset1:1
	v_ashrrev_i32_e32 v1, v54, v12
	v_lshlrev_b32_e32 v5, 4, v1
	v_lshlrev_b32_e32 v6, 11, v1
	v_lshrrev_b32_e32 v7, 4, v9
	v_lshrrev_b32_e32 v8, 12, v1
	v_and_b32_e32 v9, 0xf0f0f0f, v9
	v_and_b32_e32 v5, 16, v5
	v_lshrrev_b32_e32 v10, 5, v1
	v_and_b32_e32 v7, 0xf0f0f0f, v7
	v_and_b32_e32 v8, 16, v8
	v_or_b32_e32 v5, v5, v9
	v_and_b32_e32 v6, 0x1000, v6
	v_or_b32_e32 v7, v8, v7
	;; [unrolled: 2-line block ×3, first 2 shown]
	v_lshlrev_b32_e32 v6, 2, v1
	v_or_b32_e32 v7, v7, v8
	v_lshlrev_b32_e32 v8, 18, v1
	v_and_b32_e32 v6, 0x100000, v6
	v_and_b32_e32 v8, 0x100000, v8
	v_or_b32_e32 v6, v7, v6
	v_lshlrev_b32_e32 v7, 9, v1
	v_lshlrev_b32_e32 v1, 25, v1
	v_or_b32_e32 v5, v5, v8
	v_and_b32_e32 v7, 0x10000000, v7
	v_and_b32_e32 v1, 0x10000000, v1
	v_or_b32_e32 v6, v6, v7
	v_or_b32_e32 v1, v5, v1
	ds_write2_b32 v118, v1, v6 offset1:1
	s_waitcnt vmcnt(3)
	ds_write_b32 v107, v2
	s_waitcnt vmcnt(2)
	ds_write_b32 v109, v3
	;; [unrolled: 2-line block ×4, first 2 shown]
	s_cbranch_scc0 .LBB144_6
; %bb.8:                                ;   in Loop: Header=BB144_7 Depth=1
	v_add_u32_e32 v14, s9, v61
	v_add_u32_e32 v131, s9, v130
	;; [unrolled: 1-line block ×6, first 2 shown]
	v_mad_i64_i32 v[0:1], s[0:1], v0, 36, v[132:133]
	v_mad_i64_i32 v[2:3], s[0:1], v2, 36, v[132:133]
	;; [unrolled: 1-line block ×4, first 2 shown]
	v_add_u32_e32 v8, v14, v73
	v_add_u32_e32 v10, v14, v75
	;; [unrolled: 1-line block ×4, first 2 shown]
	v_mad_u64_u32 v[16:17], s[0:1], v131, 36, s[2:3]
	v_mad_i64_i32 v[8:9], s[0:1], v8, 36, v[132:133]
	v_mad_i64_i32 v[10:11], s[0:1], v10, 36, v[132:133]
	;; [unrolled: 1-line block ×4, first 2 shown]
	global_load_dword v16, v[16:17], off
	s_nop 0
	global_load_dword v0, v[0:1], off offset:4
	s_nop 0
	global_load_dword v1, v[2:3], off offset:4
	;; [unrolled: 2-line block ×3, first 2 shown]
	global_load_dword v3, v[6:7], off offset:4
	s_nop 0
	global_load_dword v4, v[8:9], off offset:4
	global_load_dword v5, v[10:11], off offset:4
	;; [unrolled: 1-line block ×3, first 2 shown]
                                        ; kill: killed $vgpr10_vgpr11
                                        ; kill: killed $vgpr12_vgpr13
	global_load_dword v7, v[14:15], off offset:4
	s_mov_b32 s0, -4
	v_mov_b32_e32 v204, v95
	v_mov_b32_e32 v205, v81
	;; [unrolled: 1-line block ×7, first 2 shown]
	s_waitcnt vmcnt(8)
	ds_write_b32 v63, v16
	s_waitcnt vmcnt(7)
	ds_write_b32 v115, v0
	s_waitcnt vmcnt(6)
	ds_write_b32 v117, v1
	s_waitcnt vmcnt(5)
	ds_write_b32 v119, v2
	s_waitcnt vmcnt(4)
	ds_write_b32 v121, v3
	s_waitcnt vmcnt(3)
	ds_write_b32 v123, v4
	s_waitcnt vmcnt(2)
	ds_write_b32 v125, v5
	s_waitcnt vmcnt(1)
	ds_write_b32 v127, v6
	s_waitcnt vmcnt(0)
	ds_write_b32 v129, v7
	s_waitcnt lgkmcnt(0)
	s_barrier
.LBB144_9:                              ;   Parent Loop BB144_7 Depth=1
                                        ; =>  This Inner Loop Header: Depth=2
	ds_read_b128 v[12:15], v204
	ds_read_b128 v[8:11], v204 offset:16
	ds_read2_b32 v[180:181], v206 offset1:32
	v_add_u32_e32 v168, 0x2080, v205
	v_add_u32_e32 v169, 0x2088, v205
	;; [unrolled: 1-line block ×10, first 2 shown]
	ds_read2_b32 v[178:179], v205 offset1:1
	ds_read2_b32 v[176:177], v205 offset0:2 offset1:3
	ds_read2_b32 v[174:175], v205 offset0:4 offset1:5
	ds_read2_b32 v[166:167], v205 offset0:6 offset1:7
	ds_read_b32 v238, v207
	ds_read_b32 v237, v208
	;; [unrolled: 1-line block ×4, first 2 shown]
	v_add_u32_e32 v233, 0x6190, v205
	v_add_u32_e32 v234, 0x6198, v205
	ds_read_b128 v[44:47], v204 offset:1024
	ds_read_b128 v[16:19], v204 offset:1040
	;; [unrolled: 1-line block ×4, first 2 shown]
	ds_read2_b32 v[202:203], v206 offset0:64 offset1:96
	ds_read_b128 v[40:43], v204 offset:3072
	ds_read_b128 v[24:27], v204 offset:3088
	;; [unrolled: 1-line block ×4, first 2 shown]
	ds_read2_b32 v[182:183], v206 offset0:128 offset1:160
	ds_read_b128 v[28:31], v204 offset:5120
	ds_read_b128 v[4:7], v204 offset:5136
	;; [unrolled: 1-line block ×3, first 2 shown]
	ds_read2_b32 v[200:201], v168 offset1:1
	ds_read2_b32 v[190:191], v169 offset1:1
	;; [unrolled: 1-line block ×12, first 2 shown]
	v_mov_b32_e32 v231, 0
	v_mov_b32_e32 v211, 0
	;; [unrolled: 1-line block ×4, first 2 shown]
	s_waitcnt lgkmcnt(14)
	v_dot4c_i32_i8_e32 v231, v178, v12
	s_waitcnt lgkmcnt(11)
	v_dot4c_i32_i8_e32 v211, v200, v12
	;; [unrolled: 2-line block ×4, first 2 shown]
	v_dot4c_i32_i8_e32 v231, v179, v8
	v_dot4c_i32_i8_e32 v211, v201, v8
	;; [unrolled: 1-line block ×7, first 2 shown]
	s_waitcnt lgkmcnt(2)
	v_dot4c_i32_i8_e32 v213, v194, v13
	v_mov_b32_e32 v224, 0
	v_mov_b32_e32 v223, 0
	;; [unrolled: 1-line block ×4, first 2 shown]
	v_dot4c_i32_i8_e32 v231, v177, v9
	v_dot4c_i32_i8_e32 v211, v191, v9
	;; [unrolled: 1-line block ×4, first 2 shown]
	v_mov_b32_e32 v239, 0
	v_mov_b32_e32 v217, 0
	;; [unrolled: 1-line block ×4, first 2 shown]
	v_dot4c_i32_i8_e32 v231, v174, v14
	v_dot4c_i32_i8_e32 v211, v188, v14
	v_dot4c_i32_i8_e32 v212, v186, v14
	s_waitcnt lgkmcnt(1)
	v_dot4c_i32_i8_e32 v213, v184, v14
	v_dot4c_i32_i8_e32 v224, v178, v48
	;; [unrolled: 1-line block ×17, first 2 shown]
	v_mov_b32_e32 v227, 0
	v_mov_b32_e32 v228, 0
	;; [unrolled: 1-line block ×4, first 2 shown]
	v_dot4c_i32_i8_e32 v231, v166, v15
	v_dot4c_i32_i8_e32 v211, v168, v15
	;; [unrolled: 1-line block ×3, first 2 shown]
	s_waitcnt lgkmcnt(0)
	v_dot4c_i32_i8_e32 v213, v172, v15
	ds_read_b128 v[12:15], v204 offset:6160
	v_dot4c_i32_i8_e32 v239, v179, v20
	v_dot4c_i32_i8_e32 v217, v201, v20
	;; [unrolled: 1-line block ×20, first 2 shown]
	v_mov_b32_e32 v241, 0
	v_mov_b32_e32 v220, 0
	v_mov_b32_e32 v221, 0
	v_mov_b32_e32 v222, 0
	v_dot4c_i32_i8_e32 v239, v177, v21
	v_dot4c_i32_i8_e32 v217, v191, v21
	;; [unrolled: 1-line block ×12, first 2 shown]
	v_mov_b32_e32 v234, 0
	v_mov_b32_e32 v233, 0
	;; [unrolled: 1-line block ×3, first 2 shown]
	v_dot4c_i32_i8_e32 v239, v174, v38
	v_dot4c_i32_i8_e32 v217, v188, v38
	;; [unrolled: 1-line block ×12, first 2 shown]
	v_mov_b32_e32 v2, 0
	v_dot4c_i32_i8_e32 v227, v176, v29
	v_dot4c_i32_i8_e32 v228, v190, v29
	;; [unrolled: 1-line block ×32, first 2 shown]
	ds_read_b128 v[38:41], v204 offset:7168
	s_waitcnt lgkmcnt(1)
	v_dot4c_i32_i8_e32 v234, v179, v12
	v_dot4c_i32_i8_e32 v233, v201, v12
	;; [unrolled: 1-line block ×20, first 2 shown]
	ds_read_b128 v[28:31], v204 offset:7184
	v_dot4c_i32_i8_e32 v241, v177, v25
	v_dot4c_i32_i8_e32 v220, v191, v25
	;; [unrolled: 1-line block ×8, first 2 shown]
	v_mov_b32_e32 v232, 0
	v_mov_b32_e32 v214, 0
	;; [unrolled: 1-line block ×4, first 2 shown]
	v_dot4c_i32_i8_e32 v241, v174, v42
	v_dot4c_i32_i8_e32 v220, v188, v42
	v_dot4c_i32_i8_e32 v221, v186, v42
	v_dot4c_i32_i8_e32 v222, v184, v42
	v_dot4c_i32_i8_e32 v234, v175, v14
	v_dot4c_i32_i8_e32 v233, v189, v14
	v_dot4c_i32_i8_e32 v240, v187, v14
	v_dot4c_i32_i8_e32 v2, v185, v14
	v_mov_b32_e32 v14, 0
	v_dot4c_i32_i8_e32 v232, v178, v44
	v_dot4c_i32_i8_e32 v214, v200, v44
	;; [unrolled: 1-line block ×8, first 2 shown]
	v_pk_mul_f16 v36, v238, v202
	v_pk_mul_f16 v26, v237, v202
	;; [unrolled: 1-line block ×4, first 2 shown]
	v_mov_b32_e32 v202, 0
	v_mov_b32_e32 v6, 0
	s_waitcnt lgkmcnt(1)
	v_dot4c_i32_i8_e32 v14, v198, v38
	v_mov_b32_e32 v198, 0
	v_dot4c_i32_i8_e32 v232, v179, v16
	v_dot4c_i32_i8_e32 v202, v178, v38
	;; [unrolled: 1-line block ×8, first 2 shown]
	s_waitcnt lgkmcnt(0)
	v_dot4c_i32_i8_e32 v202, v179, v28
	v_dot4c_i32_i8_e32 v6, v201, v28
	;; [unrolled: 1-line block ×8, first 2 shown]
	ds_read2_b32 v[0:1], v206 offset0:192 offset1:224
	v_dot4c_i32_i8_e32 v202, v176, v39
	v_dot4c_i32_i8_e32 v6, v190, v39
	;; [unrolled: 1-line block ×32, first 2 shown]
	v_pk_mul_f16 v8, v180, v238
	v_pk_mul_f16 v9, v238, v181
	v_dot4c_i32_i8_e32 v220, v168, v43
	v_dot4c_i32_i8_e32 v221, v170, v43
	;; [unrolled: 1-line block ×7, first 2 shown]
	v_pk_mul_f16 v42, v238, v203
	v_dot4c_i32_i8_e32 v234, v166, v35
	v_dot4c_i32_i8_e32 v233, v168, v35
	;; [unrolled: 1-line block ×12, first 2 shown]
	v_pk_mul_f16 v16, v180, v237
	v_pk_mul_f16 v18, v180, v236
	;; [unrolled: 1-line block ×17, first 2 shown]
	s_waitcnt lgkmcnt(0)
	v_pk_mul_f16 v242, v238, v0
	v_pk_mul_f16 v238, v238, v1
	;; [unrolled: 1-line block ×8, first 2 shown]
	v_cvt_f32_f16_e32 v1, v9
	v_cvt_f32_f16_e32 v0, v8
	v_cvt_f32_f16_sdwa v9, v9 dst_sel:DWORD dst_unused:UNUSED_PAD src0_sel:WORD_1
	v_cvt_f32_f16_sdwa v8, v8 dst_sel:DWORD dst_unused:UNUSED_PAD src0_sel:WORD_1
	v_cvt_f32_f16_e32 v35, v42
	v_cvt_f32_f16_e32 v34, v36
	v_cvt_f32_f16_sdwa v39, v42 dst_sel:DWORD dst_unused:UNUSED_PAD src0_sel:WORD_1
	v_cvt_f32_f16_sdwa v38, v36 dst_sel:DWORD dst_unused:UNUSED_PAD src0_sel:WORD_1
	v_dot4c_i32_i8_e32 v211, v169, v11
	v_dot4c_i32_i8_e32 v212, v171, v11
	;; [unrolled: 1-line block ×16, first 2 shown]
	v_cvt_f32_i32_e32 v193, v232
	v_cvt_f32_i32_e32 v192, v231
	v_cvt_f32_i32_e32 v195, v241
	v_cvt_f32_i32_e32 v194, v239
	v_dot4c_i32_i8_e32 v223, v169, v3
	v_dot4c_i32_i8_e32 v225, v171, v3
	;; [unrolled: 1-line block ×12, first 2 shown]
	v_cvt_f32_f16_e32 v5, v17
	v_cvt_f32_f16_e32 v4, v16
	v_cvt_f32_f16_sdwa v13, v17 dst_sel:DWORD dst_unused:UNUSED_PAD src0_sel:WORD_1
	v_cvt_f32_f16_sdwa v12, v16 dst_sel:DWORD dst_unused:UNUSED_PAD src0_sel:WORD_1
	v_cvt_f32_f16_e32 v17, v20
	v_cvt_f32_f16_e32 v16, v18
	v_cvt_f32_f16_sdwa v21, v20 dst_sel:DWORD dst_unused:UNUSED_PAD src0_sel:WORD_1
	v_cvt_f32_f16_sdwa v20, v18 dst_sel:DWORD dst_unused:UNUSED_PAD src0_sel:WORD_1
	;; [unrolled: 4-line block ×14, first 2 shown]
	v_cvt_f32_i32_e32 v197, v227
	v_cvt_f32_i32_e32 v196, v224
	v_cvt_f32_i32_e32 v201, v202
	v_cvt_f32_i32_e32 v200, v234
	v_cvt_f32_i32_e32 v31, v214
	v_cvt_f32_i32_e32 v30, v211
	v_cvt_f32_i32_e32 v169, v215
	v_cvt_f32_i32_e32 v168, v212
	v_cvt_f32_i32_e32 v171, v216
	v_cvt_f32_i32_e32 v170, v213
	v_cvt_f32_i32_e32 v173, v220
	v_cvt_f32_i32_e32 v172, v217
	v_cvt_f32_i32_e32 v203, v221
	v_cvt_f32_i32_e32 v202, v218
	v_cvt_f32_i32_e32 v213, v222
	v_cvt_f32_i32_e32 v212, v219
	v_cvt_f32_i32_e32 v215, v228
	v_cvt_f32_i32_e32 v214, v223
	v_cvt_f32_i32_e32 v217, v229
	v_cvt_f32_i32_e32 v216, v225
	v_cvt_f32_i32_e32 v219, v230
	v_cvt_f32_i32_e32 v218, v226
	v_cvt_f32_i32_e32 v7, v6
	v_cvt_f32_i32_e32 v6, v233
	v_cvt_f32_i32_e32 v15, v14
	v_cvt_f32_i32_e32 v14, v240
	v_cvt_f32_i32_e32 v3, v198
	v_cvt_f32_i32_e32 v2, v2
	v_pk_fma_f32 v[0:1], v[0:1], v[192:193], v[8:9]
	v_pk_fma_f32 v[8:9], v[194:195], v[34:35], v[38:39]
	s_add_i32 s0, s0, 4
	v_pk_fma_f32 v[34:35], v[196:197], v[50:51], v[176:177]
	v_pk_fma_f32 v[38:39], v[200:201], v[186:187], v[188:189]
	v_pk_add_f32 v[134:135], v[134:135], v[0:1]
	v_pk_fma_f32 v[0:1], v[4:5], v[30:31], v[12:13]
	v_pk_fma_f32 v[4:5], v[16:17], v[168:169], v[20:21]
	;; [unrolled: 1-line block ×3, first 2 shown]
	v_pk_add_f32 v[142:143], v[142:143], v[8:9]
	v_pk_fma_f32 v[8:9], v[172:173], v[32:33], v[36:37]
	v_pk_fma_f32 v[16:17], v[202:203], v[40:41], v[42:43]
	;; [unrolled: 1-line block ×9, first 2 shown]
	v_add_u32_e32 v210, 4, v210
	v_add_u32_e32 v209, 4, v209
	;; [unrolled: 1-line block ×7, first 2 shown]
	s_cmp_lt_u32 s0, 12
	v_pk_add_f32 v[138:139], v[138:139], v[34:35]
	v_pk_add_f32 v[136:137], v[136:137], v[38:39]
	;; [unrolled: 1-line block ×14, first 2 shown]
	s_cbranch_scc1 .LBB144_9
; %bb.10:                               ;   in Loop: Header=BB144_7 Depth=1
	s_and_b32 s0, s8, -4
	s_cmp_eq_u32 s0, 4
	s_barrier
	s_cbranch_scc1 .LBB144_6
; %bb.11:                               ;   in Loop: Header=BB144_7 Depth=1
	v_add_u32_e32 v14, s9, v83
	v_add_u32_e32 v0, v14, v65
	;; [unrolled: 1-line block ×6, first 2 shown]
	v_mad_i64_i32 v[0:1], s[0:1], v0, 36, v[132:133]
	v_mad_i64_i32 v[2:3], s[0:1], v2, 36, v[132:133]
	;; [unrolled: 1-line block ×4, first 2 shown]
	v_add_u32_e32 v8, v14, v73
	v_add_u32_e32 v10, v14, v75
	;; [unrolled: 1-line block ×4, first 2 shown]
	v_mad_u64_u32 v[16:17], s[0:1], v16, 36, s[2:3]
	v_mad_i64_i32 v[8:9], s[0:1], v8, 36, v[132:133]
	v_mad_i64_i32 v[10:11], s[0:1], v10, 36, v[132:133]
	;; [unrolled: 1-line block ×4, first 2 shown]
	global_load_dword v16, v[16:17], off
	s_nop 0
	global_load_dword v0, v[0:1], off offset:4
	s_nop 0
	global_load_dword v1, v[2:3], off offset:4
	;; [unrolled: 2-line block ×3, first 2 shown]
	global_load_dword v3, v[6:7], off offset:4
	s_nop 0
	global_load_dword v4, v[8:9], off offset:4
	global_load_dword v5, v[10:11], off offset:4
                                        ; kill: killed $vgpr8_vgpr9
                                        ; kill: killed $vgpr10_vgpr11
	global_load_dword v6, v[12:13], off offset:4
	global_load_dword v7, v[14:15], off offset:4
	s_mov_b32 s0, 12
	v_mov_b32_e32 v42, v93
	v_mov_b32_e32 v43, v95
	v_mov_b32_e32 v44, v105
	v_mov_b32_e32 v45, v103
	v_mov_b32_e32 v46, v101
	v_mov_b32_e32 v47, v99
	v_mov_b32_e32 v48, v97
	s_waitcnt vmcnt(8)
	ds_write_b32 v63, v16
	s_waitcnt vmcnt(7)
	ds_write_b32 v115, v0
	;; [unrolled: 2-line block ×9, first 2 shown]
	s_waitcnt lgkmcnt(0)
	s_barrier
.LBB144_12:                             ;   Parent Loop BB144_7 Depth=1
                                        ; =>  This Inner Loop Header: Depth=2
	v_add_u32_e32 v8, 0x2080, v44
	ds_read_b128 v[0:3], v43
	ds_read_b128 v[4:7], v43 offset:16
	ds_read2_b32 v[40:41], v42 offset1:32
	ds_read_b32 v131, v45
	ds_read2_b32 v[26:27], v44 offset1:1
	ds_read2_b32 v[32:33], v44 offset0:2 offset1:3
	ds_read2_b32 v[36:37], v44 offset0:4 offset1:5
	;; [unrolled: 1-line block ×3, first 2 shown]
	ds_read_b32 v51, v46
	ds_read2_b32 v[14:15], v8 offset1:1
	v_add_u32_e32 v8, 0x2088, v44
	ds_read2_b32 v[22:23], v8 offset1:1
	v_add_u32_e32 v8, 0x2090, v44
	;; [unrolled: 2-line block ×4, first 2 shown]
	ds_read_b32 v50, v47
	ds_read2_b32 v[10:11], v8 offset1:1
	v_add_u32_e32 v8, 0x4108, v44
	ds_read2_b32 v[16:17], v8 offset1:1
	v_add_u32_e32 v8, 0x4110, v44
	;; [unrolled: 2-line block ×4, first 2 shown]
	ds_read_b32 v49, v48
	ds_read2_b32 v[8:9], v8 offset1:1
	v_mov_b32_e32 v170, 0
	v_mov_b32_e32 v172, 0
	;; [unrolled: 1-line block ×4, first 2 shown]
	s_waitcnt lgkmcnt(14)
	v_dot4c_i32_i8_e32 v170, v26, v0
	s_waitcnt lgkmcnt(10)
	v_dot4c_i32_i8_e32 v172, v14, v0
	s_waitcnt lgkmcnt(5)
	v_dot4c_i32_i8_e32 v174, v10, v0
	s_waitcnt lgkmcnt(0)
	v_dot4c_i32_i8_e32 v176, v8, v0
	v_add_u32_e32 v0, 0x6188, v44
	ds_read2_b32 v[12:13], v0 offset1:1
	v_add_u32_e32 v0, 0x6190, v44
	ds_read2_b32 v[18:19], v0 offset1:1
	v_add_u32_e32 v0, 0x6198, v44
	v_dot4c_i32_i8_e32 v170, v27, v4
	v_dot4c_i32_i8_e32 v172, v15, v4
	;; [unrolled: 1-line block ×4, first 2 shown]
	ds_read2_b32 v[24:25], v0 offset1:1
	v_dot4c_i32_i8_e32 v170, v32, v1
	v_dot4c_i32_i8_e32 v172, v22, v1
	v_dot4c_i32_i8_e32 v174, v16, v1
	s_waitcnt lgkmcnt(2)
	v_dot4c_i32_i8_e32 v176, v12, v1
	v_dot4c_i32_i8_e32 v170, v33, v5
	v_dot4c_i32_i8_e32 v172, v23, v5
	v_dot4c_i32_i8_e32 v174, v17, v5
	v_dot4c_i32_i8_e32 v176, v13, v5
	v_dot4c_i32_i8_e32 v170, v36, v2
	v_dot4c_i32_i8_e32 v172, v30, v2
	v_dot4c_i32_i8_e32 v174, v20, v2
	s_waitcnt lgkmcnt(1)
	v_dot4c_i32_i8_e32 v176, v18, v2
	v_dot4c_i32_i8_e32 v170, v37, v6
	v_dot4c_i32_i8_e32 v172, v31, v6
	v_dot4c_i32_i8_e32 v174, v21, v6
	v_dot4c_i32_i8_e32 v176, v19, v6
	;; [unrolled: 9-line block ×3, first 2 shown]
	ds_read_b128 v[0:3], v43 offset:1024
	ds_read_b128 v[4:7], v43 offset:1040
	v_mov_b32_e32 v171, 0
	v_pk_mul_f16 v168, v40, v131
	v_pk_mul_f16 v169, v131, v41
	s_waitcnt lgkmcnt(1)
	v_dot4c_i32_i8_e32 v171, v26, v0
	s_waitcnt lgkmcnt(0)
	v_dot4c_i32_i8_e32 v171, v27, v4
	v_dot4c_i32_i8_e32 v171, v32, v1
	;; [unrolled: 1-line block ×7, first 2 shown]
	v_cvt_f32_f16_e32 v167, v169
	v_cvt_f32_f16_e32 v166, v168
	v_cvt_f32_f16_sdwa v169, v169 dst_sel:DWORD dst_unused:UNUSED_PAD src0_sel:WORD_1
	v_cvt_f32_f16_sdwa v168, v168 dst_sel:DWORD dst_unused:UNUSED_PAD src0_sel:WORD_1
	v_cvt_f32_i32_e32 v171, v171
	v_cvt_f32_i32_e32 v170, v170
	v_pk_mul_f16 v173, v40, v51
	v_pk_mul_f16 v175, v40, v50
	;; [unrolled: 1-line block ×3, first 2 shown]
	v_pk_fma_f32 v[166:167], v[166:167], v[170:171], v[168:169]
	v_mov_b32_e32 v170, 0
	v_dot4c_i32_i8_e32 v170, v14, v0
	v_dot4c_i32_i8_e32 v170, v15, v4
	;; [unrolled: 1-line block ×8, first 2 shown]
	v_pk_mul_f16 v168, v51, v41
	v_pk_add_f32 v[134:135], v[134:135], v[166:167]
	v_cvt_f32_f16_e32 v167, v168
	v_cvt_f32_f16_e32 v166, v173
	v_cvt_f32_f16_sdwa v169, v168 dst_sel:DWORD dst_unused:UNUSED_PAD src0_sel:WORD_1
	v_cvt_f32_f16_sdwa v168, v173 dst_sel:DWORD dst_unused:UNUSED_PAD src0_sel:WORD_1
	v_cvt_f32_i32_e32 v171, v170
	v_cvt_f32_i32_e32 v170, v172
	v_mov_b32_e32 v172, 0
	s_add_i32 s0, s0, 4
	v_add_u32_e32 v48, 4, v48
	v_pk_fma_f32 v[166:167], v[166:167], v[170:171], v[168:169]
	v_mov_b32_e32 v170, 0
	v_dot4c_i32_i8_e32 v170, v10, v0
	v_dot4c_i32_i8_e32 v170, v11, v4
	;; [unrolled: 1-line block ×8, first 2 shown]
	v_pk_mul_f16 v168, v50, v41
	v_pk_add_f32 v[154:155], v[154:155], v[166:167]
	v_cvt_f32_f16_e32 v167, v168
	v_cvt_f32_f16_e32 v166, v175
	v_cvt_f32_f16_sdwa v169, v168 dst_sel:DWORD dst_unused:UNUSED_PAD src0_sel:WORD_1
	v_cvt_f32_f16_sdwa v168, v175 dst_sel:DWORD dst_unused:UNUSED_PAD src0_sel:WORD_1
	v_cvt_f32_i32_e32 v171, v170
	v_cvt_f32_i32_e32 v170, v174
	v_mov_b32_e32 v174, 0
	v_add_u32_e32 v47, 4, v47
	v_add_u32_e32 v46, 4, v46
	v_pk_fma_f32 v[166:167], v[166:167], v[170:171], v[168:169]
	v_mov_b32_e32 v170, 0
	v_pk_add_f32 v[160:161], v[160:161], v[166:167]
	v_mov_b32_e32 v166, 0
	v_dot4c_i32_i8_e32 v166, v8, v0
	v_dot4c_i32_i8_e32 v166, v9, v4
	;; [unrolled: 1-line block ×8, first 2 shown]
	v_pk_mul_f16 v2, v49, v41
	v_cvt_f32_f16_e32 v0, v40
	v_cvt_f32_f16_e32 v1, v2
	v_cvt_f32_f16_sdwa v3, v2 dst_sel:DWORD dst_unused:UNUSED_PAD src0_sel:WORD_1
	v_cvt_f32_f16_sdwa v2, v40 dst_sel:DWORD dst_unused:UNUSED_PAD src0_sel:WORD_1
	v_cvt_f32_i32_e32 v5, v166
	v_cvt_f32_i32_e32 v4, v176
	v_mov_b32_e32 v176, 0
	v_mov_b32_e32 v171, 0
	v_add_u32_e32 v45, 4, v45
	v_pk_fma_f32 v[0:1], v[0:1], v[4:5], v[2:3]
	v_add_u32_e32 v44, 32, v44
	v_pk_add_f32 v[164:165], v[164:165], v[0:1]
	ds_read_b128 v[0:3], v43 offset:2048
	ds_read_b128 v[4:7], v43 offset:2064
	ds_read2_b32 v[40:41], v42 offset0:64 offset1:96
	s_cmp_lt_u32 s0, 28
	s_waitcnt lgkmcnt(2)
	v_dot4c_i32_i8_e32 v170, v26, v0
	v_dot4c_i32_i8_e32 v172, v14, v0
	v_dot4c_i32_i8_e32 v174, v10, v0
	v_dot4c_i32_i8_e32 v176, v8, v0
	s_waitcnt lgkmcnt(1)
	v_dot4c_i32_i8_e32 v170, v27, v4
	v_dot4c_i32_i8_e32 v172, v15, v4
	v_dot4c_i32_i8_e32 v174, v11, v4
	v_dot4c_i32_i8_e32 v176, v9, v4
	v_dot4c_i32_i8_e32 v170, v32, v1
	v_dot4c_i32_i8_e32 v172, v22, v1
	v_dot4c_i32_i8_e32 v174, v16, v1
	v_dot4c_i32_i8_e32 v176, v12, v1
	v_dot4c_i32_i8_e32 v170, v33, v5
	v_dot4c_i32_i8_e32 v172, v23, v5
	v_dot4c_i32_i8_e32 v174, v17, v5
	v_dot4c_i32_i8_e32 v176, v13, v5
	v_dot4c_i32_i8_e32 v170, v36, v2
	v_dot4c_i32_i8_e32 v172, v30, v2
	v_dot4c_i32_i8_e32 v174, v20, v2
	v_dot4c_i32_i8_e32 v176, v18, v2
	v_dot4c_i32_i8_e32 v170, v37, v6
	v_dot4c_i32_i8_e32 v172, v31, v6
	v_dot4c_i32_i8_e32 v174, v21, v6
	v_dot4c_i32_i8_e32 v176, v19, v6
	v_dot4c_i32_i8_e32 v170, v38, v3
	v_dot4c_i32_i8_e32 v172, v34, v3
	v_dot4c_i32_i8_e32 v174, v28, v3
	v_dot4c_i32_i8_e32 v176, v24, v3
	v_dot4c_i32_i8_e32 v170, v39, v7
	v_dot4c_i32_i8_e32 v172, v35, v7
	v_dot4c_i32_i8_e32 v174, v29, v7
	v_dot4c_i32_i8_e32 v176, v25, v7
	ds_read_b128 v[0:3], v43 offset:3072
	ds_read_b128 v[4:7], v43 offset:3088
	s_waitcnt lgkmcnt(2)
	v_pk_mul_f16 v168, v131, v40
	v_pk_mul_f16 v169, v131, v41
	v_cvt_f32_f16_e32 v166, v168
	s_waitcnt lgkmcnt(1)
	v_dot4c_i32_i8_e32 v171, v26, v0
	s_waitcnt lgkmcnt(0)
	v_dot4c_i32_i8_e32 v171, v27, v4
	v_dot4c_i32_i8_e32 v171, v32, v1
	;; [unrolled: 1-line block ×7, first 2 shown]
	v_cvt_f32_f16_e32 v167, v169
	v_cvt_f32_f16_sdwa v169, v169 dst_sel:DWORD dst_unused:UNUSED_PAD src0_sel:WORD_1
	v_cvt_f32_f16_sdwa v168, v168 dst_sel:DWORD dst_unused:UNUSED_PAD src0_sel:WORD_1
	v_cvt_f32_i32_e32 v171, v171
	v_cvt_f32_i32_e32 v170, v170
	v_pk_mul_f16 v173, v51, v40
	v_pk_mul_f16 v175, v50, v40
	;; [unrolled: 1-line block ×3, first 2 shown]
	v_pk_fma_f32 v[166:167], v[170:171], v[166:167], v[168:169]
	v_mov_b32_e32 v170, 0
	v_dot4c_i32_i8_e32 v170, v14, v0
	v_dot4c_i32_i8_e32 v170, v15, v4
	;; [unrolled: 1-line block ×8, first 2 shown]
	v_pk_mul_f16 v168, v51, v41
	v_pk_add_f32 v[142:143], v[142:143], v[166:167]
	v_cvt_f32_f16_e32 v167, v168
	v_cvt_f32_f16_e32 v166, v173
	v_cvt_f32_f16_sdwa v169, v168 dst_sel:DWORD dst_unused:UNUSED_PAD src0_sel:WORD_1
	v_cvt_f32_f16_sdwa v168, v173 dst_sel:DWORD dst_unused:UNUSED_PAD src0_sel:WORD_1
	v_cvt_f32_i32_e32 v171, v170
	v_cvt_f32_i32_e32 v170, v172
	v_mov_b32_e32 v172, 0
	v_pk_fma_f32 v[166:167], v[170:171], v[166:167], v[168:169]
	v_mov_b32_e32 v170, 0
	v_dot4c_i32_i8_e32 v170, v10, v0
	v_dot4c_i32_i8_e32 v170, v11, v4
	;; [unrolled: 1-line block ×8, first 2 shown]
	v_pk_mul_f16 v168, v50, v41
	v_pk_add_f32 v[148:149], v[148:149], v[166:167]
	v_cvt_f32_f16_e32 v167, v168
	v_cvt_f32_f16_e32 v166, v175
	v_cvt_f32_f16_sdwa v169, v168 dst_sel:DWORD dst_unused:UNUSED_PAD src0_sel:WORD_1
	v_cvt_f32_f16_sdwa v168, v175 dst_sel:DWORD dst_unused:UNUSED_PAD src0_sel:WORD_1
	v_cvt_f32_i32_e32 v171, v170
	v_cvt_f32_i32_e32 v170, v174
	v_mov_b32_e32 v174, 0
	v_pk_fma_f32 v[166:167], v[170:171], v[166:167], v[168:169]
	s_nop 0
	v_pk_add_f32 v[156:157], v[156:157], v[166:167]
	v_mov_b32_e32 v166, 0
	v_dot4c_i32_i8_e32 v166, v8, v0
	v_dot4c_i32_i8_e32 v166, v9, v4
	;; [unrolled: 1-line block ×8, first 2 shown]
	v_pk_mul_f16 v2, v49, v41
	v_cvt_f32_f16_e32 v0, v40
	v_cvt_f32_f16_e32 v1, v2
	v_cvt_f32_f16_sdwa v3, v2 dst_sel:DWORD dst_unused:UNUSED_PAD src0_sel:WORD_1
	v_cvt_f32_f16_sdwa v2, v40 dst_sel:DWORD dst_unused:UNUSED_PAD src0_sel:WORD_1
	v_cvt_f32_i32_e32 v5, v166
	v_cvt_f32_i32_e32 v4, v176
	v_mov_b32_e32 v170, 0
	v_mov_b32_e32 v176, 0
	;; [unrolled: 1-line block ×3, first 2 shown]
	v_pk_fma_f32 v[0:1], v[4:5], v[0:1], v[2:3]
	s_nop 0
	v_pk_add_f32 v[162:163], v[162:163], v[0:1]
	ds_read_b128 v[0:3], v43 offset:4096
	ds_read_b128 v[4:7], v43 offset:4112
	ds_read2_b32 v[40:41], v42 offset0:128 offset1:160
	s_waitcnt lgkmcnt(2)
	v_dot4c_i32_i8_e32 v170, v26, v0
	v_dot4c_i32_i8_e32 v172, v14, v0
	;; [unrolled: 1-line block ×4, first 2 shown]
	s_waitcnt lgkmcnt(1)
	v_dot4c_i32_i8_e32 v170, v27, v4
	v_dot4c_i32_i8_e32 v172, v15, v4
	;; [unrolled: 1-line block ×28, first 2 shown]
	ds_read_b128 v[0:3], v43 offset:5120
	ds_read_b128 v[4:7], v43 offset:5136
	s_waitcnt lgkmcnt(2)
	v_pk_mul_f16 v168, v131, v40
	v_pk_mul_f16 v169, v131, v41
	v_cvt_f32_f16_e32 v166, v168
	s_waitcnt lgkmcnt(1)
	v_dot4c_i32_i8_e32 v171, v26, v0
	s_waitcnt lgkmcnt(0)
	v_dot4c_i32_i8_e32 v171, v27, v4
	v_dot4c_i32_i8_e32 v171, v32, v1
	;; [unrolled: 1-line block ×7, first 2 shown]
	v_cvt_f32_f16_e32 v167, v169
	v_cvt_f32_f16_sdwa v169, v169 dst_sel:DWORD dst_unused:UNUSED_PAD src0_sel:WORD_1
	v_cvt_f32_f16_sdwa v168, v168 dst_sel:DWORD dst_unused:UNUSED_PAD src0_sel:WORD_1
	v_cvt_f32_i32_e32 v171, v171
	v_cvt_f32_i32_e32 v170, v170
	v_pk_mul_f16 v173, v51, v40
	v_pk_mul_f16 v175, v50, v40
	;; [unrolled: 1-line block ×3, first 2 shown]
	v_pk_fma_f32 v[166:167], v[170:171], v[166:167], v[168:169]
	v_mov_b32_e32 v170, 0
	v_dot4c_i32_i8_e32 v170, v14, v0
	v_dot4c_i32_i8_e32 v170, v15, v4
	v_dot4c_i32_i8_e32 v170, v22, v1
	v_dot4c_i32_i8_e32 v170, v23, v5
	v_dot4c_i32_i8_e32 v170, v30, v2
	v_dot4c_i32_i8_e32 v170, v31, v6
	v_dot4c_i32_i8_e32 v170, v34, v3
	v_dot4c_i32_i8_e32 v170, v35, v7
	v_pk_mul_f16 v168, v51, v41
	v_pk_add_f32 v[138:139], v[138:139], v[166:167]
	v_cvt_f32_f16_e32 v167, v168
	v_cvt_f32_f16_e32 v166, v173
	v_cvt_f32_f16_sdwa v169, v168 dst_sel:DWORD dst_unused:UNUSED_PAD src0_sel:WORD_1
	v_cvt_f32_f16_sdwa v168, v173 dst_sel:DWORD dst_unused:UNUSED_PAD src0_sel:WORD_1
	v_cvt_f32_i32_e32 v171, v170
	v_cvt_f32_i32_e32 v170, v172
	v_mov_b32_e32 v172, 0
	v_mov_b32_e32 v173, 0
	v_pk_fma_f32 v[166:167], v[170:171], v[166:167], v[168:169]
	v_mov_b32_e32 v170, 0
	v_dot4c_i32_i8_e32 v170, v10, v0
	v_dot4c_i32_i8_e32 v170, v11, v4
	;; [unrolled: 1-line block ×8, first 2 shown]
	v_pk_mul_f16 v168, v50, v41
	v_pk_add_f32 v[144:145], v[144:145], v[166:167]
	v_cvt_f32_f16_e32 v167, v168
	v_cvt_f32_f16_e32 v166, v175
	v_cvt_f32_f16_sdwa v169, v168 dst_sel:DWORD dst_unused:UNUSED_PAD src0_sel:WORD_1
	v_cvt_f32_f16_sdwa v168, v175 dst_sel:DWORD dst_unused:UNUSED_PAD src0_sel:WORD_1
	v_cvt_f32_i32_e32 v171, v170
	v_cvt_f32_i32_e32 v170, v174
	v_pk_fma_f32 v[166:167], v[170:171], v[166:167], v[168:169]
	s_nop 0
	v_pk_add_f32 v[150:151], v[150:151], v[166:167]
	v_mov_b32_e32 v166, 0
	v_dot4c_i32_i8_e32 v166, v8, v0
	v_dot4c_i32_i8_e32 v166, v9, v4
	;; [unrolled: 1-line block ×8, first 2 shown]
	v_pk_mul_f16 v2, v49, v41
	v_cvt_f32_f16_e32 v0, v40
	v_cvt_f32_f16_e32 v1, v2
	v_cvt_f32_f16_sdwa v3, v2 dst_sel:DWORD dst_unused:UNUSED_PAD src0_sel:WORD_1
	v_cvt_f32_f16_sdwa v2, v40 dst_sel:DWORD dst_unused:UNUSED_PAD src0_sel:WORD_1
	v_cvt_f32_i32_e32 v5, v166
	v_cvt_f32_i32_e32 v4, v176
	v_mov_b32_e32 v166, 0
	v_mov_b32_e32 v168, 0
	;; [unrolled: 1-line block ×3, first 2 shown]
	v_pk_fma_f32 v[0:1], v[4:5], v[0:1], v[2:3]
	s_nop 0
	v_pk_add_f32 v[158:159], v[158:159], v[0:1]
	ds_read_b128 v[0:3], v43 offset:6144
	ds_read_b128 v[4:7], v43 offset:6160
	ds_read2_b32 v[40:41], v42 offset0:192 offset1:224
	v_add_u32_e32 v42, 4, v42
	s_waitcnt lgkmcnt(2)
	v_dot4c_i32_i8_e32 v166, v26, v0
	v_dot4c_i32_i8_e32 v168, v14, v0
	;; [unrolled: 1-line block ×4, first 2 shown]
	s_waitcnt lgkmcnt(1)
	v_dot4c_i32_i8_e32 v166, v27, v4
	v_dot4c_i32_i8_e32 v168, v15, v4
	;; [unrolled: 1-line block ×28, first 2 shown]
	ds_read_b128 v[0:3], v43 offset:7168
	ds_read_b128 v[4:7], v43 offset:7184
	s_waitcnt lgkmcnt(2)
	v_pk_mul_f16 v167, v131, v40
	v_pk_mul_f16 v169, v51, v40
	;; [unrolled: 1-line block ×3, first 2 shown]
	s_waitcnt lgkmcnt(1)
	v_dot4c_i32_i8_e32 v173, v26, v0
	s_waitcnt lgkmcnt(0)
	v_dot4c_i32_i8_e32 v173, v27, v4
	v_dot4c_i32_i8_e32 v173, v32, v1
	;; [unrolled: 1-line block ×7, first 2 shown]
	v_pk_mul_f16 v32, v131, v41
	v_cvt_f32_f16_e32 v26, v167
	v_cvt_f32_f16_e32 v27, v32
	v_cvt_f32_f16_sdwa v33, v32 dst_sel:DWORD dst_unused:UNUSED_PAD src0_sel:WORD_1
	v_cvt_f32_f16_sdwa v32, v167 dst_sel:DWORD dst_unused:UNUSED_PAD src0_sel:WORD_1
	v_cvt_f32_i32_e32 v37, v173
	v_cvt_f32_i32_e32 v36, v166
	v_pk_mul_f16 v40, v49, v40
	v_add_u32_e32 v43, 32, v43
	v_pk_fma_f32 v[26:27], v[36:37], v[26:27], v[32:33]
	s_nop 0
	v_pk_add_f32 v[136:137], v[136:137], v[26:27]
	v_mov_b32_e32 v26, 0
	v_dot4c_i32_i8_e32 v26, v14, v0
	v_dot4c_i32_i8_e32 v26, v15, v4
	v_dot4c_i32_i8_e32 v26, v22, v1
	v_dot4c_i32_i8_e32 v26, v23, v5
	v_dot4c_i32_i8_e32 v26, v30, v2
	v_dot4c_i32_i8_e32 v26, v31, v6
	v_dot4c_i32_i8_e32 v26, v34, v3
	v_dot4c_i32_i8_e32 v26, v35, v7
	v_pk_mul_f16 v22, v51, v41
	v_cvt_f32_f16_e32 v14, v169
	v_cvt_f32_f16_e32 v15, v22
	v_cvt_f32_f16_sdwa v23, v22 dst_sel:DWORD dst_unused:UNUSED_PAD src0_sel:WORD_1
	v_cvt_f32_f16_sdwa v22, v169 dst_sel:DWORD dst_unused:UNUSED_PAD src0_sel:WORD_1
	v_cvt_f32_i32_e32 v27, v26
	v_cvt_f32_i32_e32 v26, v168
	v_pk_fma_f32 v[14:15], v[26:27], v[14:15], v[22:23]
	v_mov_b32_e32 v22, 0
	v_dot4c_i32_i8_e32 v22, v10, v0
	v_dot4c_i32_i8_e32 v22, v11, v4
	v_dot4c_i32_i8_e32 v22, v16, v1
	v_dot4c_i32_i8_e32 v22, v17, v5
	v_dot4c_i32_i8_e32 v22, v20, v2
	v_dot4c_i32_i8_e32 v22, v21, v6
	v_dot4c_i32_i8_e32 v22, v28, v3
	v_pk_add_f32 v[140:141], v[140:141], v[14:15]
	v_dot4c_i32_i8_e32 v22, v29, v7
	v_pk_mul_f16 v14, v50, v41
	v_cvt_f32_f16_e32 v10, v171
	v_cvt_f32_f16_e32 v11, v14
	v_cvt_f32_f16_sdwa v15, v14 dst_sel:DWORD dst_unused:UNUSED_PAD src0_sel:WORD_1
	v_cvt_f32_f16_sdwa v14, v171 dst_sel:DWORD dst_unused:UNUSED_PAD src0_sel:WORD_1
	v_cvt_f32_i32_e32 v17, v22
	v_cvt_f32_i32_e32 v16, v170
	v_pk_fma_f32 v[10:11], v[16:17], v[10:11], v[14:15]
	s_nop 0
	v_pk_add_f32 v[146:147], v[146:147], v[10:11]
	v_mov_b32_e32 v10, 0
	v_dot4c_i32_i8_e32 v10, v8, v0
	v_dot4c_i32_i8_e32 v10, v9, v4
	;; [unrolled: 1-line block ×8, first 2 shown]
	v_pk_mul_f16 v2, v49, v41
	v_cvt_f32_f16_e32 v0, v40
	v_cvt_f32_f16_e32 v1, v2
	v_cvt_f32_f16_sdwa v3, v2 dst_sel:DWORD dst_unused:UNUSED_PAD src0_sel:WORD_1
	v_cvt_f32_f16_sdwa v2, v40 dst_sel:DWORD dst_unused:UNUSED_PAD src0_sel:WORD_1
	v_cvt_f32_i32_e32 v5, v10
	v_cvt_f32_i32_e32 v4, v172
	v_pk_fma_f32 v[0:1], v[4:5], v[0:1], v[2:3]
	s_nop 0
	v_pk_add_f32 v[152:153], v[152:153], v[0:1]
	s_cbranch_scc1 .LBB144_12
; %bb.13:                               ;   in Loop: Header=BB144_7 Depth=1
	s_barrier
	s_branch .LBB144_6
.LBB144_14:
	v_cvt_pk_f16_f32 v20, v134, v135
	v_cvt_pk_f16_f32 v19, v154, v155
	;; [unrolled: 1-line block ×16, first 2 shown]
	v_mov_b32_e32 v4, v57
	v_cmp_gt_u32_e32 vcc, s10, v59
	s_and_saveexec_b64 s[0:1], vcc
	s_cbranch_execz .LBB144_3
.LBB144_15:
	v_add_u32_e32 v5, s4, v53
	v_mul_lo_u32 v21, v59, s14
	v_cmp_gt_u32_e32 vcc, s14, v5
	s_and_saveexec_b64 s[0:1], vcc
	s_cbranch_execz .LBB144_17
; %bb.16:
	v_add_u32_e32 v6, v5, v21
	v_mov_b32_e32 v7, 0
	s_waitcnt lgkmcnt(0)
	v_lshl_add_u64 v[6:7], v[6:7], 1, s[12:13]
	global_store_short v[6:7], v20, off
.LBB144_17:
	s_or_b64 exec, exec, s[0:1]
	v_add_u32_e32 v6, 32, v5
	v_cmp_gt_u32_e64 s[0:1], s14, v6
	s_and_saveexec_b64 s[2:3], s[0:1]
	s_cbranch_execz .LBB144_19
; %bb.18:
	v_add_u32_e32 v22, v6, v21
	v_mov_b32_e32 v23, 0
	s_waitcnt lgkmcnt(0)
	v_lshl_add_u64 v[22:23], v[22:23], 1, s[12:13]
	global_store_short v[22:23], v19, off
.LBB144_19:
	s_or_b64 exec, exec, s[2:3]
	v_add_u32_e32 v7, 64, v5
	v_cmp_gt_u32_e64 s[2:3], s14, v7
	s_and_saveexec_b64 s[4:5], s[2:3]
	;; [unrolled: 12-line block ×3, first 2 shown]
	s_cbranch_execz .LBB144_23
; %bb.22:
	v_add_u32_e32 v22, v8, v21
	v_mov_b32_e32 v23, 0
	s_waitcnt lgkmcnt(0)
	v_lshl_add_u64 v[22:23], v[22:23], 1, s[12:13]
	global_store_short v[22:23], v17, off
.LBB144_23:
	s_or_b64 exec, exec, s[6:7]
	v_add3_u32 v21, v4, s15, 8
	v_cmp_gt_u32_e64 s[6:7], s10, v21
	s_and_b64 exec, exec, s[6:7]
	s_cbranch_execz .LBB144_3
; %bb.24:
	v_mul_lo_u32 v21, v21, s14
	s_and_saveexec_b64 s[6:7], vcc
	s_cbranch_execnz .LBB144_64
; %bb.25:
	s_or_b64 exec, exec, s[6:7]
	s_and_saveexec_b64 s[6:7], s[0:1]
	s_cbranch_execnz .LBB144_65
.LBB144_26:
	s_or_b64 exec, exec, s[6:7]
	s_and_saveexec_b64 s[6:7], s[2:3]
	s_cbranch_execnz .LBB144_66
.LBB144_27:
	s_or_b64 exec, exec, s[6:7]
	s_and_saveexec_b64 s[6:7], s[4:5]
	s_cbranch_execz .LBB144_29
.LBB144_28:
	v_add_u32_e32 v18, v21, v8
	v_mov_b32_e32 v19, 0
	s_waitcnt lgkmcnt(0)
	v_lshl_add_u64 v[18:19], v[18:19], 1, s[12:13]
	global_store_short_d16_hi v[18:19], v17, off
.LBB144_29:
	s_or_b64 exec, exec, s[6:7]
	v_add3_u32 v17, v4, s15, 16
	v_cmp_gt_u32_e64 s[6:7], s10, v17
	s_and_b64 exec, exec, s[6:7]
	s_cbranch_execz .LBB144_3
; %bb.30:
	v_mul_lo_u32 v17, v17, s14
	s_and_saveexec_b64 s[6:7], vcc
	s_cbranch_execnz .LBB144_67
; %bb.31:
	s_or_b64 exec, exec, s[6:7]
	s_and_saveexec_b64 s[6:7], s[0:1]
	s_cbranch_execnz .LBB144_68
.LBB144_32:
	s_or_b64 exec, exec, s[6:7]
	s_and_saveexec_b64 s[6:7], s[2:3]
	s_cbranch_execnz .LBB144_69
.LBB144_33:
	s_or_b64 exec, exec, s[6:7]
	s_and_saveexec_b64 s[6:7], s[4:5]
	s_cbranch_execz .LBB144_35
.LBB144_34:
	v_add_u32_e32 v18, v17, v8
	v_mov_b32_e32 v19, 0
	s_waitcnt lgkmcnt(0)
	v_lshl_add_u64 v[18:19], v[18:19], 1, s[12:13]
	global_store_short v[18:19], v13, off
.LBB144_35:
	s_or_b64 exec, exec, s[6:7]
	v_add3_u32 v17, v4, s15, 24
	v_cmp_gt_u32_e64 s[6:7], s10, v17
	s_and_b64 exec, exec, s[6:7]
	s_cbranch_execz .LBB144_3
; %bb.36:
	v_mul_lo_u32 v17, v17, s14
	s_and_saveexec_b64 s[6:7], vcc
	s_cbranch_execnz .LBB144_70
; %bb.37:
	s_or_b64 exec, exec, s[6:7]
	s_and_saveexec_b64 s[6:7], s[0:1]
	s_cbranch_execnz .LBB144_71
.LBB144_38:
	s_or_b64 exec, exec, s[6:7]
	s_and_saveexec_b64 s[6:7], s[2:3]
	s_cbranch_execnz .LBB144_72
.LBB144_39:
	s_or_b64 exec, exec, s[6:7]
	s_and_saveexec_b64 s[6:7], s[4:5]
	s_cbranch_execz .LBB144_41
.LBB144_40:
	v_add_u32_e32 v14, v17, v8
	v_mov_b32_e32 v15, 0
	s_waitcnt lgkmcnt(0)
	v_lshl_add_u64 v[14:15], v[14:15], 1, s[12:13]
	global_store_short_d16_hi v[14:15], v13, off
.LBB144_41:
	s_or_b64 exec, exec, s[6:7]
	v_add3_u32 v13, v4, s15, 32
	v_cmp_gt_u32_e64 s[6:7], s10, v13
	s_and_b64 exec, exec, s[6:7]
	s_cbranch_execz .LBB144_3
; %bb.42:
	v_mul_lo_u32 v13, v13, s14
	s_and_saveexec_b64 s[6:7], vcc
	s_cbranch_execnz .LBB144_73
; %bb.43:
	s_or_b64 exec, exec, s[6:7]
	s_and_saveexec_b64 s[6:7], s[0:1]
	s_cbranch_execnz .LBB144_74
.LBB144_44:
	s_or_b64 exec, exec, s[6:7]
	s_and_saveexec_b64 s[6:7], s[2:3]
	s_cbranch_execnz .LBB144_75
.LBB144_45:
	s_or_b64 exec, exec, s[6:7]
	s_and_saveexec_b64 s[6:7], s[4:5]
	s_cbranch_execz .LBB144_47
.LBB144_46:
	v_add_u32_e32 v14, v13, v8
	v_mov_b32_e32 v15, 0
	s_waitcnt lgkmcnt(0)
	v_lshl_add_u64 v[14:15], v[14:15], 1, s[12:13]
	global_store_short v[14:15], v9, off
.LBB144_47:
	s_or_b64 exec, exec, s[6:7]
	v_add3_u32 v13, v4, s15, 40
	v_cmp_gt_u32_e64 s[6:7], s10, v13
	s_and_b64 exec, exec, s[6:7]
	s_cbranch_execz .LBB144_3
; %bb.48:
	v_mul_lo_u32 v13, v13, s14
	s_and_saveexec_b64 s[6:7], vcc
	s_cbranch_execnz .LBB144_76
; %bb.49:
	s_or_b64 exec, exec, s[6:7]
	s_and_saveexec_b64 s[6:7], s[0:1]
	s_cbranch_execnz .LBB144_77
.LBB144_50:
	s_or_b64 exec, exec, s[6:7]
	s_and_saveexec_b64 s[6:7], s[2:3]
	s_cbranch_execnz .LBB144_78
.LBB144_51:
	s_or_b64 exec, exec, s[6:7]
	s_and_saveexec_b64 s[6:7], s[4:5]
	s_cbranch_execz .LBB144_53
.LBB144_52:
	v_add_u32_e32 v10, v13, v8
	v_mov_b32_e32 v11, 0
	s_waitcnt lgkmcnt(0)
	v_lshl_add_u64 v[10:11], v[10:11], 1, s[12:13]
	global_store_short_d16_hi v[10:11], v9, off
.LBB144_53:
	s_or_b64 exec, exec, s[6:7]
	v_add3_u32 v9, v4, s15, 48
	v_cmp_gt_u32_e64 s[6:7], s10, v9
	s_and_b64 exec, exec, s[6:7]
	s_cbranch_execz .LBB144_3
; %bb.54:
	v_mul_lo_u32 v9, v9, s14
	s_and_saveexec_b64 s[6:7], vcc
	s_cbranch_execnz .LBB144_79
; %bb.55:
	s_or_b64 exec, exec, s[6:7]
	s_and_saveexec_b64 s[6:7], s[0:1]
	s_cbranch_execnz .LBB144_80
.LBB144_56:
	s_or_b64 exec, exec, s[6:7]
	s_and_saveexec_b64 s[6:7], s[2:3]
	s_cbranch_execnz .LBB144_81
.LBB144_57:
	s_or_b64 exec, exec, s[6:7]
	s_and_saveexec_b64 s[6:7], s[4:5]
	s_cbranch_execz .LBB144_59
.LBB144_58:
	v_add_u32_e32 v10, v9, v8
	v_mov_b32_e32 v11, 0
	s_waitcnt lgkmcnt(0)
	v_lshl_add_u64 v[10:11], v[10:11], 1, s[12:13]
	global_store_short v[10:11], v0, off
.LBB144_59:
	s_or_b64 exec, exec, s[6:7]
	v_add3_u32 v4, v4, s15, 56
	v_cmp_gt_u32_e64 s[6:7], s10, v4
	s_and_b64 exec, exec, s[6:7]
	s_cbranch_execz .LBB144_3
; %bb.60:
	v_mul_lo_u32 v4, v4, s14
	s_and_saveexec_b64 s[6:7], vcc
	s_cbranch_execnz .LBB144_82
; %bb.61:
	s_or_b64 exec, exec, s[6:7]
	s_and_saveexec_b64 s[6:7], s[0:1]
	s_cbranch_execnz .LBB144_83
.LBB144_62:
	s_or_b64 exec, exec, s[6:7]
	s_and_saveexec_b64 s[0:1], s[2:3]
	s_cbranch_execnz .LBB144_84
.LBB144_63:
	s_or_b64 exec, exec, s[0:1]
	s_and_b64 exec, exec, s[4:5]
	s_cbranch_execz .LBB144_3
	s_branch .LBB144_85
.LBB144_64:
	v_add_u32_e32 v22, v21, v5
	v_mov_b32_e32 v23, 0
	s_waitcnt lgkmcnt(0)
	v_lshl_add_u64 v[22:23], v[22:23], 1, s[12:13]
	global_store_short_d16_hi v[22:23], v20, off
	s_or_b64 exec, exec, s[6:7]
	s_and_saveexec_b64 s[6:7], s[0:1]
	s_cbranch_execz .LBB144_26
.LBB144_65:
	v_add_u32_e32 v22, v21, v6
	v_mov_b32_e32 v23, 0
	s_waitcnt lgkmcnt(0)
	v_lshl_add_u64 v[22:23], v[22:23], 1, s[12:13]
	global_store_short_d16_hi v[22:23], v19, off
	s_or_b64 exec, exec, s[6:7]
	s_and_saveexec_b64 s[6:7], s[2:3]
	s_cbranch_execz .LBB144_27
.LBB144_66:
	v_add_u32_e32 v22, v21, v7
	v_mov_b32_e32 v23, 0
	s_waitcnt lgkmcnt(0)
	v_lshl_add_u64 v[22:23], v[22:23], 1, s[12:13]
	global_store_short_d16_hi v[22:23], v18, off
	s_or_b64 exec, exec, s[6:7]
	s_and_saveexec_b64 s[6:7], s[4:5]
	s_cbranch_execnz .LBB144_28
	s_branch .LBB144_29
.LBB144_67:
	v_add_u32_e32 v18, v17, v5
	v_mov_b32_e32 v19, 0
	s_waitcnt lgkmcnt(0)
	v_lshl_add_u64 v[18:19], v[18:19], 1, s[12:13]
	global_store_short v[18:19], v16, off
	s_or_b64 exec, exec, s[6:7]
	s_and_saveexec_b64 s[6:7], s[0:1]
	s_cbranch_execz .LBB144_32
.LBB144_68:
	v_add_u32_e32 v18, v17, v6
	v_mov_b32_e32 v19, 0
	s_waitcnt lgkmcnt(0)
	v_lshl_add_u64 v[18:19], v[18:19], 1, s[12:13]
	global_store_short v[18:19], v15, off
	s_or_b64 exec, exec, s[6:7]
	s_and_saveexec_b64 s[6:7], s[2:3]
	s_cbranch_execz .LBB144_33
.LBB144_69:
	v_add_u32_e32 v18, v17, v7
	v_mov_b32_e32 v19, 0
	s_waitcnt lgkmcnt(0)
	v_lshl_add_u64 v[18:19], v[18:19], 1, s[12:13]
	global_store_short v[18:19], v14, off
	s_or_b64 exec, exec, s[6:7]
	s_and_saveexec_b64 s[6:7], s[4:5]
	s_cbranch_execnz .LBB144_34
	s_branch .LBB144_35
.LBB144_70:
	v_add_u32_e32 v18, v17, v5
	v_mov_b32_e32 v19, 0
	s_waitcnt lgkmcnt(0)
	v_lshl_add_u64 v[18:19], v[18:19], 1, s[12:13]
	global_store_short_d16_hi v[18:19], v16, off
	s_or_b64 exec, exec, s[6:7]
	s_and_saveexec_b64 s[6:7], s[0:1]
	s_cbranch_execz .LBB144_38
.LBB144_71:
	v_add_u32_e32 v18, v17, v6
	v_mov_b32_e32 v19, 0
	s_waitcnt lgkmcnt(0)
	v_lshl_add_u64 v[18:19], v[18:19], 1, s[12:13]
	global_store_short_d16_hi v[18:19], v15, off
	s_or_b64 exec, exec, s[6:7]
	s_and_saveexec_b64 s[6:7], s[2:3]
	s_cbranch_execz .LBB144_39
.LBB144_72:
	v_add_u32_e32 v18, v17, v7
	v_mov_b32_e32 v19, 0
	s_waitcnt lgkmcnt(0)
	v_lshl_add_u64 v[18:19], v[18:19], 1, s[12:13]
	global_store_short_d16_hi v[18:19], v14, off
	s_or_b64 exec, exec, s[6:7]
	s_and_saveexec_b64 s[6:7], s[4:5]
	s_cbranch_execnz .LBB144_40
	s_branch .LBB144_41
.LBB144_73:
	v_add_u32_e32 v14, v13, v5
	v_mov_b32_e32 v15, 0
	s_waitcnt lgkmcnt(0)
	v_lshl_add_u64 v[14:15], v[14:15], 1, s[12:13]
	global_store_short v[14:15], v12, off
	s_or_b64 exec, exec, s[6:7]
	s_and_saveexec_b64 s[6:7], s[0:1]
	s_cbranch_execz .LBB144_44
.LBB144_74:
	v_add_u32_e32 v14, v13, v6
	v_mov_b32_e32 v15, 0
	s_waitcnt lgkmcnt(0)
	v_lshl_add_u64 v[14:15], v[14:15], 1, s[12:13]
	global_store_short v[14:15], v11, off
	s_or_b64 exec, exec, s[6:7]
	s_and_saveexec_b64 s[6:7], s[2:3]
	s_cbranch_execz .LBB144_45
.LBB144_75:
	v_add_u32_e32 v14, v13, v7
	v_mov_b32_e32 v15, 0
	s_waitcnt lgkmcnt(0)
	v_lshl_add_u64 v[14:15], v[14:15], 1, s[12:13]
	global_store_short v[14:15], v10, off
	s_or_b64 exec, exec, s[6:7]
	s_and_saveexec_b64 s[6:7], s[4:5]
	s_cbranch_execnz .LBB144_46
	s_branch .LBB144_47
.LBB144_76:
	v_add_u32_e32 v14, v13, v5
	v_mov_b32_e32 v15, 0
	s_waitcnt lgkmcnt(0)
	v_lshl_add_u64 v[14:15], v[14:15], 1, s[12:13]
	global_store_short_d16_hi v[14:15], v12, off
	s_or_b64 exec, exec, s[6:7]
	s_and_saveexec_b64 s[6:7], s[0:1]
	s_cbranch_execz .LBB144_50
.LBB144_77:
	v_add_u32_e32 v14, v13, v6
	v_mov_b32_e32 v15, 0
	s_waitcnt lgkmcnt(0)
	v_lshl_add_u64 v[14:15], v[14:15], 1, s[12:13]
	global_store_short_d16_hi v[14:15], v11, off
	s_or_b64 exec, exec, s[6:7]
	s_and_saveexec_b64 s[6:7], s[2:3]
	s_cbranch_execz .LBB144_51
.LBB144_78:
	v_add_u32_e32 v14, v13, v7
	v_mov_b32_e32 v15, 0
	s_waitcnt lgkmcnt(0)
	v_lshl_add_u64 v[14:15], v[14:15], 1, s[12:13]
	global_store_short_d16_hi v[14:15], v10, off
	s_or_b64 exec, exec, s[6:7]
	s_and_saveexec_b64 s[6:7], s[4:5]
	s_cbranch_execnz .LBB144_52
	s_branch .LBB144_53
.LBB144_79:
	v_add_u32_e32 v10, v9, v5
	v_mov_b32_e32 v11, 0
	s_waitcnt lgkmcnt(0)
	v_lshl_add_u64 v[10:11], v[10:11], 1, s[12:13]
	global_store_short v[10:11], v3, off
	s_or_b64 exec, exec, s[6:7]
	s_and_saveexec_b64 s[6:7], s[0:1]
	s_cbranch_execz .LBB144_56
.LBB144_80:
	v_add_u32_e32 v10, v9, v6
	v_mov_b32_e32 v11, 0
	s_waitcnt lgkmcnt(0)
	v_lshl_add_u64 v[10:11], v[10:11], 1, s[12:13]
	global_store_short v[10:11], v2, off
	s_or_b64 exec, exec, s[6:7]
	s_and_saveexec_b64 s[6:7], s[2:3]
	s_cbranch_execz .LBB144_57
.LBB144_81:
	v_add_u32_e32 v10, v9, v7
	v_mov_b32_e32 v11, 0
	s_waitcnt lgkmcnt(0)
	v_lshl_add_u64 v[10:11], v[10:11], 1, s[12:13]
	global_store_short v[10:11], v1, off
	s_or_b64 exec, exec, s[6:7]
	s_and_saveexec_b64 s[6:7], s[4:5]
	s_cbranch_execnz .LBB144_58
	s_branch .LBB144_59
.LBB144_82:
	v_add_u32_e32 v10, v4, v5
	v_mov_b32_e32 v11, 0
	s_waitcnt lgkmcnt(0)
	v_lshl_add_u64 v[10:11], v[10:11], 1, s[12:13]
	global_store_short_d16_hi v[10:11], v3, off
	s_or_b64 exec, exec, s[6:7]
	s_and_saveexec_b64 s[6:7], s[0:1]
	s_cbranch_execz .LBB144_62
.LBB144_83:
	v_add_u32_e32 v10, v4, v6
	v_mov_b32_e32 v11, 0
	s_waitcnt lgkmcnt(0)
	v_lshl_add_u64 v[10:11], v[10:11], 1, s[12:13]
	global_store_short_d16_hi v[10:11], v2, off
	s_or_b64 exec, exec, s[6:7]
	s_and_saveexec_b64 s[0:1], s[2:3]
	s_cbranch_execz .LBB144_63
.LBB144_84:
	v_add_u32_e32 v2, v4, v7
	v_mov_b32_e32 v3, 0
	s_waitcnt lgkmcnt(0)
	v_lshl_add_u64 v[2:3], v[2:3], 1, s[12:13]
	global_store_short_d16_hi v[2:3], v1, off
	s_or_b64 exec, exec, s[0:1]
	s_and_b64 exec, exec, s[4:5]
	s_cbranch_execz .LBB144_3
.LBB144_85:
	v_add_u32_e32 v2, v4, v8
	v_mov_b32_e32 v3, 0
	s_waitcnt lgkmcnt(0)
	v_lshl_add_u64 v[2:3], v[2:3], 1, s[12:13]
	global_store_short_d16_hi v[2:3], v0, off
	s_endpgm
	.section	.rodata,"a",@progbits
	.p2align	6, 0x0
	.amdhsa_kernel _ZL12mul_mat_q5_1IN3c104HalfELb1EEvPKvS3_PT_iiiii
		.amdhsa_group_segment_fixed_size 46720
		.amdhsa_private_segment_fixed_size 0
		.amdhsa_kernarg_size 44
		.amdhsa_user_sgpr_count 2
		.amdhsa_user_sgpr_dispatch_ptr 0
		.amdhsa_user_sgpr_queue_ptr 0
		.amdhsa_user_sgpr_kernarg_segment_ptr 1
		.amdhsa_user_sgpr_dispatch_id 0
		.amdhsa_user_sgpr_kernarg_preload_length 0
		.amdhsa_user_sgpr_kernarg_preload_offset 0
		.amdhsa_user_sgpr_private_segment_size 0
		.amdhsa_uses_dynamic_stack 0
		.amdhsa_enable_private_segment 0
		.amdhsa_system_sgpr_workgroup_id_x 1
		.amdhsa_system_sgpr_workgroup_id_y 1
		.amdhsa_system_sgpr_workgroup_id_z 0
		.amdhsa_system_sgpr_workgroup_info 0
		.amdhsa_system_vgpr_workitem_id 1
		.amdhsa_next_free_vgpr 246
		.amdhsa_next_free_sgpr 96
		.amdhsa_accum_offset 248
		.amdhsa_reserve_vcc 1
		.amdhsa_float_round_mode_32 0
		.amdhsa_float_round_mode_16_64 0
		.amdhsa_float_denorm_mode_32 3
		.amdhsa_float_denorm_mode_16_64 3
		.amdhsa_dx10_clamp 1
		.amdhsa_ieee_mode 1
		.amdhsa_fp16_overflow 0
		.amdhsa_tg_split 0
		.amdhsa_exception_fp_ieee_invalid_op 0
		.amdhsa_exception_fp_denorm_src 0
		.amdhsa_exception_fp_ieee_div_zero 0
		.amdhsa_exception_fp_ieee_overflow 0
		.amdhsa_exception_fp_ieee_underflow 0
		.amdhsa_exception_fp_ieee_inexact 0
		.amdhsa_exception_int_div_zero 0
	.end_amdhsa_kernel
	.section	.text._ZL12mul_mat_q5_1IN3c104HalfELb1EEvPKvS3_PT_iiiii,"axG",@progbits,_ZL12mul_mat_q5_1IN3c104HalfELb1EEvPKvS3_PT_iiiii,comdat
.Lfunc_end144:
	.size	_ZL12mul_mat_q5_1IN3c104HalfELb1EEvPKvS3_PT_iiiii, .Lfunc_end144-_ZL12mul_mat_q5_1IN3c104HalfELb1EEvPKvS3_PT_iiiii
                                        ; -- End function
	.set _ZL12mul_mat_q5_1IN3c104HalfELb1EEvPKvS3_PT_iiiii.num_vgpr, 246
	.set _ZL12mul_mat_q5_1IN3c104HalfELb1EEvPKvS3_PT_iiiii.num_agpr, 0
	.set _ZL12mul_mat_q5_1IN3c104HalfELb1EEvPKvS3_PT_iiiii.numbered_sgpr, 18
	.set _ZL12mul_mat_q5_1IN3c104HalfELb1EEvPKvS3_PT_iiiii.num_named_barrier, 0
	.set _ZL12mul_mat_q5_1IN3c104HalfELb1EEvPKvS3_PT_iiiii.private_seg_size, 0
	.set _ZL12mul_mat_q5_1IN3c104HalfELb1EEvPKvS3_PT_iiiii.uses_vcc, 1
	.set _ZL12mul_mat_q5_1IN3c104HalfELb1EEvPKvS3_PT_iiiii.uses_flat_scratch, 0
	.set _ZL12mul_mat_q5_1IN3c104HalfELb1EEvPKvS3_PT_iiiii.has_dyn_sized_stack, 0
	.set _ZL12mul_mat_q5_1IN3c104HalfELb1EEvPKvS3_PT_iiiii.has_recursion, 0
	.set _ZL12mul_mat_q5_1IN3c104HalfELb1EEvPKvS3_PT_iiiii.has_indirect_call, 0
	.section	.AMDGPU.csdata,"",@progbits
; Kernel info:
; codeLenInByte = 12896
; TotalNumSgprs: 24
; NumVgprs: 246
; NumAgprs: 0
; TotalNumVgprs: 246
; ScratchSize: 0
; MemoryBound: 0
; FloatMode: 240
; IeeeMode: 1
; LDSByteSize: 46720 bytes/workgroup (compile time only)
; SGPRBlocks: 12
; VGPRBlocks: 30
; NumSGPRsForWavesPerEU: 102
; NumVGPRsForWavesPerEU: 246
; AccumOffset: 248
; Occupancy: 2
; WaveLimiterHint : 0
; COMPUTE_PGM_RSRC2:SCRATCH_EN: 0
; COMPUTE_PGM_RSRC2:USER_SGPR: 2
; COMPUTE_PGM_RSRC2:TRAP_HANDLER: 0
; COMPUTE_PGM_RSRC2:TGID_X_EN: 1
; COMPUTE_PGM_RSRC2:TGID_Y_EN: 1
; COMPUTE_PGM_RSRC2:TGID_Z_EN: 0
; COMPUTE_PGM_RSRC2:TIDIG_COMP_CNT: 1
; COMPUTE_PGM_RSRC3_GFX90A:ACCUM_OFFSET: 61
; COMPUTE_PGM_RSRC3_GFX90A:TG_SPLIT: 0
	.section	.text._ZL12mul_mat_q8_0IN3c104HalfELb0EEvPKvS3_PT_iiiii,"axG",@progbits,_ZL12mul_mat_q8_0IN3c104HalfELb0EEvPKvS3_PT_iiiii,comdat
	.globl	_ZL12mul_mat_q8_0IN3c104HalfELb0EEvPKvS3_PT_iiiii ; -- Begin function _ZL12mul_mat_q8_0IN3c104HalfELb0EEvPKvS3_PT_iiiii
	.p2align	8
	.type	_ZL12mul_mat_q8_0IN3c104HalfELb0EEvPKvS3_PT_iiiii,@function
_ZL12mul_mat_q8_0IN3c104HalfELb0EEvPKvS3_PT_iiiii: ; @_ZL12mul_mat_q8_0IN3c104HalfELb0EEvPKvS3_PT_iiiii
; %bb.0:
	s_load_dword s6, s[0:1], 0x18
	s_load_dwordx4 s[8:11], s[0:1], 0x20
	s_waitcnt lgkmcnt(0)
	s_lshl_b32 s11, s3, 6
	v_bfe_u32 v13, v0, 10, 10
	s_cmp_gt_i32 s6, 31
	s_cbranch_scc1 .LBB145_4
; %bb.1:
	v_bfe_u32 v4, v0, 10, 10
	v_and_b32_e32 v9, 0x3ff, v0
	v_add_u32_e32 v15, s11, v4
	s_load_dwordx2 s[12:13], s[0:1], 0x10
	s_lshl_b32 s4, s2, 7
	s_cbranch_execz .LBB145_5
; %bb.2:
	v_mov_b32_e32 v0, 0
	v_mov_b32_e32 v10, 0
	;; [unrolled: 1-line block ×16, first 2 shown]
	v_cmp_gt_u32_e32 vcc, s8, v15
	s_and_saveexec_b64 s[0:1], vcc
	s_cbranch_execnz .LBB145_10
.LBB145_3:
	s_endpgm
.LBB145_4:
                                        ; implicit-def: $vgpr4
                                        ; implicit-def: $vgpr9
                                        ; implicit-def: $vgpr15
	s_load_dwordx2 s[12:13], s[0:1], 0x10
	s_lshl_b32 s4, s2, 7
.LBB145_5:
	s_ashr_i32 s5, s6, 31
	s_lshr_b32 s5, s5, 27
	s_add_i32 s6, s6, s5
	s_load_dwordx4 s[0:3], s[0:1], 0x0
	s_ashr_i32 s5, s6, 5
	s_ashr_i32 s6, s9, 31
	s_lshr_b32 s6, s6, 27
	s_add_i32 s6, s9, s6
	s_ashr_i32 s9, s6, 5
	s_mul_i32 s6, s5, s4
	s_mul_hi_i32 s7, s6, 34
	s_mul_i32 s6, s6, 34
	v_and_b32_e32 v9, 0x3ff, v0
	s_waitcnt lgkmcnt(0)
	s_add_u32 s6, s0, s6
	v_lshlrev_b32_e32 v1, 2, v9
	s_movk_i32 s0, 0x84
	s_addc_u32 s7, s1, s7
	v_mul_lo_u32 v12, s5, v13
	v_mad_u32_u24 v17, v13, s0, v1
	s_lshl_b32 s0, s5, 3
	v_add_u32_e32 v14, s0, v12
	v_add_u32_e32 v16, s0, v14
	v_add_u32_e32 v18, s0, v16
	v_add_u32_e32 v20, s0, v18
	v_add_u32_e32 v22, s0, v20
	v_add_u32_e32 v24, s0, v22
	v_add_u32_e32 v26, s0, v24
	v_and_b32_e32 v10, 28, v1
	v_add_u32_e32 v28, s0, v26
	v_lshlrev_b32_e32 v1, 3, v13
	v_bfe_u32 v2, v0, 2, 8
	v_add_u32_e32 v30, s0, v28
	v_add_u32_e32 v4, v2, v1
	v_add_u16_e32 v1, v2, v1
	v_add_u32_e32 v32, s0, v30
	v_and_b32_e32 v44, 3, v0
	v_lshrrev_b16_e32 v1, 1, v1
	v_add_u32_e32 v34, s0, v32
	v_and_b32_e32 v1, 0x7fc, v1
	v_lshlrev_b32_e32 v5, 2, v44
	s_movk_i32 s14, 0x6200
	v_add_u32_e32 v36, s0, v34
	v_add3_u32 v6, v1, v5, s14
	v_add_u32_e32 v1, 64, v4
	v_bfe_u32 v8, v0, 3, 7
	v_add_u32_e32 v38, s0, v36
	v_lshrrev_b32_e32 v2, 1, v1
	v_lshlrev_b32_e32 v53, 4, v1
	v_and_b32_e32 v0, 31, v0
	v_mov_b32_e32 v1, 0x4200
	v_add_u32_e32 v40, s0, v38
	v_lshl_or_b32 v54, v0, 2, v1
	v_and_b32_e32 v0, 63, v4
	v_add_u32_e32 v42, s0, v40
	s_add_i32 s0, s8, -1
	v_or_b32_e32 v1, s11, v0
	v_add_u32_e32 v45, 0x39c0, v17
	v_and_b32_e32 v2, 0xffc, v2
	v_add_u32_e32 v15, s11, v13
	v_min_i32_e32 v1, s0, v1
	v_lshl_or_b32 v0, v0, 4, v5
	v_add3_u32 v52, v2, v5, s14
	v_cvt_f64_i32_e32 v[2:3], s0
	v_mad_u64_u32 v[50:51], s[0:1], v1, s9, v[44:45]
	v_add_u32_e32 v49, 0x6a40, v0
	v_cvt_f64_u32_e32 v[0:1], v15
	v_min_f64 v[0:1], v[0:1], v[2:3]
	v_cvt_i32_f64_e32 v0, v[0:1]
	v_mul_lo_u32 v51, s9, v0
	v_add_u32_e32 v0, 8, v15
	v_cvt_f64_u32_e32 v[0:1], v0
	v_min_f64 v[0:1], v[0:1], v[2:3]
	v_cvt_i32_f64_e32 v0, v[0:1]
	v_mul_lo_u32 v87, s9, v0
	;; [unrolled: 5-line block ×7, first 2 shown]
	v_add_u32_e32 v0, 56, v15
	v_cvt_f64_u32_e32 v[0:1], v0
	v_min_f64 v[0:1], v[0:1], v[2:3]
	v_add_u32_e32 v3, 0x60, v9
	v_add_u32_e32 v2, 64, v9
	v_lshrrev_b32_e32 v3, 1, v3
	v_cvt_i32_f64_e32 v0, v[0:1]
	v_add_u32_e32 v1, 32, v9
	v_lshlrev_b32_e32 v60, 4, v9
	v_and_b32_e32 v3, 0xfc, v3
	s_movk_i32 s0, 0x6800
	v_lshrrev_b32_e32 v2, 1, v2
	v_add3_u32 v132, v60, v3, s0
	v_and_b32_e32 v2, 0xfc, v2
	s_movk_i32 s0, 0x6600
	v_lshrrev_b32_e32 v1, 1, v1
	v_add3_u32 v133, v60, v2, s0
	v_and_b32_e32 v1, 0xfc, v1
	s_movk_i32 s0, 0x6400
	v_mov_b32_e32 v11, 0
	v_mul_lo_u32 v46, s5, v4
	v_lshlrev_b32_e32 v7, 4, v4
	v_lshlrev_b32_e32 v4, 7, v13
	v_add3_u32 v134, v60, v1, s0
	v_lshlrev_b32_e32 v1, 2, v8
	v_add_u32_e32 v5, 0x400, v4
	v_add_u32_e32 v55, 0x800, v4
	;; [unrolled: 1-line block ×6, first 2 shown]
	v_mul_lo_u32 v130, s9, v0
	v_add_u32_e32 v0, 0x1c00, v4
	v_add3_u32 v135, v60, v1, s14
	v_mov_b32_e32 v1, 0x6a40
	v_add_u32_e32 v139, v52, v53
	v_mov_b32_e32 v52, v11
	v_mov_b32_e32 v53, v11
	v_add_u32_e32 v19, 0x420, v17
	v_add_u32_e32 v21, 0x840, v17
	v_add_u32_e32 v23, 0xc60, v17
	v_add_u32_e32 v25, 0x1080, v17
	v_add_u32_e32 v27, 0x14a0, v17
	v_add_u32_e32 v29, 0x18c0, v17
	v_add_u32_e32 v31, 0x1ce0, v17
	v_add_u32_e32 v33, 0x2100, v17
	v_add_u32_e32 v35, 0x2520, v17
	v_add_u32_e32 v37, 0x2940, v17
	v_add_u32_e32 v39, 0x2d60, v17
	v_add_u32_e32 v41, 0x3180, v17
	v_add_u32_e32 v43, 0x35a0, v17
	v_add_u32_e32 v47, 0x3de0, v17
	v_lshl_add_u32 v48, s5, 6, v46
	v_mul_u32_u24_e32 v131, 0x84, v9
	v_lshl_add_u32 v136, v13, 4, v1
	v_add_u32_e32 v137, 0x4200, v4
	s_mov_b32 s9, 0
	v_add_u32_e32 v138, v6, v7
	v_add_u32_e32 v140, v54, v4
	;; [unrolled: 1-line block ×9, first 2 shown]
	v_lshl_add_u64 v[66:67], s[2:3], 0, v[10:11]
	v_mov_b64_e32 v[60:61], v[52:53]
	v_mov_b64_e32 v[56:57], v[52:53]
	v_mov_b64_e32 v[54:55], v[52:53]
	v_mov_b64_e32 v[74:75], v[52:53]
	v_mov_b64_e32 v[68:69], v[52:53]
	v_mov_b64_e32 v[62:63], v[52:53]
	v_mov_b64_e32 v[58:59], v[52:53]
	v_mov_b64_e32 v[80:81], v[52:53]
	v_mov_b64_e32 v[76:77], v[52:53]
	v_mov_b64_e32 v[70:71], v[52:53]
	v_mov_b64_e32 v[64:65], v[52:53]
	v_mov_b64_e32 v[84:85], v[52:53]
	v_mov_b64_e32 v[82:83], v[52:53]
	v_mov_b64_e32 v[78:79], v[52:53]
	v_mov_b64_e32 v[72:73], v[52:53]
.LBB145_6:                              ; =>This Loop Header: Depth=1
                                        ;     Child Loop BB145_7 Depth 2
	s_mul_i32 s0, s9, 34
	s_mul_hi_u32 s1, s9, 34
	s_add_u32 s0, s6, s0
	s_addc_u32 s1, s7, s1
	v_mad_u64_u32 v[0:1], s[14:15], v8, 34, s[0:1]
	v_mad_u64_u32 v[2:3], s[14:15], v12, 34, v[0:1]
	v_lshl_add_u64 v[2:3], v[2:3], 0, v[10:11]
	global_load_dword v2, v[2:3], off offset:2
	v_mov_b32_e32 v148, v137
	v_mov_b32_e32 v149, v136
	;; [unrolled: 1-line block ×7, first 2 shown]
	s_waitcnt vmcnt(0)
	ds_write_b32 v17, v2
	v_mad_u64_u32 v[2:3], s[14:15], v14, 34, v[0:1]
	v_lshl_add_u64 v[2:3], v[2:3], 0, v[10:11]
	global_load_dword v2, v[2:3], off offset:2
	s_waitcnt vmcnt(0)
	ds_write_b32 v19, v2
	v_mad_u64_u32 v[2:3], s[14:15], v16, 34, v[0:1]
	v_lshl_add_u64 v[2:3], v[2:3], 0, v[10:11]
	global_load_dword v2, v[2:3], off offset:2
	;; [unrolled: 5-line block ×13, first 2 shown]
	s_waitcnt vmcnt(0)
	ds_write_b32 v43, v2
	v_mad_u64_u32 v[2:3], s[14:15], v40, 34, v[0:1]
	v_mad_u64_u32 v[0:1], s[14:15], v42, 34, v[0:1]
	v_lshl_add_u64 v[2:3], v[2:3], 0, v[10:11]
	v_lshl_add_u64 v[0:1], v[0:1], 0, v[10:11]
	global_load_dword v2, v[2:3], off offset:2
	s_nop 0
	global_load_dword v0, v[0:1], off offset:2
	s_waitcnt vmcnt(1)
	ds_write_b32 v45, v2
	s_waitcnt vmcnt(0)
	ds_write_b32 v47, v0
	v_mad_u64_u32 v[0:1], s[0:1], v44, 34, s[0:1]
	v_mad_u64_u32 v[2:3], s[0:1], v46, 34, v[0:1]
	;; [unrolled: 1-line block ×3, first 2 shown]
	global_load_ushort v2, v[2:3], off
	s_nop 0
	global_load_ushort v0, v[0:1], off
	s_waitcnt vmcnt(1)
	v_cvt_f32_f16_e32 v2, v2
	s_waitcnt vmcnt(0)
	v_cvt_f32_f16_e32 v0, v0
	ds_write_b32 v138, v2
	v_add_u32_e32 v2, s9, v8
	ds_write_b32 v139, v0
	v_add_u32_e32 v0, s9, v50
	v_mad_u64_u32 v[0:1], s[0:1], v0, 36, s[2:3]
	global_load_dword v3, v[0:1], off
	v_add_u32_e32 v0, v2, v51
	v_mad_i64_i32 v[0:1], s[0:1], v0, 36, v[66:67]
	global_load_dword v0, v[0:1], off offset:4
	s_waitcnt vmcnt(0)
	ds_write_b32 v140, v0
	v_add_u32_e32 v0, v2, v87
	v_mad_i64_i32 v[0:1], s[0:1], v0, 36, v[66:67]
	global_load_dword v0, v[0:1], off offset:4
	s_waitcnt vmcnt(0)
	ds_write_b32 v141, v0
	v_add_u32_e32 v0, v2, v89
	v_mad_i64_i32 v[0:1], s[0:1], v0, 36, v[66:67]
	global_load_dword v0, v[0:1], off offset:4
	s_waitcnt vmcnt(0)
	ds_write_b32 v142, v0
	v_add_u32_e32 v0, v2, v91
	v_mad_i64_i32 v[0:1], s[0:1], v0, 36, v[66:67]
	global_load_dword v0, v[0:1], off offset:4
	s_waitcnt vmcnt(0)
	ds_write_b32 v143, v0
	v_add_u32_e32 v0, v2, v93
	v_mad_i64_i32 v[0:1], s[0:1], v0, 36, v[66:67]
	global_load_dword v0, v[0:1], off offset:4
	s_waitcnt vmcnt(0)
	ds_write_b32 v144, v0
	v_add_u32_e32 v0, v2, v128
	v_mad_i64_i32 v[0:1], s[0:1], v0, 36, v[66:67]
	global_load_dword v0, v[0:1], off offset:4
	s_waitcnt vmcnt(0)
	ds_write_b32 v145, v0
	v_add_u32_e32 v0, v2, v129
	v_mad_i64_i32 v[0:1], s[0:1], v0, 36, v[66:67]
	global_load_dword v0, v[0:1], off offset:4
	s_waitcnt vmcnt(0)
	ds_write_b32 v146, v0
	v_add_u32_e32 v0, v2, v130
	v_mad_i64_i32 v[0:1], s[0:1], v0, 36, v[66:67]
	global_load_dword v0, v[0:1], off offset:4
	s_mov_b32 s0, -8
	s_waitcnt vmcnt(0)
	ds_write_b32 v147, v0
	v_cvt_f32_f16_e32 v0, v3
	ds_write_b32 v49, v0
	s_waitcnt lgkmcnt(0)
	s_barrier
.LBB145_7:                              ;   Parent Loop BB145_6 Depth=1
                                        ; =>  This Inner Loop Header: Depth=2
	v_add_u32_e32 v6, 0x1080, v154
	ds_read2_b32 v[0:1], v149 offset1:32
	ds_read_b128 v[2:5], v148
	ds_read_b128 v[156:159], v148 offset:16
	ds_read_b32 v92, v150
	ds_read2_b32 v[118:119], v154 offset1:1
	ds_read2_b32 v[120:121], v154 offset0:2 offset1:3
	ds_read2_b32 v[122:123], v154 offset0:4 offset1:5
	;; [unrolled: 1-line block ×3, first 2 shown]
	ds_read_b32 v88, v151
	ds_read2_b32 v[94:95], v6 offset1:1
	v_add_u32_e32 v6, 0x1088, v154
	ds_read2_b32 v[98:99], v6 offset1:1
	v_add_u32_e32 v6, 0x1090, v154
	;; [unrolled: 2-line block ×4, first 2 shown]
	ds_read_b32 v90, v152
	ds_read2_b32 v[96:97], v6 offset1:1
	v_add_u32_e32 v6, 0x2108, v154
	ds_read2_b32 v[102:103], v6 offset1:1
	v_add_u32_e32 v6, 0x2110, v154
	;; [unrolled: 2-line block ×4, first 2 shown]
	ds_read_b32 v86, v153
	ds_read2_b32 v[100:101], v6 offset1:1
	v_mov_b32_e32 v126, 0
	v_mov_b32_e32 v155, 0
	;; [unrolled: 1-line block ×4, first 2 shown]
	s_waitcnt lgkmcnt(14)
	v_dot4c_i32_i8_e32 v126, v118, v2
	s_waitcnt lgkmcnt(10)
	v_dot4c_i32_i8_e32 v155, v94, v2
	s_waitcnt lgkmcnt(5)
	v_dot4c_i32_i8_e32 v160, v96, v2
	s_waitcnt lgkmcnt(0)
	v_dot4c_i32_i8_e32 v161, v100, v2
	v_add_u32_e32 v2, 0x3188, v154
	ds_read2_b32 v[106:107], v2 offset1:1
	v_add_u32_e32 v2, 0x3190, v154
	ds_read2_b32 v[112:113], v2 offset1:1
	v_add_u32_e32 v2, 0x3198, v154
	v_dot4c_i32_i8_e32 v126, v119, v3
	v_dot4c_i32_i8_e32 v155, v95, v3
	;; [unrolled: 1-line block ×4, first 2 shown]
	ds_read2_b32 v[116:117], v2 offset1:1
	v_dot4c_i32_i8_e32 v126, v120, v4
	v_dot4c_i32_i8_e32 v155, v98, v4
	v_dot4c_i32_i8_e32 v160, v102, v4
	s_waitcnt lgkmcnt(2)
	v_dot4c_i32_i8_e32 v161, v106, v4
	v_dot4c_i32_i8_e32 v126, v121, v5
	v_dot4c_i32_i8_e32 v155, v99, v5
	v_dot4c_i32_i8_e32 v160, v103, v5
	v_dot4c_i32_i8_e32 v161, v107, v5
	v_dot4c_i32_i8_e32 v126, v122, v156
	v_dot4c_i32_i8_e32 v155, v104, v156
	v_dot4c_i32_i8_e32 v160, v108, v156
	s_waitcnt lgkmcnt(1)
	v_dot4c_i32_i8_e32 v161, v112, v156
	v_dot4c_i32_i8_e32 v126, v123, v157
	v_dot4c_i32_i8_e32 v155, v105, v157
	v_dot4c_i32_i8_e32 v160, v109, v157
	v_dot4c_i32_i8_e32 v161, v113, v157
	;; [unrolled: 9-line block ×3, first 2 shown]
	ds_read_b128 v[2:5], v148 offset:1024
	ds_read_b128 v[156:159], v148 offset:1040
	v_mov_b32_e32 v127, 0
	v_cvt_f32_i32_e32 v126, v126
	v_pk_mul_f32 v[6:7], v[92:93], v[0:1] op_sel_hi:[0,1]
	s_waitcnt lgkmcnt(1)
	v_dot4c_i32_i8_e32 v127, v118, v2
	v_dot4c_i32_i8_e32 v127, v119, v3
	;; [unrolled: 1-line block ×4, first 2 shown]
	s_waitcnt lgkmcnt(0)
	v_dot4c_i32_i8_e32 v127, v122, v156
	v_dot4c_i32_i8_e32 v127, v123, v157
	;; [unrolled: 1-line block ×4, first 2 shown]
	s_add_i32 s0, s0, 8
	v_add_u32_e32 v154, 32, v154
	v_add_u32_e32 v153, 4, v153
	v_cvt_f32_i32_e32 v127, v127
	v_add_u32_e32 v152, 4, v152
	v_add_u32_e32 v151, 4, v151
	;; [unrolled: 1-line block ×3, first 2 shown]
	v_pk_fma_f32 v[52:53], v[6:7], v[126:127], v[52:53]
	v_mov_b32_e32 v126, 0
	v_dot4c_i32_i8_e32 v126, v94, v2
	v_dot4c_i32_i8_e32 v126, v95, v3
	;; [unrolled: 1-line block ×8, first 2 shown]
	v_pk_mul_f32 v[6:7], v[88:89], v[0:1] op_sel_hi:[0,1]
	s_cmp_lt_u32 s0, 24
	s_nop 0
	v_cvt_f32_i32_e32 v127, v126
	v_cvt_f32_i32_e32 v126, v155
	v_mov_b32_e32 v155, 0
	v_pk_fma_f32 v[74:75], v[6:7], v[126:127], v[74:75]
	v_mov_b32_e32 v126, 0
	v_dot4c_i32_i8_e32 v126, v96, v2
	v_dot4c_i32_i8_e32 v126, v97, v3
	;; [unrolled: 1-line block ×8, first 2 shown]
	v_pk_mul_f32 v[6:7], v[90:91], v[0:1] op_sel_hi:[0,1]
	v_pk_mul_f32 v[0:1], v[86:87], v[0:1] op_sel_hi:[0,1]
	s_nop 0
	v_cvt_f32_i32_e32 v127, v126
	v_cvt_f32_i32_e32 v126, v160
	v_mov_b32_e32 v160, 0
	v_pk_fma_f32 v[80:81], v[6:7], v[126:127], v[80:81]
	v_mov_b32_e32 v6, 0
	v_dot4c_i32_i8_e32 v6, v100, v2
	v_dot4c_i32_i8_e32 v6, v101, v3
	;; [unrolled: 1-line block ×8, first 2 shown]
	v_cvt_f32_i32_e32 v2, v161
	v_mov_b32_e32 v126, 0
	v_mov_b32_e32 v161, 0
	v_cvt_f32_i32_e32 v3, v6
	v_mov_b32_e32 v127, 0
	v_pk_fma_f32 v[84:85], v[0:1], v[2:3], v[84:85]
	ds_read2_b32 v[0:1], v149 offset0:64 offset1:96
	ds_read_b128 v[2:5], v148 offset:2048
	ds_read_b128 v[156:159], v148 offset:2064
	s_waitcnt lgkmcnt(2)
	v_pk_mul_f32 v[6:7], v[92:93], v[0:1] op_sel_hi:[0,1]
	s_waitcnt lgkmcnt(1)
	v_dot4c_i32_i8_e32 v126, v118, v2
	v_dot4c_i32_i8_e32 v155, v94, v2
	;; [unrolled: 1-line block ×16, first 2 shown]
	s_waitcnt lgkmcnt(0)
	v_dot4c_i32_i8_e32 v126, v122, v156
	v_dot4c_i32_i8_e32 v155, v104, v156
	;; [unrolled: 1-line block ×16, first 2 shown]
	ds_read_b128 v[2:5], v148 offset:3072
	ds_read_b128 v[156:159], v148 offset:3088
	v_cvt_f32_i32_e32 v126, v126
	s_waitcnt lgkmcnt(1)
	v_dot4c_i32_i8_e32 v127, v118, v2
	v_dot4c_i32_i8_e32 v127, v119, v3
	;; [unrolled: 1-line block ×4, first 2 shown]
	s_waitcnt lgkmcnt(0)
	v_dot4c_i32_i8_e32 v127, v122, v156
	v_dot4c_i32_i8_e32 v127, v123, v157
	;; [unrolled: 1-line block ×4, first 2 shown]
	s_nop 2
	v_cvt_f32_i32_e32 v127, v127
	v_pk_fma_f32 v[60:61], v[6:7], v[126:127], v[60:61]
	v_mov_b32_e32 v126, 0
	v_dot4c_i32_i8_e32 v126, v94, v2
	v_dot4c_i32_i8_e32 v126, v95, v3
	;; [unrolled: 1-line block ×8, first 2 shown]
	v_pk_mul_f32 v[6:7], v[88:89], v[0:1] op_sel_hi:[0,1]
	s_nop 1
	v_cvt_f32_i32_e32 v127, v126
	v_cvt_f32_i32_e32 v126, v155
	v_mov_b32_e32 v155, 0
	v_pk_fma_f32 v[68:69], v[6:7], v[126:127], v[68:69]
	v_mov_b32_e32 v126, 0
	v_dot4c_i32_i8_e32 v126, v96, v2
	v_dot4c_i32_i8_e32 v126, v97, v3
	;; [unrolled: 1-line block ×8, first 2 shown]
	v_pk_mul_f32 v[6:7], v[90:91], v[0:1] op_sel_hi:[0,1]
	v_pk_mul_f32 v[0:1], v[86:87], v[0:1] op_sel_hi:[0,1]
	s_nop 0
	v_cvt_f32_i32_e32 v127, v126
	v_cvt_f32_i32_e32 v126, v160
	v_mov_b32_e32 v160, 0
	v_pk_fma_f32 v[76:77], v[6:7], v[126:127], v[76:77]
	v_mov_b32_e32 v6, 0
	v_dot4c_i32_i8_e32 v6, v100, v2
	v_dot4c_i32_i8_e32 v6, v101, v3
	;; [unrolled: 1-line block ×8, first 2 shown]
	v_cvt_f32_i32_e32 v2, v161
	v_mov_b32_e32 v126, 0
	v_mov_b32_e32 v161, 0
	v_cvt_f32_i32_e32 v3, v6
	v_mov_b32_e32 v127, 0
	v_pk_fma_f32 v[82:83], v[0:1], v[2:3], v[82:83]
	ds_read2_b32 v[0:1], v149 offset0:128 offset1:160
	ds_read_b128 v[2:5], v148 offset:4096
	ds_read_b128 v[156:159], v148 offset:4112
	s_waitcnt lgkmcnt(2)
	v_pk_mul_f32 v[6:7], v[92:93], v[0:1] op_sel_hi:[0,1]
	s_waitcnt lgkmcnt(1)
	v_dot4c_i32_i8_e32 v126, v118, v2
	v_dot4c_i32_i8_e32 v155, v94, v2
	;; [unrolled: 1-line block ×16, first 2 shown]
	s_waitcnt lgkmcnt(0)
	v_dot4c_i32_i8_e32 v126, v122, v156
	v_dot4c_i32_i8_e32 v155, v104, v156
	;; [unrolled: 1-line block ×16, first 2 shown]
	ds_read_b128 v[2:5], v148 offset:5120
	ds_read_b128 v[156:159], v148 offset:5136
	v_cvt_f32_i32_e32 v126, v126
	s_waitcnt lgkmcnt(1)
	v_dot4c_i32_i8_e32 v127, v118, v2
	v_dot4c_i32_i8_e32 v127, v119, v3
	;; [unrolled: 1-line block ×4, first 2 shown]
	s_waitcnt lgkmcnt(0)
	v_dot4c_i32_i8_e32 v127, v122, v156
	v_dot4c_i32_i8_e32 v127, v123, v157
	;; [unrolled: 1-line block ×4, first 2 shown]
	s_nop 2
	v_cvt_f32_i32_e32 v127, v127
	v_pk_fma_f32 v[56:57], v[6:7], v[126:127], v[56:57]
	v_mov_b32_e32 v126, 0
	v_dot4c_i32_i8_e32 v126, v94, v2
	v_dot4c_i32_i8_e32 v126, v95, v3
	;; [unrolled: 1-line block ×8, first 2 shown]
	v_pk_mul_f32 v[6:7], v[88:89], v[0:1] op_sel_hi:[0,1]
	s_nop 1
	v_cvt_f32_i32_e32 v127, v126
	v_cvt_f32_i32_e32 v126, v155
	v_mov_b32_e32 v155, 0
	v_pk_fma_f32 v[62:63], v[6:7], v[126:127], v[62:63]
	v_mov_b32_e32 v126, 0
	v_dot4c_i32_i8_e32 v126, v96, v2
	v_dot4c_i32_i8_e32 v126, v97, v3
	;; [unrolled: 1-line block ×8, first 2 shown]
	v_pk_mul_f32 v[6:7], v[90:91], v[0:1] op_sel_hi:[0,1]
	v_pk_mul_f32 v[0:1], v[86:87], v[0:1] op_sel_hi:[0,1]
	s_nop 0
	v_cvt_f32_i32_e32 v127, v126
	v_cvt_f32_i32_e32 v126, v160
	v_pk_fma_f32 v[70:71], v[6:7], v[126:127], v[70:71]
	v_mov_b32_e32 v6, 0
	v_dot4c_i32_i8_e32 v6, v100, v2
	v_dot4c_i32_i8_e32 v6, v101, v3
	;; [unrolled: 1-line block ×8, first 2 shown]
	v_cvt_f32_i32_e32 v2, v161
	v_mov_b32_e32 v156, 0
	v_mov_b32_e32 v157, 0
	v_cvt_f32_i32_e32 v3, v6
	v_mov_b32_e32 v158, 0
	v_mov_b32_e32 v159, 0
	v_pk_fma_f32 v[78:79], v[0:1], v[2:3], v[78:79]
	ds_read2_b32 v[126:127], v149 offset0:192 offset1:224
	ds_read_b128 v[0:3], v148 offset:6144
	ds_read_b128 v[4:7], v148 offset:6160
	v_add_u32_e32 v149, 4, v149
	s_waitcnt lgkmcnt(1)
	v_dot4c_i32_i8_e32 v156, v118, v0
	v_dot4c_i32_i8_e32 v157, v94, v0
	;; [unrolled: 1-line block ×16, first 2 shown]
	s_waitcnt lgkmcnt(0)
	v_dot4c_i32_i8_e32 v156, v122, v4
	v_dot4c_i32_i8_e32 v157, v104, v4
	;; [unrolled: 1-line block ×16, first 2 shown]
	ds_read_b128 v[4:7], v148 offset:7168
	ds_read_b128 v[0:3], v148 offset:7184
	v_add_u32_e32 v148, 32, v148
	s_waitcnt lgkmcnt(1)
	v_dot4c_i32_i8_e32 v159, v118, v4
	v_dot4c_i32_i8_e32 v159, v119, v5
	v_pk_mul_f32 v[118:119], v[92:93], v[126:127] op_sel_hi:[0,1]
	v_mov_b32_e32 v92, 0
	v_dot4c_i32_i8_e32 v92, v94, v4
	v_dot4c_i32_i8_e32 v92, v95, v5
	v_pk_mul_f32 v[94:95], v[88:89], v[126:127] op_sel_hi:[0,1]
	v_mov_b32_e32 v88, 0
	v_dot4c_i32_i8_e32 v88, v96, v4
	v_dot4c_i32_i8_e32 v88, v97, v5
	;; [unrolled: 1-line block ×4, first 2 shown]
	s_waitcnt lgkmcnt(0)
	v_dot4c_i32_i8_e32 v88, v108, v0
	v_dot4c_i32_i8_e32 v88, v109, v1
	;; [unrolled: 1-line block ×7, first 2 shown]
	v_cvt_f32_i32_e32 v97, v88
	v_mov_b32_e32 v88, 0
	v_dot4c_i32_i8_e32 v88, v100, v4
	v_dot4c_i32_i8_e32 v88, v101, v5
	;; [unrolled: 1-line block ×16, first 2 shown]
	v_cvt_f32_i32_e32 v98, v157
	v_cvt_f32_i32_e32 v99, v92
	v_dot4c_i32_i8_e32 v88, v117, v3
	v_cvt_f32_i32_e32 v121, v159
	v_cvt_f32_i32_e32 v120, v156
	;; [unrolled: 1-line block ×5, first 2 shown]
	v_pk_fma_f32 v[58:59], v[94:95], v[98:99], v[58:59]
	v_pk_mul_f32 v[94:95], v[90:91], v[126:127] op_sel_hi:[0,1]
	v_pk_mul_f32 v[0:1], v[86:87], v[126:127] op_sel_hi:[0,1]
	v_pk_fma_f32 v[54:55], v[118:119], v[120:121], v[54:55]
	v_pk_fma_f32 v[64:65], v[94:95], v[96:97], v[64:65]
	;; [unrolled: 1-line block ×3, first 2 shown]
	s_cbranch_scc1 .LBB145_7
; %bb.8:                                ;   in Loop: Header=BB145_6 Depth=1
	s_add_i32 s9, s9, 4
	s_cmp_ge_i32 s9, s5
	s_barrier
	s_cbranch_scc0 .LBB145_6
; %bb.9:
	v_cvt_pk_f16_f32 v23, v52, v53
	v_cvt_pk_f16_f32 v22, v74, v75
	v_cvt_pk_f16_f32 v21, v80, v81
	v_cvt_pk_f16_f32 v20, v84, v85
	v_cvt_pk_f16_f32 v19, v60, v61
	v_cvt_pk_f16_f32 v18, v68, v69
	v_cvt_pk_f16_f32 v17, v76, v77
	v_cvt_pk_f16_f32 v16, v82, v83
	v_cvt_pk_f16_f32 v14, v56, v57
	v_cvt_pk_f16_f32 v12, v62, v63
	v_cvt_pk_f16_f32 v11, v70, v71
	v_cvt_pk_f16_f32 v10, v78, v79
	v_cvt_pk_f16_f32 v3, v54, v55
	v_cvt_pk_f16_f32 v2, v58, v59
	v_cvt_pk_f16_f32 v1, v64, v65
	v_cvt_pk_f16_f32 v0, v72, v73
	v_mov_b32_e32 v4, v13
	v_cmp_gt_u32_e32 vcc, s8, v15
	s_and_saveexec_b64 s[0:1], vcc
	s_cbranch_execz .LBB145_3
.LBB145_10:
	v_add_u32_e32 v5, s4, v9
	v_mul_lo_u32 v9, v15, s10
	v_cmp_gt_u32_e32 vcc, s10, v5
	s_and_saveexec_b64 s[0:1], vcc
	s_cbranch_execz .LBB145_12
; %bb.11:
	v_add_u32_e32 v6, v5, v9
	v_mov_b32_e32 v7, 0
	s_waitcnt lgkmcnt(0)
	v_lshl_add_u64 v[6:7], v[6:7], 1, s[12:13]
	global_store_short v[6:7], v23, off
.LBB145_12:
	s_or_b64 exec, exec, s[0:1]
	v_add_u32_e32 v6, 32, v5
	v_cmp_gt_u32_e64 s[0:1], s10, v6
	s_and_saveexec_b64 s[2:3], s[0:1]
	s_cbranch_execz .LBB145_14
; %bb.13:
	v_add_u32_e32 v24, v6, v9
	v_mov_b32_e32 v25, 0
	s_waitcnt lgkmcnt(0)
	v_lshl_add_u64 v[24:25], v[24:25], 1, s[12:13]
	global_store_short v[24:25], v22, off
.LBB145_14:
	s_or_b64 exec, exec, s[2:3]
	v_add_u32_e32 v7, 64, v5
	v_cmp_gt_u32_e64 s[2:3], s10, v7
	s_and_saveexec_b64 s[4:5], s[2:3]
	;; [unrolled: 12-line block ×3, first 2 shown]
	s_cbranch_execz .LBB145_18
; %bb.17:
	v_add_u32_e32 v24, v8, v9
	v_mov_b32_e32 v25, 0
	s_waitcnt lgkmcnt(0)
	v_lshl_add_u64 v[24:25], v[24:25], 1, s[12:13]
	global_store_short v[24:25], v20, off
.LBB145_18:
	s_or_b64 exec, exec, s[6:7]
	v_add3_u32 v9, v4, s11, 8
	v_cmp_gt_u32_e64 s[6:7], s8, v9
	s_and_b64 exec, exec, s[6:7]
	s_cbranch_execz .LBB145_3
; %bb.19:
	v_mul_lo_u32 v9, v9, s10
	s_and_saveexec_b64 s[6:7], vcc
	s_cbranch_execnz .LBB145_59
; %bb.20:
	s_or_b64 exec, exec, s[6:7]
	s_and_saveexec_b64 s[6:7], s[0:1]
	s_cbranch_execnz .LBB145_60
.LBB145_21:
	s_or_b64 exec, exec, s[6:7]
	s_and_saveexec_b64 s[6:7], s[2:3]
	s_cbranch_execnz .LBB145_61
.LBB145_22:
	s_or_b64 exec, exec, s[6:7]
	s_and_saveexec_b64 s[6:7], s[4:5]
	s_cbranch_execz .LBB145_24
.LBB145_23:
	v_add_u32_e32 v22, v9, v8
	v_mov_b32_e32 v23, 0
	s_waitcnt lgkmcnt(0)
	v_lshl_add_u64 v[22:23], v[22:23], 1, s[12:13]
	global_store_short_d16_hi v[22:23], v20, off
.LBB145_24:
	s_or_b64 exec, exec, s[6:7]
	v_add3_u32 v9, v4, s11, 16
	v_cmp_gt_u32_e64 s[6:7], s8, v9
	s_and_b64 exec, exec, s[6:7]
	s_cbranch_execz .LBB145_3
; %bb.25:
	v_mul_lo_u32 v9, v9, s10
	s_and_saveexec_b64 s[6:7], vcc
	s_cbranch_execnz .LBB145_62
; %bb.26:
	s_or_b64 exec, exec, s[6:7]
	s_and_saveexec_b64 s[6:7], s[0:1]
	s_cbranch_execnz .LBB145_63
.LBB145_27:
	s_or_b64 exec, exec, s[6:7]
	s_and_saveexec_b64 s[6:7], s[2:3]
	s_cbranch_execnz .LBB145_64
.LBB145_28:
	s_or_b64 exec, exec, s[6:7]
	s_and_saveexec_b64 s[6:7], s[4:5]
	s_cbranch_execz .LBB145_30
.LBB145_29:
	v_add_u32_e32 v20, v9, v8
	v_mov_b32_e32 v21, 0
	s_waitcnt lgkmcnt(0)
	v_lshl_add_u64 v[20:21], v[20:21], 1, s[12:13]
	global_store_short v[20:21], v16, off
.LBB145_30:
	s_or_b64 exec, exec, s[6:7]
	v_add3_u32 v9, v4, s11, 24
	v_cmp_gt_u32_e64 s[6:7], s8, v9
	s_and_b64 exec, exec, s[6:7]
	s_cbranch_execz .LBB145_3
; %bb.31:
	v_mul_lo_u32 v9, v9, s10
	s_and_saveexec_b64 s[6:7], vcc
	s_cbranch_execnz .LBB145_65
; %bb.32:
	s_or_b64 exec, exec, s[6:7]
	s_and_saveexec_b64 s[6:7], s[0:1]
	s_cbranch_execnz .LBB145_66
.LBB145_33:
	s_or_b64 exec, exec, s[6:7]
	s_and_saveexec_b64 s[6:7], s[2:3]
	s_cbranch_execnz .LBB145_67
.LBB145_34:
	s_or_b64 exec, exec, s[6:7]
	s_and_saveexec_b64 s[6:7], s[4:5]
	s_cbranch_execz .LBB145_36
.LBB145_35:
	v_add_u32_e32 v18, v9, v8
	v_mov_b32_e32 v19, 0
	s_waitcnt lgkmcnt(0)
	v_lshl_add_u64 v[18:19], v[18:19], 1, s[12:13]
	global_store_short_d16_hi v[18:19], v16, off
.LBB145_36:
	s_or_b64 exec, exec, s[6:7]
	v_add3_u32 v9, v4, s11, 32
	v_cmp_gt_u32_e64 s[6:7], s8, v9
	s_and_b64 exec, exec, s[6:7]
	s_cbranch_execz .LBB145_3
; %bb.37:
	v_mul_lo_u32 v9, v9, s10
	s_and_saveexec_b64 s[6:7], vcc
	s_cbranch_execnz .LBB145_68
; %bb.38:
	s_or_b64 exec, exec, s[6:7]
	s_and_saveexec_b64 s[6:7], s[0:1]
	s_cbranch_execnz .LBB145_69
.LBB145_39:
	s_or_b64 exec, exec, s[6:7]
	s_and_saveexec_b64 s[6:7], s[2:3]
	s_cbranch_execnz .LBB145_70
.LBB145_40:
	s_or_b64 exec, exec, s[6:7]
	s_and_saveexec_b64 s[6:7], s[4:5]
	s_cbranch_execz .LBB145_42
.LBB145_41:
	v_add_u32_e32 v16, v9, v8
	v_mov_b32_e32 v17, 0
	s_waitcnt lgkmcnt(0)
	v_lshl_add_u64 v[16:17], v[16:17], 1, s[12:13]
	global_store_short v[16:17], v10, off
.LBB145_42:
	s_or_b64 exec, exec, s[6:7]
	v_add3_u32 v9, v4, s11, 40
	v_cmp_gt_u32_e64 s[6:7], s8, v9
	s_and_b64 exec, exec, s[6:7]
	s_cbranch_execz .LBB145_3
; %bb.43:
	v_mul_lo_u32 v9, v9, s10
	s_and_saveexec_b64 s[6:7], vcc
	s_cbranch_execnz .LBB145_71
; %bb.44:
	s_or_b64 exec, exec, s[6:7]
	s_and_saveexec_b64 s[6:7], s[0:1]
	s_cbranch_execnz .LBB145_72
.LBB145_45:
	s_or_b64 exec, exec, s[6:7]
	s_and_saveexec_b64 s[6:7], s[2:3]
	s_cbranch_execnz .LBB145_73
.LBB145_46:
	s_or_b64 exec, exec, s[6:7]
	s_and_saveexec_b64 s[6:7], s[4:5]
	s_cbranch_execz .LBB145_48
.LBB145_47:
	v_add_u32_e32 v12, v9, v8
	v_mov_b32_e32 v13, 0
	s_waitcnt lgkmcnt(0)
	v_lshl_add_u64 v[12:13], v[12:13], 1, s[12:13]
	global_store_short_d16_hi v[12:13], v10, off
.LBB145_48:
	s_or_b64 exec, exec, s[6:7]
	v_add3_u32 v9, v4, s11, 48
	v_cmp_gt_u32_e64 s[6:7], s8, v9
	s_and_b64 exec, exec, s[6:7]
	s_cbranch_execz .LBB145_3
; %bb.49:
	v_mul_lo_u32 v9, v9, s10
	s_and_saveexec_b64 s[6:7], vcc
	s_cbranch_execnz .LBB145_74
; %bb.50:
	s_or_b64 exec, exec, s[6:7]
	s_and_saveexec_b64 s[6:7], s[0:1]
	s_cbranch_execnz .LBB145_75
.LBB145_51:
	s_or_b64 exec, exec, s[6:7]
	s_and_saveexec_b64 s[6:7], s[2:3]
	s_cbranch_execnz .LBB145_76
.LBB145_52:
	s_or_b64 exec, exec, s[6:7]
	s_and_saveexec_b64 s[6:7], s[4:5]
	s_cbranch_execz .LBB145_54
.LBB145_53:
	v_add_u32_e32 v10, v9, v8
	v_mov_b32_e32 v11, 0
	s_waitcnt lgkmcnt(0)
	v_lshl_add_u64 v[10:11], v[10:11], 1, s[12:13]
	global_store_short v[10:11], v0, off
.LBB145_54:
	s_or_b64 exec, exec, s[6:7]
	v_add3_u32 v4, v4, s11, 56
	v_cmp_gt_u32_e64 s[6:7], s8, v4
	s_and_b64 exec, exec, s[6:7]
	s_cbranch_execz .LBB145_3
; %bb.55:
	v_mul_lo_u32 v4, v4, s10
	s_and_saveexec_b64 s[6:7], vcc
	s_cbranch_execnz .LBB145_77
; %bb.56:
	s_or_b64 exec, exec, s[6:7]
	s_and_saveexec_b64 s[6:7], s[0:1]
	s_cbranch_execnz .LBB145_78
.LBB145_57:
	s_or_b64 exec, exec, s[6:7]
	s_and_saveexec_b64 s[0:1], s[2:3]
	s_cbranch_execnz .LBB145_79
.LBB145_58:
	s_or_b64 exec, exec, s[0:1]
	s_and_b64 exec, exec, s[4:5]
	s_cbranch_execz .LBB145_3
	s_branch .LBB145_80
.LBB145_59:
	v_add_u32_e32 v24, v9, v5
	v_mov_b32_e32 v25, 0
	s_waitcnt lgkmcnt(0)
	v_lshl_add_u64 v[24:25], v[24:25], 1, s[12:13]
	global_store_short_d16_hi v[24:25], v23, off
	s_or_b64 exec, exec, s[6:7]
	s_and_saveexec_b64 s[6:7], s[0:1]
	s_cbranch_execz .LBB145_21
.LBB145_60:
	v_add_u32_e32 v24, v9, v6
	v_mov_b32_e32 v25, 0
	s_waitcnt lgkmcnt(0)
	v_lshl_add_u64 v[24:25], v[24:25], 1, s[12:13]
	global_store_short_d16_hi v[24:25], v22, off
	s_or_b64 exec, exec, s[6:7]
	s_and_saveexec_b64 s[6:7], s[2:3]
	s_cbranch_execz .LBB145_22
.LBB145_61:
	v_add_u32_e32 v22, v9, v7
	v_mov_b32_e32 v23, 0
	s_waitcnt lgkmcnt(0)
	v_lshl_add_u64 v[22:23], v[22:23], 1, s[12:13]
	global_store_short_d16_hi v[22:23], v21, off
	s_or_b64 exec, exec, s[6:7]
	s_and_saveexec_b64 s[6:7], s[4:5]
	s_cbranch_execnz .LBB145_23
	s_branch .LBB145_24
.LBB145_62:
	v_add_u32_e32 v20, v9, v5
	v_mov_b32_e32 v21, 0
	s_waitcnt lgkmcnt(0)
	v_lshl_add_u64 v[20:21], v[20:21], 1, s[12:13]
	global_store_short v[20:21], v19, off
	s_or_b64 exec, exec, s[6:7]
	s_and_saveexec_b64 s[6:7], s[0:1]
	s_cbranch_execz .LBB145_27
.LBB145_63:
	v_add_u32_e32 v20, v9, v6
	v_mov_b32_e32 v21, 0
	s_waitcnt lgkmcnt(0)
	v_lshl_add_u64 v[20:21], v[20:21], 1, s[12:13]
	global_store_short v[20:21], v18, off
	s_or_b64 exec, exec, s[6:7]
	s_and_saveexec_b64 s[6:7], s[2:3]
	s_cbranch_execz .LBB145_28
.LBB145_64:
	v_add_u32_e32 v20, v9, v7
	v_mov_b32_e32 v21, 0
	s_waitcnt lgkmcnt(0)
	v_lshl_add_u64 v[20:21], v[20:21], 1, s[12:13]
	global_store_short v[20:21], v17, off
	s_or_b64 exec, exec, s[6:7]
	s_and_saveexec_b64 s[6:7], s[4:5]
	s_cbranch_execnz .LBB145_29
	s_branch .LBB145_30
.LBB145_65:
	v_add_u32_e32 v20, v9, v5
	v_mov_b32_e32 v21, 0
	s_waitcnt lgkmcnt(0)
	v_lshl_add_u64 v[20:21], v[20:21], 1, s[12:13]
	global_store_short_d16_hi v[20:21], v19, off
	s_or_b64 exec, exec, s[6:7]
	s_and_saveexec_b64 s[6:7], s[0:1]
	s_cbranch_execz .LBB145_33
.LBB145_66:
	v_add_u32_e32 v20, v9, v6
	v_mov_b32_e32 v21, 0
	s_waitcnt lgkmcnt(0)
	v_lshl_add_u64 v[20:21], v[20:21], 1, s[12:13]
	global_store_short_d16_hi v[20:21], v18, off
	s_or_b64 exec, exec, s[6:7]
	s_and_saveexec_b64 s[6:7], s[2:3]
	s_cbranch_execz .LBB145_34
.LBB145_67:
	v_add_u32_e32 v18, v9, v7
	v_mov_b32_e32 v19, 0
	s_waitcnt lgkmcnt(0)
	v_lshl_add_u64 v[18:19], v[18:19], 1, s[12:13]
	global_store_short_d16_hi v[18:19], v17, off
	s_or_b64 exec, exec, s[6:7]
	s_and_saveexec_b64 s[6:7], s[4:5]
	s_cbranch_execnz .LBB145_35
	s_branch .LBB145_36
.LBB145_68:
	v_add_u32_e32 v16, v9, v5
	v_mov_b32_e32 v17, 0
	s_waitcnt lgkmcnt(0)
	v_lshl_add_u64 v[16:17], v[16:17], 1, s[12:13]
	global_store_short v[16:17], v14, off
	s_or_b64 exec, exec, s[6:7]
	s_and_saveexec_b64 s[6:7], s[0:1]
	s_cbranch_execz .LBB145_39
.LBB145_69:
	v_add_u32_e32 v16, v9, v6
	v_mov_b32_e32 v17, 0
	s_waitcnt lgkmcnt(0)
	v_lshl_add_u64 v[16:17], v[16:17], 1, s[12:13]
	global_store_short v[16:17], v12, off
	s_or_b64 exec, exec, s[6:7]
	s_and_saveexec_b64 s[6:7], s[2:3]
	s_cbranch_execz .LBB145_40
.LBB145_70:
	v_add_u32_e32 v16, v9, v7
	v_mov_b32_e32 v17, 0
	s_waitcnt lgkmcnt(0)
	v_lshl_add_u64 v[16:17], v[16:17], 1, s[12:13]
	global_store_short v[16:17], v11, off
	s_or_b64 exec, exec, s[6:7]
	s_and_saveexec_b64 s[6:7], s[4:5]
	s_cbranch_execnz .LBB145_41
	s_branch .LBB145_42
.LBB145_71:
	v_add_u32_e32 v16, v9, v5
	v_mov_b32_e32 v17, 0
	s_waitcnt lgkmcnt(0)
	v_lshl_add_u64 v[16:17], v[16:17], 1, s[12:13]
	global_store_short_d16_hi v[16:17], v14, off
	s_or_b64 exec, exec, s[6:7]
	s_and_saveexec_b64 s[6:7], s[0:1]
	s_cbranch_execz .LBB145_45
.LBB145_72:
	v_add_u32_e32 v14, v9, v6
	v_mov_b32_e32 v15, 0
	s_waitcnt lgkmcnt(0)
	v_lshl_add_u64 v[14:15], v[14:15], 1, s[12:13]
	global_store_short_d16_hi v[14:15], v12, off
	s_or_b64 exec, exec, s[6:7]
	s_and_saveexec_b64 s[6:7], s[2:3]
	s_cbranch_execz .LBB145_46
.LBB145_73:
	v_add_u32_e32 v12, v9, v7
	v_mov_b32_e32 v13, 0
	s_waitcnt lgkmcnt(0)
	v_lshl_add_u64 v[12:13], v[12:13], 1, s[12:13]
	global_store_short_d16_hi v[12:13], v11, off
	s_or_b64 exec, exec, s[6:7]
	s_and_saveexec_b64 s[6:7], s[4:5]
	s_cbranch_execnz .LBB145_47
	s_branch .LBB145_48
.LBB145_74:
	v_add_u32_e32 v10, v9, v5
	v_mov_b32_e32 v11, 0
	s_waitcnt lgkmcnt(0)
	v_lshl_add_u64 v[10:11], v[10:11], 1, s[12:13]
	global_store_short v[10:11], v3, off
	s_or_b64 exec, exec, s[6:7]
	s_and_saveexec_b64 s[6:7], s[0:1]
	s_cbranch_execz .LBB145_51
.LBB145_75:
	v_add_u32_e32 v10, v9, v6
	v_mov_b32_e32 v11, 0
	s_waitcnt lgkmcnt(0)
	v_lshl_add_u64 v[10:11], v[10:11], 1, s[12:13]
	global_store_short v[10:11], v2, off
	s_or_b64 exec, exec, s[6:7]
	s_and_saveexec_b64 s[6:7], s[2:3]
	s_cbranch_execz .LBB145_52
.LBB145_76:
	v_add_u32_e32 v10, v9, v7
	v_mov_b32_e32 v11, 0
	s_waitcnt lgkmcnt(0)
	v_lshl_add_u64 v[10:11], v[10:11], 1, s[12:13]
	global_store_short v[10:11], v1, off
	s_or_b64 exec, exec, s[6:7]
	s_and_saveexec_b64 s[6:7], s[4:5]
	s_cbranch_execnz .LBB145_53
	s_branch .LBB145_54
.LBB145_77:
	v_add_u32_e32 v10, v4, v5
	v_mov_b32_e32 v11, 0
	s_waitcnt lgkmcnt(0)
	v_lshl_add_u64 v[10:11], v[10:11], 1, s[12:13]
	global_store_short_d16_hi v[10:11], v3, off
	s_or_b64 exec, exec, s[6:7]
	s_and_saveexec_b64 s[6:7], s[0:1]
	s_cbranch_execz .LBB145_57
.LBB145_78:
	v_add_u32_e32 v10, v4, v6
	v_mov_b32_e32 v11, 0
	s_waitcnt lgkmcnt(0)
	v_lshl_add_u64 v[10:11], v[10:11], 1, s[12:13]
	global_store_short_d16_hi v[10:11], v2, off
	s_or_b64 exec, exec, s[6:7]
	s_and_saveexec_b64 s[0:1], s[2:3]
	s_cbranch_execz .LBB145_58
.LBB145_79:
	v_add_u32_e32 v2, v4, v7
	v_mov_b32_e32 v3, 0
	s_waitcnt lgkmcnt(0)
	v_lshl_add_u64 v[2:3], v[2:3], 1, s[12:13]
	global_store_short_d16_hi v[2:3], v1, off
	s_or_b64 exec, exec, s[0:1]
	s_and_b64 exec, exec, s[4:5]
	s_cbranch_execz .LBB145_3
.LBB145_80:
	v_add_u32_e32 v2, v4, v8
	v_mov_b32_e32 v3, 0
	s_waitcnt lgkmcnt(0)
	v_lshl_add_u64 v[2:3], v[2:3], 1, s[12:13]
	global_store_short_d16_hi v[2:3], v0, off
	s_endpgm
	.section	.rodata,"a",@progbits
	.p2align	6, 0x0
	.amdhsa_kernel _ZL12mul_mat_q8_0IN3c104HalfELb0EEvPKvS3_PT_iiiii
		.amdhsa_group_segment_fixed_size 28224
		.amdhsa_private_segment_fixed_size 0
		.amdhsa_kernarg_size 44
		.amdhsa_user_sgpr_count 2
		.amdhsa_user_sgpr_dispatch_ptr 0
		.amdhsa_user_sgpr_queue_ptr 0
		.amdhsa_user_sgpr_kernarg_segment_ptr 1
		.amdhsa_user_sgpr_dispatch_id 0
		.amdhsa_user_sgpr_kernarg_preload_length 0
		.amdhsa_user_sgpr_kernarg_preload_offset 0
		.amdhsa_user_sgpr_private_segment_size 0
		.amdhsa_uses_dynamic_stack 0
		.amdhsa_enable_private_segment 0
		.amdhsa_system_sgpr_workgroup_id_x 1
		.amdhsa_system_sgpr_workgroup_id_y 1
		.amdhsa_system_sgpr_workgroup_id_z 0
		.amdhsa_system_sgpr_workgroup_info 0
		.amdhsa_system_vgpr_workitem_id 1
		.amdhsa_next_free_vgpr 162
		.amdhsa_next_free_sgpr 96
		.amdhsa_accum_offset 164
		.amdhsa_reserve_vcc 1
		.amdhsa_float_round_mode_32 0
		.amdhsa_float_round_mode_16_64 0
		.amdhsa_float_denorm_mode_32 3
		.amdhsa_float_denorm_mode_16_64 3
		.amdhsa_dx10_clamp 1
		.amdhsa_ieee_mode 1
		.amdhsa_fp16_overflow 0
		.amdhsa_tg_split 0
		.amdhsa_exception_fp_ieee_invalid_op 0
		.amdhsa_exception_fp_denorm_src 0
		.amdhsa_exception_fp_ieee_div_zero 0
		.amdhsa_exception_fp_ieee_overflow 0
		.amdhsa_exception_fp_ieee_underflow 0
		.amdhsa_exception_fp_ieee_inexact 0
		.amdhsa_exception_int_div_zero 0
	.end_amdhsa_kernel
	.section	.text._ZL12mul_mat_q8_0IN3c104HalfELb0EEvPKvS3_PT_iiiii,"axG",@progbits,_ZL12mul_mat_q8_0IN3c104HalfELb0EEvPKvS3_PT_iiiii,comdat
.Lfunc_end145:
	.size	_ZL12mul_mat_q8_0IN3c104HalfELb0EEvPKvS3_PT_iiiii, .Lfunc_end145-_ZL12mul_mat_q8_0IN3c104HalfELb0EEvPKvS3_PT_iiiii
                                        ; -- End function
	.set _ZL12mul_mat_q8_0IN3c104HalfELb0EEvPKvS3_PT_iiiii.num_vgpr, 162
	.set _ZL12mul_mat_q8_0IN3c104HalfELb0EEvPKvS3_PT_iiiii.num_agpr, 0
	.set _ZL12mul_mat_q8_0IN3c104HalfELb0EEvPKvS3_PT_iiiii.numbered_sgpr, 16
	.set _ZL12mul_mat_q8_0IN3c104HalfELb0EEvPKvS3_PT_iiiii.num_named_barrier, 0
	.set _ZL12mul_mat_q8_0IN3c104HalfELb0EEvPKvS3_PT_iiiii.private_seg_size, 0
	.set _ZL12mul_mat_q8_0IN3c104HalfELb0EEvPKvS3_PT_iiiii.uses_vcc, 1
	.set _ZL12mul_mat_q8_0IN3c104HalfELb0EEvPKvS3_PT_iiiii.uses_flat_scratch, 0
	.set _ZL12mul_mat_q8_0IN3c104HalfELb0EEvPKvS3_PT_iiiii.has_dyn_sized_stack, 0
	.set _ZL12mul_mat_q8_0IN3c104HalfELb0EEvPKvS3_PT_iiiii.has_recursion, 0
	.set _ZL12mul_mat_q8_0IN3c104HalfELb0EEvPKvS3_PT_iiiii.has_indirect_call, 0
	.section	.AMDGPU.csdata,"",@progbits
; Kernel info:
; codeLenInByte = 6296
; TotalNumSgprs: 22
; NumVgprs: 162
; NumAgprs: 0
; TotalNumVgprs: 162
; ScratchSize: 0
; MemoryBound: 0
; FloatMode: 240
; IeeeMode: 1
; LDSByteSize: 28224 bytes/workgroup (compile time only)
; SGPRBlocks: 12
; VGPRBlocks: 20
; NumSGPRsForWavesPerEU: 102
; NumVGPRsForWavesPerEU: 162
; AccumOffset: 164
; Occupancy: 3
; WaveLimiterHint : 0
; COMPUTE_PGM_RSRC2:SCRATCH_EN: 0
; COMPUTE_PGM_RSRC2:USER_SGPR: 2
; COMPUTE_PGM_RSRC2:TRAP_HANDLER: 0
; COMPUTE_PGM_RSRC2:TGID_X_EN: 1
; COMPUTE_PGM_RSRC2:TGID_Y_EN: 1
; COMPUTE_PGM_RSRC2:TGID_Z_EN: 0
; COMPUTE_PGM_RSRC2:TIDIG_COMP_CNT: 1
; COMPUTE_PGM_RSRC3_GFX90A:ACCUM_OFFSET: 40
; COMPUTE_PGM_RSRC3_GFX90A:TG_SPLIT: 0
	.section	.text._ZL12mul_mat_q8_0IN3c104HalfELb1EEvPKvS3_PT_iiiii,"axG",@progbits,_ZL12mul_mat_q8_0IN3c104HalfELb1EEvPKvS3_PT_iiiii,comdat
	.globl	_ZL12mul_mat_q8_0IN3c104HalfELb1EEvPKvS3_PT_iiiii ; -- Begin function _ZL12mul_mat_q8_0IN3c104HalfELb1EEvPKvS3_PT_iiiii
	.p2align	8
	.type	_ZL12mul_mat_q8_0IN3c104HalfELb1EEvPKvS3_PT_iiiii,@function
_ZL12mul_mat_q8_0IN3c104HalfELb1EEvPKvS3_PT_iiiii: ; @_ZL12mul_mat_q8_0IN3c104HalfELb1EEvPKvS3_PT_iiiii
; %bb.0:
	s_load_dwordx4 s[8:11], s[0:1], 0x18
	s_load_dword s14, s[0:1], 0x28
	s_lshl_b32 s15, s3, 6
	v_bfe_u32 v13, v0, 10, 10
	s_waitcnt lgkmcnt(0)
	s_cmp_gt_i32 s8, 31
	s_cbranch_scc1 .LBB146_4
; %bb.1:
	v_bfe_u32 v4, v0, 10, 10
	v_and_b32_e32 v9, 0x3ff, v0
	v_add_u32_e32 v15, s15, v4
	s_load_dwordx2 s[12:13], s[0:1], 0x10
	s_lshl_b32 s4, s2, 7
	s_cbranch_execz .LBB146_5
; %bb.2:
	v_mov_b32_e32 v0, 0
	v_mov_b32_e32 v10, 0
	;; [unrolled: 1-line block ×16, first 2 shown]
	v_cmp_gt_u32_e32 vcc, s10, v15
	s_and_saveexec_b64 s[0:1], vcc
	s_cbranch_execnz .LBB146_10
.LBB146_3:
	s_endpgm
.LBB146_4:
                                        ; implicit-def: $vgpr4
                                        ; implicit-def: $vgpr9
                                        ; implicit-def: $vgpr15
	s_load_dwordx2 s[12:13], s[0:1], 0x10
	s_lshl_b32 s4, s2, 7
.LBB146_5:
	s_ashr_i32 s5, s8, 31
	s_load_dwordx4 s[0:3], s[0:1], 0x0
	s_lshr_b32 s5, s5, 27
	s_ashr_i32 s6, s11, 31
	s_add_i32 s5, s8, s5
	s_lshr_b32 s6, s6, 27
	s_ashr_i32 s5, s5, 5
	s_add_i32 s6, s11, s6
	s_ashr_i32 s11, s6, 5
	s_mul_i32 s6, s5, s4
	s_mul_hi_i32 s7, s6, 34
	s_mul_i32 s6, s6, 34
	s_waitcnt lgkmcnt(0)
	s_add_u32 s6, s0, s6
	s_addc_u32 s7, s1, s7
	s_not_b32 s0, s4
	s_add_i32 s8, s9, s0
	v_and_b32_e32 v9, 0x3ff, v0
	v_lshlrev_b32_e32 v2, 2, v9
	v_min_i32_e32 v1, s8, v13
	s_movk_i32 s9, 0x84
	v_add_u32_e32 v4, 8, v13
	v_mul_lo_u32 v12, v1, s5
	v_mad_u64_u32 v[14:15], s[0:1], v1, s9, v[2:3]
	v_min_i32_e32 v1, s8, v4
	v_add_u32_e32 v5, 16, v13
	v_mul_lo_u32 v16, v1, s5
	v_mad_u64_u32 v[18:19], s[0:1], v1, s9, v[2:3]
	v_min_i32_e32 v1, s8, v5
	;; [unrolled: 4-line block ×4, first 2 shown]
	v_mul_lo_u32 v28, v1, s5
	v_mad_u64_u32 v[30:31], s[0:1], v1, s9, v[2:3]
	v_add_u32_e32 v1, 64, v13
	v_min_i32_e32 v64, s8, v1
	v_add_u32_e32 v1, 0x48, v13
	v_min_i32_e32 v66, s8, v1
	v_add_u32_e32 v1, 0x50, v13
	v_add_u32_e32 v31, 40, v13
	v_min_i32_e32 v68, s8, v1
	v_add_u32_e32 v1, 0x58, v13
	v_min_i32_e32 v58, s8, v31
	v_min_i32_e32 v69, s8, v1
	v_add_u32_e32 v1, 0x60, v13
	v_mad_u64_u32 v[32:33], s[0:1], v58, s9, v[2:3]
	v_min_i32_e32 v71, s8, v1
	v_add_u32_e32 v1, 0x68, v13
	v_add_u32_e32 v33, 48, v13
	v_min_i32_e32 v72, s8, v1
	v_add_u32_e32 v1, 0x70, v13
	v_min_i32_e32 v60, s8, v33
	v_min_i32_e32 v73, s8, v1
	v_add_u32_e32 v1, 0x78, v13
	v_mad_u64_u32 v[34:35], s[0:1], v60, s9, v[2:3]
	v_min_i32_e32 v75, s8, v1
	v_bfe_u32 v1, v0, 2, 8
	v_add_u32_e32 v35, 56, v13
	v_lshl_add_u32 v1, v13, 3, v1
	v_min_i32_e32 v62, s8, v35
	v_min_i32_e32 v77, s8, v1
	v_and_b32_e32 v10, 28, v2
	v_mad_u64_u32 v[36:37], s[0:1], v62, s9, v[2:3]
	v_mad_u64_u32 v[38:39], s[0:1], v64, s9, v[2:3]
	;; [unrolled: 1-line block ×9, first 2 shown]
	v_ashrrev_i32_e32 v2, 31, v77
	v_lshrrev_b32_e32 v2, 29, v2
	v_add_u32_e32 v2, v77, v2
	v_and_b32_e32 v54, 3, v0
	v_ashrrev_i32_e32 v2, 3, v2
	v_lshlrev_b32_e32 v2, 2, v2
	v_lshlrev_b32_e32 v17, 2, v54
	s_movk_i32 s0, 0x6200
	v_add3_u32 v45, v2, v17, s0
	v_add_u32_e32 v2, 64, v1
	v_min_i32_e32 v79, s8, v2
	v_ashrrev_i32_e32 v2, 31, v79
	v_lshrrev_b32_e32 v2, 29, v2
	v_bfe_u32 v8, v0, 3, 7
	v_add_u32_e32 v2, v79, v2
	v_and_b32_e32 v0, 31, v0
	v_mov_b32_e32 v19, 0x4200
	v_ashrrev_i32_e32 v2, 3, v2
	v_lshl_or_b32 v56, v0, 2, v19
	v_and_b32_e32 v0, 63, v1
	v_lshlrev_b32_e32 v2, 2, v2
	v_add_u32_e32 v15, s15, v13
	s_add_i32 s1, s10, -1
	v_or_b32_e32 v1, s15, v0
	v_lshl_or_b32 v0, v0, 4, v17
	v_add3_u32 v49, v2, v17, s0
	v_cvt_f64_i32_e32 v[2:3], s1
	v_min_i32_e32 v80, s1, v1
	v_add_u32_e32 v17, 0x6a40, v0
	v_cvt_f64_u32_e32 v[0:1], v15
	v_min_f64 v[0:1], v[0:1], v[2:3]
	v_cvt_i32_f64_e32 v0, v[0:1]
	v_mul_lo_u32 v19, s11, v0
	v_add_u32_e32 v0, 8, v15
	v_cvt_f64_u32_e32 v[0:1], v0
	v_min_f64 v[0:1], v[0:1], v[2:3]
	v_cvt_i32_f64_e32 v0, v[0:1]
	v_mul_lo_u32 v21, s11, v0
	;; [unrolled: 5-line block ×6, first 2 shown]
	v_add_u32_e32 v0, 48, v15
	v_cvt_f64_u32_e32 v[0:1], v0
	v_min_f64 v[0:1], v[0:1], v[2:3]
	v_cvt_i32_f64_e32 v0, v[0:1]
	v_lshlrev_b32_e32 v57, 7, v31
	v_mul_lo_u32 v31, s11, v0
	v_add_u32_e32 v0, 56, v15
	v_cvt_f64_u32_e32 v[0:1], v0
	v_min_f64 v[0:1], v[0:1], v[2:3]
	v_add_u32_e32 v3, 0x60, v9
	v_add_u32_e32 v2, 64, v9
	v_lshrrev_b32_e32 v3, 1, v3
	v_cvt_i32_f64_e32 v0, v[0:1]
	v_add_u32_e32 v1, 32, v9
	v_lshlrev_b32_e32 v41, 4, v9
	v_and_b32_e32 v3, 0xfc, v3
	s_movk_i32 s1, 0x6800
	v_lshrrev_b32_e32 v2, 1, v2
	v_lshlrev_b32_e32 v65, 7, v33
	v_mul_lo_u32 v33, s11, v0
	v_lshlrev_b32_e32 v0, 7, v35
	v_add3_u32 v35, v41, v3, s1
	v_and_b32_e32 v2, 0xfc, v2
	s_movk_i32 s1, 0x6600
	v_lshrrev_b32_e32 v1, 1, v1
	v_add3_u32 v37, v41, v2, s1
	v_and_b32_e32 v1, 0xfc, v1
	s_movk_i32 s1, 0x6400
	v_mov_b32_e32 v11, 0
	v_lshlrev_b32_e32 v47, 4, v77
	v_lshlrev_b32_e32 v51, 4, v79
	;; [unrolled: 1-line block ×7, first 2 shown]
	v_add3_u32 v39, v41, v1, s1
	v_lshlrev_b32_e32 v1, 2, v8
	v_add3_u32 v41, v41, v1, s0
	v_mov_b32_e32 v1, 0x6a40
	v_add_u32_e32 v45, v45, v47
	v_add_u32_e32 v47, 0x4200, v53
	;; [unrolled: 1-line block ×11, first 2 shown]
	v_mov_b32_e32 v56, v11
	v_mov_b32_e32 v57, v11
	v_lshl_add_u32 v43, v13, 4, v1
	s_mov_b32 s8, 0
	v_mul_lo_u32 v58, v58, s5
	v_mul_lo_u32 v60, v60, s5
	;; [unrolled: 1-line block ×13, first 2 shown]
	v_mad_u64_u32 v[96:97], s[0:1], v80, s11, v[54:55]
	v_mul_u32_u24_e32 v69, 0x84, v9
	v_lshl_add_u64 v[98:99], s[2:3], 0, v[10:11]
	v_mov_b64_e32 v[90:91], v[56:57]
	v_mov_b64_e32 v[80:81], v[56:57]
	;; [unrolled: 1-line block ×15, first 2 shown]
.LBB146_6:                              ; =>This Loop Header: Depth=1
                                        ;     Child Loop BB146_7 Depth 2
	s_mul_i32 s0, s8, 34
	s_mul_hi_u32 s1, s8, 34
	s_add_u32 s0, s6, s0
	s_addc_u32 s1, s7, s1
	v_mad_u64_u32 v[0:1], s[16:17], v8, 34, s[0:1]
	v_mad_i64_i32 v[2:3], s[16:17], v12, 34, v[0:1]
	v_mad_i64_i32 v[4:5], s[16:17], v16, 34, v[0:1]
	;; [unrolled: 1-line block ×7, first 2 shown]
	v_lshl_add_u64 v[2:3], v[2:3], 0, v[10:11]
	v_lshl_add_u64 v[4:5], v[4:5], 0, v[10:11]
	;; [unrolled: 1-line block ×7, first 2 shown]
	v_mad_i64_i32 v[126:127], s[16:17], v62, 34, v[0:1]
	v_lshl_add_u64 v[126:127], v[126:127], 0, v[10:11]
	global_load_dword v71, v[2:3], off offset:2
	global_load_dword v75, v[4:5], off offset:2
	global_load_dword v77, v[6:7], off offset:2
	global_load_dword v79, v[118:119], off offset:2
	global_load_dword v85, v[120:121], off offset:2
	global_load_dword v87, v[122:123], off offset:2
	global_load_dword v89, v[124:125], off offset:2
	global_load_dword v97, v[126:127], off offset:2
	v_mad_i64_i32 v[2:3], s[16:17], v64, 34, v[0:1]
	v_mad_i64_i32 v[4:5], s[16:17], v66, 34, v[0:1]
	;; [unrolled: 1-line block ×8, first 2 shown]
	v_lshl_add_u64 v[2:3], v[2:3], 0, v[10:11]
	v_lshl_add_u64 v[0:1], v[0:1], 0, v[10:11]
	v_lshl_add_u64 v[4:5], v[4:5], 0, v[10:11]
	v_lshl_add_u64 v[6:7], v[6:7], 0, v[10:11]
	v_lshl_add_u64 v[118:119], v[118:119], 0, v[10:11]
	v_lshl_add_u64 v[120:121], v[120:121], 0, v[10:11]
	v_lshl_add_u64 v[122:123], v[122:123], 0, v[10:11]
	v_lshl_add_u64 v[124:125], v[124:125], 0, v[10:11]
	global_load_dword v126, v[2:3], off offset:2
	global_load_dword v127, v[4:5], off offset:2
                                        ; kill: killed $vgpr2_vgpr3
                                        ; kill: killed $vgpr4_vgpr5
	global_load_dword v128, v[6:7], off offset:2
	global_load_dword v129, v[118:119], off offset:2
	;; [unrolled: 1-line block ×4, first 2 shown]
                                        ; kill: killed $vgpr122_vgpr123
                                        ; kill: killed $vgpr6_vgpr7
                                        ; kill: killed $vgpr118_vgpr119
                                        ; kill: killed $vgpr120_vgpr121
	global_load_dword v132, v[124:125], off offset:2
	global_load_dword v133, v[0:1], off offset:2
	v_mad_u64_u32 v[0:1], s[0:1], v54, 34, s[0:1]
	v_mad_i64_i32 v[2:3], s[0:1], v86, 34, v[0:1]
	v_mad_i64_i32 v[0:1], s[0:1], v88, 34, v[0:1]
	v_add_u32_e32 v136, s8, v8
	global_load_ushort v134, v[2:3], off
	global_load_ushort v135, v[0:1], off
	v_add_u32_e32 v0, s8, v96
	v_add_u32_e32 v2, v136, v19
	;; [unrolled: 1-line block ×5, first 2 shown]
	v_mad_u64_u32 v[0:1], s[0:1], v0, 36, s[2:3]
	v_mad_i64_i32 v[2:3], s[0:1], v2, 36, v[98:99]
	v_mad_i64_i32 v[4:5], s[0:1], v4, 36, v[98:99]
	v_mad_i64_i32 v[6:7], s[0:1], v6, 36, v[98:99]
	v_mad_i64_i32 v[118:119], s[0:1], v118, 36, v[98:99]
	v_add_u32_e32 v120, v136, v27
	v_add_u32_e32 v122, v136, v29
	;; [unrolled: 1-line block ×3, first 2 shown]
	v_mad_i64_i32 v[120:121], s[0:1], v120, 36, v[98:99]
	v_mad_i64_i32 v[122:123], s[0:1], v122, 36, v[98:99]
	;; [unrolled: 1-line block ×3, first 2 shown]
	global_load_dword v137, v[0:1], off
	s_nop 0
	global_load_dword v2, v[2:3], off offset:4
	s_nop 0
	global_load_dword v3, v[4:5], off offset:4
	;; [unrolled: 2-line block ×3, first 2 shown]
	global_load_dword v5, v[118:119], off offset:4
	s_nop 0
	global_load_dword v6, v[120:121], off offset:4
	global_load_dword v7, v[122:123], off offset:4
	;; [unrolled: 1-line block ×3, first 2 shown]
	v_add_u32_e32 v0, v136, v33
	v_mad_i64_i32 v[0:1], s[0:1], v0, 36, v[98:99]
	global_load_dword v0, v[0:1], off offset:4
	s_waitcnt vmcnt(26)
	ds_write_b32 v14, v71
	s_waitcnt vmcnt(25)
	ds_write_b32 v18, v75
	;; [unrolled: 2-line block ×14, first 2 shown]
	s_mov_b32 s0, -8
	v_mov_b32_e32 v75, v43
	v_mov_b32_e32 v77, v41
	;; [unrolled: 1-line block ×6, first 2 shown]
	s_waitcnt vmcnt(10)
	v_cvt_f32_f16_e32 v1, v134
	s_waitcnt vmcnt(9)
	v_cvt_f32_f16_e32 v71, v135
	ds_write_b32 v50, v132
	ds_write_b32 v52, v133
	;; [unrolled: 1-line block ×4, first 2 shown]
	s_waitcnt vmcnt(7)
	ds_write_b32 v51, v2
	s_waitcnt vmcnt(6)
	ds_write_b32 v53, v3
	;; [unrolled: 2-line block ×5, first 2 shown]
	v_cvt_f32_f16_e32 v1, v137
	v_mov_b32_e32 v71, v47
	s_waitcnt vmcnt(2)
	ds_write_b32 v63, v7
	s_waitcnt vmcnt(1)
	ds_write_b32 v65, v118
	;; [unrolled: 2-line block ×3, first 2 shown]
	ds_write_b32 v17, v1
	s_waitcnt lgkmcnt(0)
	s_barrier
.LBB146_7:                              ;   Parent Loop BB146_6 Depth=1
                                        ; =>  This Inner Loop Header: Depth=2
	v_add_u32_e32 v6, 0x1080, v89
	ds_read2_b32 v[0:1], v75 offset1:32
	ds_read_b128 v[2:5], v71
	ds_read_b128 v[158:161], v71 offset:16
	ds_read_b32 v124, v77
	ds_read2_b32 v[150:151], v89 offset1:1
	ds_read2_b32 v[152:153], v89 offset0:2 offset1:3
	ds_read2_b32 v[154:155], v89 offset0:4 offset1:5
	ds_read2_b32 v[156:157], v89 offset0:6 offset1:7
	ds_read_b32 v120, v79
	ds_read2_b32 v[126:127], v6 offset1:1
	v_add_u32_e32 v6, 0x1088, v89
	ds_read2_b32 v[130:131], v6 offset1:1
	v_add_u32_e32 v6, 0x1090, v89
	;; [unrolled: 2-line block ×4, first 2 shown]
	ds_read_b32 v122, v85
	ds_read2_b32 v[128:129], v6 offset1:1
	v_add_u32_e32 v6, 0x2108, v89
	ds_read2_b32 v[134:135], v6 offset1:1
	v_add_u32_e32 v6, 0x2110, v89
	;; [unrolled: 2-line block ×4, first 2 shown]
	ds_read_b32 v118, v87
	ds_read2_b32 v[132:133], v6 offset1:1
	v_mov_b32_e32 v97, 0
	v_mov_b32_e32 v119, 0
	;; [unrolled: 1-line block ×4, first 2 shown]
	s_waitcnt lgkmcnt(14)
	v_dot4c_i32_i8_e32 v97, v150, v2
	s_waitcnt lgkmcnt(10)
	v_dot4c_i32_i8_e32 v119, v126, v2
	;; [unrolled: 2-line block ×4, first 2 shown]
	v_add_u32_e32 v2, 0x3188, v89
	ds_read2_b32 v[138:139], v2 offset1:1
	v_add_u32_e32 v2, 0x3190, v89
	ds_read2_b32 v[144:145], v2 offset1:1
	v_add_u32_e32 v2, 0x3198, v89
	v_dot4c_i32_i8_e32 v97, v151, v3
	v_dot4c_i32_i8_e32 v119, v127, v3
	v_dot4c_i32_i8_e32 v121, v129, v3
	v_dot4c_i32_i8_e32 v123, v133, v3
	ds_read2_b32 v[148:149], v2 offset1:1
	v_dot4c_i32_i8_e32 v97, v152, v4
	v_dot4c_i32_i8_e32 v119, v130, v4
	v_dot4c_i32_i8_e32 v121, v134, v4
	s_waitcnt lgkmcnt(2)
	v_dot4c_i32_i8_e32 v123, v138, v4
	v_dot4c_i32_i8_e32 v97, v153, v5
	v_dot4c_i32_i8_e32 v119, v131, v5
	v_dot4c_i32_i8_e32 v121, v135, v5
	v_dot4c_i32_i8_e32 v123, v139, v5
	v_dot4c_i32_i8_e32 v97, v154, v158
	v_dot4c_i32_i8_e32 v119, v136, v158
	v_dot4c_i32_i8_e32 v121, v140, v158
	s_waitcnt lgkmcnt(1)
	v_dot4c_i32_i8_e32 v123, v144, v158
	v_dot4c_i32_i8_e32 v97, v155, v159
	v_dot4c_i32_i8_e32 v119, v137, v159
	v_dot4c_i32_i8_e32 v121, v141, v159
	v_dot4c_i32_i8_e32 v123, v145, v159
	;; [unrolled: 9-line block ×3, first 2 shown]
	ds_read_b128 v[2:5], v71 offset:1024
	ds_read_b128 v[158:161], v71 offset:1040
	v_mov_b32_e32 v125, 0
	v_cvt_f32_i32_e32 v162, v97
	v_mov_b32_e32 v97, 0
	s_waitcnt lgkmcnt(1)
	v_dot4c_i32_i8_e32 v125, v150, v2
	v_dot4c_i32_i8_e32 v125, v151, v3
	;; [unrolled: 1-line block ×4, first 2 shown]
	s_waitcnt lgkmcnt(0)
	v_dot4c_i32_i8_e32 v125, v154, v158
	v_dot4c_i32_i8_e32 v97, v126, v2
	;; [unrolled: 1-line block ×10, first 2 shown]
	v_cvt_f32_i32_e32 v163, v125
	v_dot4c_i32_i8_e32 v97, v142, v160
	v_pk_mul_f32 v[6:7], v[124:125], v[0:1] op_sel_hi:[0,1]
	v_dot4c_i32_i8_e32 v97, v143, v161
	v_pk_fma_f32 v[56:57], v[6:7], v[162:163], v[56:57]
	v_cvt_f32_i32_e32 v162, v119
	v_pk_mul_f32 v[6:7], v[120:121], v[0:1] op_sel_hi:[0,1]
	v_cvt_f32_i32_e32 v163, v97
	v_mov_b32_e32 v97, 0
	v_dot4c_i32_i8_e32 v97, v128, v2
	v_dot4c_i32_i8_e32 v97, v129, v3
	;; [unrolled: 1-line block ×8, first 2 shown]
	v_pk_fma_f32 v[106:107], v[6:7], v[162:163], v[106:107]
	v_cvt_f32_i32_e32 v162, v121
	v_pk_mul_f32 v[6:7], v[122:123], v[0:1] op_sel_hi:[0,1]
	v_cvt_f32_i32_e32 v163, v97
	v_pk_mul_f32 v[0:1], v[118:119], v[0:1] op_sel_hi:[0,1]
	v_mov_b32_e32 v97, 0
	v_mov_b32_e32 v119, 0
	v_pk_fma_f32 v[112:113], v[6:7], v[162:163], v[112:113]
	v_mov_b32_e32 v6, 0
	v_dot4c_i32_i8_e32 v6, v132, v2
	v_dot4c_i32_i8_e32 v6, v133, v3
	;; [unrolled: 1-line block ×8, first 2 shown]
	v_cvt_f32_i32_e32 v2, v123
	v_mov_b32_e32 v121, 0
	v_mov_b32_e32 v123, 0
	v_cvt_f32_i32_e32 v3, v6
	v_mov_b32_e32 v125, 0
	s_add_i32 s0, s0, 8
	v_add_u32_e32 v89, 32, v89
	v_pk_fma_f32 v[116:117], v[0:1], v[2:3], v[116:117]
	ds_read2_b32 v[0:1], v75 offset0:64 offset1:96
	ds_read_b128 v[2:5], v71 offset:2048
	ds_read_b128 v[158:161], v71 offset:2064
	v_add_u32_e32 v87, 4, v87
	v_add_u32_e32 v85, 4, v85
	;; [unrolled: 1-line block ×3, first 2 shown]
	s_waitcnt lgkmcnt(1)
	v_dot4c_i32_i8_e32 v97, v150, v2
	v_dot4c_i32_i8_e32 v119, v126, v2
	;; [unrolled: 1-line block ×16, first 2 shown]
	s_waitcnt lgkmcnt(0)
	v_dot4c_i32_i8_e32 v97, v154, v158
	v_dot4c_i32_i8_e32 v119, v136, v158
	;; [unrolled: 1-line block ×16, first 2 shown]
	ds_read_b128 v[2:5], v71 offset:3072
	ds_read_b128 v[158:161], v71 offset:3088
	v_cvt_f32_i32_e32 v162, v97
	v_mov_b32_e32 v97, 0
	v_add_u32_e32 v77, 4, v77
	s_waitcnt lgkmcnt(1)
	v_dot4c_i32_i8_e32 v125, v150, v2
	v_dot4c_i32_i8_e32 v125, v151, v3
	;; [unrolled: 1-line block ×4, first 2 shown]
	s_waitcnt lgkmcnt(0)
	v_dot4c_i32_i8_e32 v125, v154, v158
	v_dot4c_i32_i8_e32 v97, v126, v2
	;; [unrolled: 1-line block ×10, first 2 shown]
	v_cvt_f32_i32_e32 v163, v125
	v_dot4c_i32_i8_e32 v97, v142, v160
	v_pk_mul_f32 v[6:7], v[124:125], v[0:1] op_sel_hi:[0,1]
	v_dot4c_i32_i8_e32 v97, v143, v161
	v_pk_fma_f32 v[90:91], v[6:7], v[162:163], v[90:91]
	v_cvt_f32_i32_e32 v162, v119
	v_pk_mul_f32 v[6:7], v[120:121], v[0:1] op_sel_hi:[0,1]
	v_cvt_f32_i32_e32 v163, v97
	v_mov_b32_e32 v97, 0
	v_dot4c_i32_i8_e32 v97, v128, v2
	v_dot4c_i32_i8_e32 v97, v129, v3
	;; [unrolled: 1-line block ×8, first 2 shown]
	v_pk_fma_f32 v[100:101], v[6:7], v[162:163], v[100:101]
	v_cvt_f32_i32_e32 v162, v121
	v_pk_mul_f32 v[6:7], v[122:123], v[0:1] op_sel_hi:[0,1]
	v_cvt_f32_i32_e32 v163, v97
	v_pk_mul_f32 v[0:1], v[118:119], v[0:1] op_sel_hi:[0,1]
	v_mov_b32_e32 v97, 0
	v_mov_b32_e32 v119, 0
	v_pk_fma_f32 v[108:109], v[6:7], v[162:163], v[108:109]
	v_mov_b32_e32 v6, 0
	v_dot4c_i32_i8_e32 v6, v132, v2
	v_dot4c_i32_i8_e32 v6, v133, v3
	;; [unrolled: 1-line block ×8, first 2 shown]
	v_cvt_f32_i32_e32 v2, v123
	v_mov_b32_e32 v121, 0
	v_mov_b32_e32 v123, 0
	v_cvt_f32_i32_e32 v3, v6
	v_mov_b32_e32 v125, 0
	s_cmp_lt_u32 s0, 24
	v_pk_fma_f32 v[114:115], v[0:1], v[2:3], v[114:115]
	ds_read2_b32 v[0:1], v75 offset0:128 offset1:160
	ds_read_b128 v[2:5], v71 offset:4096
	ds_read_b128 v[158:161], v71 offset:4112
	s_waitcnt lgkmcnt(1)
	v_dot4c_i32_i8_e32 v97, v150, v2
	v_dot4c_i32_i8_e32 v119, v126, v2
	;; [unrolled: 1-line block ×16, first 2 shown]
	s_waitcnt lgkmcnt(0)
	v_dot4c_i32_i8_e32 v97, v154, v158
	v_dot4c_i32_i8_e32 v119, v136, v158
	;; [unrolled: 1-line block ×16, first 2 shown]
	ds_read_b128 v[2:5], v71 offset:5120
	ds_read_b128 v[158:161], v71 offset:5136
	v_cvt_f32_i32_e32 v162, v97
	v_mov_b32_e32 v97, 0
	s_waitcnt lgkmcnt(1)
	v_dot4c_i32_i8_e32 v125, v150, v2
	v_dot4c_i32_i8_e32 v125, v151, v3
	;; [unrolled: 1-line block ×4, first 2 shown]
	s_waitcnt lgkmcnt(0)
	v_dot4c_i32_i8_e32 v125, v154, v158
	v_dot4c_i32_i8_e32 v97, v126, v2
	;; [unrolled: 1-line block ×10, first 2 shown]
	v_cvt_f32_i32_e32 v163, v125
	v_dot4c_i32_i8_e32 v97, v142, v160
	v_pk_mul_f32 v[6:7], v[124:125], v[0:1] op_sel_hi:[0,1]
	v_dot4c_i32_i8_e32 v97, v143, v161
	v_pk_fma_f32 v[80:81], v[6:7], v[162:163], v[80:81]
	v_cvt_f32_i32_e32 v162, v119
	v_pk_mul_f32 v[6:7], v[120:121], v[0:1] op_sel_hi:[0,1]
	v_cvt_f32_i32_e32 v163, v97
	v_mov_b32_e32 v97, 0
	v_dot4c_i32_i8_e32 v97, v128, v2
	v_dot4c_i32_i8_e32 v97, v129, v3
	;; [unrolled: 1-line block ×8, first 2 shown]
	v_pk_fma_f32 v[92:93], v[6:7], v[162:163], v[92:93]
	v_cvt_f32_i32_e32 v162, v121
	v_pk_mul_f32 v[6:7], v[122:123], v[0:1] op_sel_hi:[0,1]
	v_cvt_f32_i32_e32 v163, v97
	v_pk_mul_f32 v[0:1], v[118:119], v[0:1] op_sel_hi:[0,1]
	v_mov_b32_e32 v119, 0
	v_mov_b32_e32 v97, 0
	v_pk_fma_f32 v[102:103], v[6:7], v[162:163], v[102:103]
	v_mov_b32_e32 v6, 0
	v_dot4c_i32_i8_e32 v6, v132, v2
	v_dot4c_i32_i8_e32 v6, v133, v3
	;; [unrolled: 1-line block ×8, first 2 shown]
	v_cvt_f32_i32_e32 v2, v123
	v_mov_b32_e32 v123, 0
	v_mov_b32_e32 v160, 0
	v_cvt_f32_i32_e32 v3, v6
	v_mov_b32_e32 v121, 0
	v_pk_fma_f32 v[110:111], v[0:1], v[2:3], v[110:111]
	ds_read2_b32 v[158:159], v75 offset0:192 offset1:224
	ds_read_b128 v[0:3], v71 offset:6144
	ds_read_b128 v[4:7], v71 offset:6160
	v_add_u32_e32 v75, 4, v75
	s_waitcnt lgkmcnt(2)
	v_pk_mul_f32 v[124:125], v[124:125], v[158:159] op_sel_hi:[0,1]
	s_waitcnt lgkmcnt(1)
	v_dot4c_i32_i8_e32 v119, v150, v0
	v_dot4c_i32_i8_e32 v123, v126, v0
	;; [unrolled: 1-line block ×16, first 2 shown]
	s_waitcnt lgkmcnt(0)
	v_dot4c_i32_i8_e32 v119, v154, v4
	v_dot4c_i32_i8_e32 v123, v136, v4
	;; [unrolled: 1-line block ×16, first 2 shown]
	ds_read_b128 v[4:7], v71 offset:7168
	ds_read_b128 v[0:3], v71 offset:7184
	v_add_u32_e32 v71, 32, v71
	s_waitcnt lgkmcnt(1)
	v_dot4c_i32_i8_e32 v121, v150, v4
	v_dot4c_i32_i8_e32 v121, v151, v5
	;; [unrolled: 1-line block ×4, first 2 shown]
	v_cvt_f32_i32_e32 v150, v119
	v_mov_b32_e32 v119, 0
	s_waitcnt lgkmcnt(0)
	v_dot4c_i32_i8_e32 v121, v154, v0
	v_dot4c_i32_i8_e32 v119, v126, v4
	;; [unrolled: 1-line block ×10, first 2 shown]
	v_cvt_f32_i32_e32 v151, v121
	v_dot4c_i32_i8_e32 v119, v142, v2
	v_dot4c_i32_i8_e32 v119, v143, v3
	v_pk_mul_f32 v[120:121], v[120:121], v[158:159] op_sel_hi:[0,1]
	v_pk_fma_f32 v[72:73], v[124:125], v[150:151], v[72:73]
	v_cvt_f32_i32_e32 v124, v123
	v_cvt_f32_i32_e32 v125, v119
	v_mov_b32_e32 v119, 0
	v_dot4c_i32_i8_e32 v119, v128, v4
	v_dot4c_i32_i8_e32 v119, v129, v5
	;; [unrolled: 1-line block ×8, first 2 shown]
	v_pk_fma_f32 v[82:83], v[120:121], v[124:125], v[82:83]
	v_pk_mul_f32 v[120:121], v[122:123], v[158:159] op_sel_hi:[0,1]
	v_cvt_f32_i32_e32 v122, v160
	v_cvt_f32_i32_e32 v123, v119
	v_mov_b32_e32 v119, 0
	v_dot4c_i32_i8_e32 v119, v132, v4
	v_dot4c_i32_i8_e32 v119, v133, v5
	;; [unrolled: 1-line block ×8, first 2 shown]
	v_cvt_f32_i32_e32 v2, v97
	v_pk_fma_f32 v[94:95], v[120:121], v[122:123], v[94:95]
	s_nop 0
	v_cvt_f32_i32_e32 v3, v119
	v_pk_mul_f32 v[0:1], v[118:119], v[158:159] op_sel_hi:[0,1]
	v_pk_fma_f32 v[104:105], v[0:1], v[2:3], v[104:105]
	s_cbranch_scc1 .LBB146_7
; %bb.8:                                ;   in Loop: Header=BB146_6 Depth=1
	s_add_i32 s8, s8, 4
	s_cmp_ge_i32 s8, s5
	s_barrier
	s_cbranch_scc0 .LBB146_6
; %bb.9:
	v_cvt_pk_f16_f32 v23, v56, v57
	v_cvt_pk_f16_f32 v22, v106, v107
	;; [unrolled: 1-line block ×16, first 2 shown]
	v_mov_b32_e32 v4, v13
	v_cmp_gt_u32_e32 vcc, s10, v15
	s_and_saveexec_b64 s[0:1], vcc
	s_cbranch_execz .LBB146_3
.LBB146_10:
	v_add_u32_e32 v5, s4, v9
	v_mul_lo_u32 v9, v15, s14
	v_cmp_gt_u32_e32 vcc, s14, v5
	s_and_saveexec_b64 s[0:1], vcc
	s_cbranch_execz .LBB146_12
; %bb.11:
	v_add_u32_e32 v6, v5, v9
	v_mov_b32_e32 v7, 0
	s_waitcnt lgkmcnt(0)
	v_lshl_add_u64 v[6:7], v[6:7], 1, s[12:13]
	global_store_short v[6:7], v23, off
.LBB146_12:
	s_or_b64 exec, exec, s[0:1]
	v_add_u32_e32 v6, 32, v5
	v_cmp_gt_u32_e64 s[0:1], s14, v6
	s_and_saveexec_b64 s[2:3], s[0:1]
	s_cbranch_execz .LBB146_14
; %bb.13:
	v_add_u32_e32 v24, v6, v9
	v_mov_b32_e32 v25, 0
	s_waitcnt lgkmcnt(0)
	v_lshl_add_u64 v[24:25], v[24:25], 1, s[12:13]
	global_store_short v[24:25], v22, off
.LBB146_14:
	s_or_b64 exec, exec, s[2:3]
	v_add_u32_e32 v7, 64, v5
	v_cmp_gt_u32_e64 s[2:3], s14, v7
	s_and_saveexec_b64 s[4:5], s[2:3]
	;; [unrolled: 12-line block ×3, first 2 shown]
	s_cbranch_execz .LBB146_18
; %bb.17:
	v_add_u32_e32 v24, v8, v9
	v_mov_b32_e32 v25, 0
	s_waitcnt lgkmcnt(0)
	v_lshl_add_u64 v[24:25], v[24:25], 1, s[12:13]
	global_store_short v[24:25], v20, off
.LBB146_18:
	s_or_b64 exec, exec, s[6:7]
	v_add3_u32 v9, v4, s15, 8
	v_cmp_gt_u32_e64 s[6:7], s10, v9
	s_and_b64 exec, exec, s[6:7]
	s_cbranch_execz .LBB146_3
; %bb.19:
	v_mul_lo_u32 v9, v9, s14
	s_and_saveexec_b64 s[6:7], vcc
	s_cbranch_execnz .LBB146_59
; %bb.20:
	s_or_b64 exec, exec, s[6:7]
	s_and_saveexec_b64 s[6:7], s[0:1]
	s_cbranch_execnz .LBB146_60
.LBB146_21:
	s_or_b64 exec, exec, s[6:7]
	s_and_saveexec_b64 s[6:7], s[2:3]
	s_cbranch_execnz .LBB146_61
.LBB146_22:
	s_or_b64 exec, exec, s[6:7]
	s_and_saveexec_b64 s[6:7], s[4:5]
	s_cbranch_execz .LBB146_24
.LBB146_23:
	v_add_u32_e32 v22, v9, v8
	v_mov_b32_e32 v23, 0
	s_waitcnt lgkmcnt(0)
	v_lshl_add_u64 v[22:23], v[22:23], 1, s[12:13]
	global_store_short_d16_hi v[22:23], v20, off
.LBB146_24:
	s_or_b64 exec, exec, s[6:7]
	v_add3_u32 v9, v4, s15, 16
	v_cmp_gt_u32_e64 s[6:7], s10, v9
	s_and_b64 exec, exec, s[6:7]
	s_cbranch_execz .LBB146_3
; %bb.25:
	v_mul_lo_u32 v9, v9, s14
	s_and_saveexec_b64 s[6:7], vcc
	s_cbranch_execnz .LBB146_62
; %bb.26:
	s_or_b64 exec, exec, s[6:7]
	s_and_saveexec_b64 s[6:7], s[0:1]
	s_cbranch_execnz .LBB146_63
.LBB146_27:
	s_or_b64 exec, exec, s[6:7]
	s_and_saveexec_b64 s[6:7], s[2:3]
	s_cbranch_execnz .LBB146_64
.LBB146_28:
	s_or_b64 exec, exec, s[6:7]
	s_and_saveexec_b64 s[6:7], s[4:5]
	s_cbranch_execz .LBB146_30
.LBB146_29:
	v_add_u32_e32 v20, v9, v8
	v_mov_b32_e32 v21, 0
	s_waitcnt lgkmcnt(0)
	v_lshl_add_u64 v[20:21], v[20:21], 1, s[12:13]
	global_store_short v[20:21], v16, off
.LBB146_30:
	s_or_b64 exec, exec, s[6:7]
	v_add3_u32 v9, v4, s15, 24
	v_cmp_gt_u32_e64 s[6:7], s10, v9
	s_and_b64 exec, exec, s[6:7]
	s_cbranch_execz .LBB146_3
; %bb.31:
	v_mul_lo_u32 v9, v9, s14
	s_and_saveexec_b64 s[6:7], vcc
	s_cbranch_execnz .LBB146_65
; %bb.32:
	s_or_b64 exec, exec, s[6:7]
	s_and_saveexec_b64 s[6:7], s[0:1]
	s_cbranch_execnz .LBB146_66
.LBB146_33:
	s_or_b64 exec, exec, s[6:7]
	s_and_saveexec_b64 s[6:7], s[2:3]
	s_cbranch_execnz .LBB146_67
.LBB146_34:
	s_or_b64 exec, exec, s[6:7]
	s_and_saveexec_b64 s[6:7], s[4:5]
	s_cbranch_execz .LBB146_36
.LBB146_35:
	v_add_u32_e32 v18, v9, v8
	v_mov_b32_e32 v19, 0
	s_waitcnt lgkmcnt(0)
	v_lshl_add_u64 v[18:19], v[18:19], 1, s[12:13]
	global_store_short_d16_hi v[18:19], v16, off
.LBB146_36:
	s_or_b64 exec, exec, s[6:7]
	v_add3_u32 v9, v4, s15, 32
	v_cmp_gt_u32_e64 s[6:7], s10, v9
	s_and_b64 exec, exec, s[6:7]
	s_cbranch_execz .LBB146_3
; %bb.37:
	v_mul_lo_u32 v9, v9, s14
	s_and_saveexec_b64 s[6:7], vcc
	s_cbranch_execnz .LBB146_68
; %bb.38:
	s_or_b64 exec, exec, s[6:7]
	s_and_saveexec_b64 s[6:7], s[0:1]
	s_cbranch_execnz .LBB146_69
.LBB146_39:
	s_or_b64 exec, exec, s[6:7]
	s_and_saveexec_b64 s[6:7], s[2:3]
	s_cbranch_execnz .LBB146_70
.LBB146_40:
	s_or_b64 exec, exec, s[6:7]
	s_and_saveexec_b64 s[6:7], s[4:5]
	s_cbranch_execz .LBB146_42
.LBB146_41:
	v_add_u32_e32 v16, v9, v8
	v_mov_b32_e32 v17, 0
	s_waitcnt lgkmcnt(0)
	v_lshl_add_u64 v[16:17], v[16:17], 1, s[12:13]
	global_store_short v[16:17], v10, off
.LBB146_42:
	s_or_b64 exec, exec, s[6:7]
	v_add3_u32 v9, v4, s15, 40
	v_cmp_gt_u32_e64 s[6:7], s10, v9
	s_and_b64 exec, exec, s[6:7]
	s_cbranch_execz .LBB146_3
; %bb.43:
	v_mul_lo_u32 v9, v9, s14
	s_and_saveexec_b64 s[6:7], vcc
	s_cbranch_execnz .LBB146_71
; %bb.44:
	s_or_b64 exec, exec, s[6:7]
	s_and_saveexec_b64 s[6:7], s[0:1]
	s_cbranch_execnz .LBB146_72
.LBB146_45:
	s_or_b64 exec, exec, s[6:7]
	s_and_saveexec_b64 s[6:7], s[2:3]
	s_cbranch_execnz .LBB146_73
.LBB146_46:
	s_or_b64 exec, exec, s[6:7]
	s_and_saveexec_b64 s[6:7], s[4:5]
	s_cbranch_execz .LBB146_48
.LBB146_47:
	v_add_u32_e32 v12, v9, v8
	v_mov_b32_e32 v13, 0
	s_waitcnt lgkmcnt(0)
	v_lshl_add_u64 v[12:13], v[12:13], 1, s[12:13]
	global_store_short_d16_hi v[12:13], v10, off
.LBB146_48:
	s_or_b64 exec, exec, s[6:7]
	v_add3_u32 v9, v4, s15, 48
	v_cmp_gt_u32_e64 s[6:7], s10, v9
	s_and_b64 exec, exec, s[6:7]
	s_cbranch_execz .LBB146_3
; %bb.49:
	v_mul_lo_u32 v9, v9, s14
	s_and_saveexec_b64 s[6:7], vcc
	s_cbranch_execnz .LBB146_74
; %bb.50:
	s_or_b64 exec, exec, s[6:7]
	s_and_saveexec_b64 s[6:7], s[0:1]
	s_cbranch_execnz .LBB146_75
.LBB146_51:
	s_or_b64 exec, exec, s[6:7]
	s_and_saveexec_b64 s[6:7], s[2:3]
	s_cbranch_execnz .LBB146_76
.LBB146_52:
	s_or_b64 exec, exec, s[6:7]
	s_and_saveexec_b64 s[6:7], s[4:5]
	s_cbranch_execz .LBB146_54
.LBB146_53:
	v_add_u32_e32 v10, v9, v8
	v_mov_b32_e32 v11, 0
	s_waitcnt lgkmcnt(0)
	v_lshl_add_u64 v[10:11], v[10:11], 1, s[12:13]
	global_store_short v[10:11], v0, off
.LBB146_54:
	s_or_b64 exec, exec, s[6:7]
	v_add3_u32 v4, v4, s15, 56
	v_cmp_gt_u32_e64 s[6:7], s10, v4
	s_and_b64 exec, exec, s[6:7]
	s_cbranch_execz .LBB146_3
; %bb.55:
	v_mul_lo_u32 v4, v4, s14
	s_and_saveexec_b64 s[6:7], vcc
	s_cbranch_execnz .LBB146_77
; %bb.56:
	s_or_b64 exec, exec, s[6:7]
	s_and_saveexec_b64 s[6:7], s[0:1]
	s_cbranch_execnz .LBB146_78
.LBB146_57:
	s_or_b64 exec, exec, s[6:7]
	s_and_saveexec_b64 s[0:1], s[2:3]
	s_cbranch_execnz .LBB146_79
.LBB146_58:
	s_or_b64 exec, exec, s[0:1]
	s_and_b64 exec, exec, s[4:5]
	s_cbranch_execz .LBB146_3
	s_branch .LBB146_80
.LBB146_59:
	v_add_u32_e32 v24, v9, v5
	v_mov_b32_e32 v25, 0
	s_waitcnt lgkmcnt(0)
	v_lshl_add_u64 v[24:25], v[24:25], 1, s[12:13]
	global_store_short_d16_hi v[24:25], v23, off
	s_or_b64 exec, exec, s[6:7]
	s_and_saveexec_b64 s[6:7], s[0:1]
	s_cbranch_execz .LBB146_21
.LBB146_60:
	v_add_u32_e32 v24, v9, v6
	v_mov_b32_e32 v25, 0
	s_waitcnt lgkmcnt(0)
	v_lshl_add_u64 v[24:25], v[24:25], 1, s[12:13]
	global_store_short_d16_hi v[24:25], v22, off
	s_or_b64 exec, exec, s[6:7]
	s_and_saveexec_b64 s[6:7], s[2:3]
	s_cbranch_execz .LBB146_22
.LBB146_61:
	v_add_u32_e32 v22, v9, v7
	v_mov_b32_e32 v23, 0
	s_waitcnt lgkmcnt(0)
	v_lshl_add_u64 v[22:23], v[22:23], 1, s[12:13]
	global_store_short_d16_hi v[22:23], v21, off
	s_or_b64 exec, exec, s[6:7]
	s_and_saveexec_b64 s[6:7], s[4:5]
	s_cbranch_execnz .LBB146_23
	s_branch .LBB146_24
.LBB146_62:
	v_add_u32_e32 v20, v9, v5
	v_mov_b32_e32 v21, 0
	s_waitcnt lgkmcnt(0)
	v_lshl_add_u64 v[20:21], v[20:21], 1, s[12:13]
	global_store_short v[20:21], v19, off
	s_or_b64 exec, exec, s[6:7]
	s_and_saveexec_b64 s[6:7], s[0:1]
	s_cbranch_execz .LBB146_27
.LBB146_63:
	v_add_u32_e32 v20, v9, v6
	v_mov_b32_e32 v21, 0
	s_waitcnt lgkmcnt(0)
	v_lshl_add_u64 v[20:21], v[20:21], 1, s[12:13]
	global_store_short v[20:21], v18, off
	s_or_b64 exec, exec, s[6:7]
	s_and_saveexec_b64 s[6:7], s[2:3]
	s_cbranch_execz .LBB146_28
.LBB146_64:
	v_add_u32_e32 v20, v9, v7
	v_mov_b32_e32 v21, 0
	s_waitcnt lgkmcnt(0)
	v_lshl_add_u64 v[20:21], v[20:21], 1, s[12:13]
	global_store_short v[20:21], v17, off
	s_or_b64 exec, exec, s[6:7]
	s_and_saveexec_b64 s[6:7], s[4:5]
	s_cbranch_execnz .LBB146_29
	s_branch .LBB146_30
.LBB146_65:
	v_add_u32_e32 v20, v9, v5
	v_mov_b32_e32 v21, 0
	s_waitcnt lgkmcnt(0)
	v_lshl_add_u64 v[20:21], v[20:21], 1, s[12:13]
	global_store_short_d16_hi v[20:21], v19, off
	s_or_b64 exec, exec, s[6:7]
	s_and_saveexec_b64 s[6:7], s[0:1]
	s_cbranch_execz .LBB146_33
.LBB146_66:
	v_add_u32_e32 v20, v9, v6
	v_mov_b32_e32 v21, 0
	s_waitcnt lgkmcnt(0)
	v_lshl_add_u64 v[20:21], v[20:21], 1, s[12:13]
	global_store_short_d16_hi v[20:21], v18, off
	s_or_b64 exec, exec, s[6:7]
	s_and_saveexec_b64 s[6:7], s[2:3]
	s_cbranch_execz .LBB146_34
.LBB146_67:
	v_add_u32_e32 v18, v9, v7
	v_mov_b32_e32 v19, 0
	s_waitcnt lgkmcnt(0)
	v_lshl_add_u64 v[18:19], v[18:19], 1, s[12:13]
	global_store_short_d16_hi v[18:19], v17, off
	s_or_b64 exec, exec, s[6:7]
	s_and_saveexec_b64 s[6:7], s[4:5]
	s_cbranch_execnz .LBB146_35
	s_branch .LBB146_36
.LBB146_68:
	v_add_u32_e32 v16, v9, v5
	v_mov_b32_e32 v17, 0
	s_waitcnt lgkmcnt(0)
	v_lshl_add_u64 v[16:17], v[16:17], 1, s[12:13]
	global_store_short v[16:17], v14, off
	s_or_b64 exec, exec, s[6:7]
	s_and_saveexec_b64 s[6:7], s[0:1]
	s_cbranch_execz .LBB146_39
.LBB146_69:
	v_add_u32_e32 v16, v9, v6
	v_mov_b32_e32 v17, 0
	s_waitcnt lgkmcnt(0)
	v_lshl_add_u64 v[16:17], v[16:17], 1, s[12:13]
	global_store_short v[16:17], v12, off
	s_or_b64 exec, exec, s[6:7]
	s_and_saveexec_b64 s[6:7], s[2:3]
	s_cbranch_execz .LBB146_40
.LBB146_70:
	v_add_u32_e32 v16, v9, v7
	v_mov_b32_e32 v17, 0
	s_waitcnt lgkmcnt(0)
	v_lshl_add_u64 v[16:17], v[16:17], 1, s[12:13]
	global_store_short v[16:17], v11, off
	s_or_b64 exec, exec, s[6:7]
	s_and_saveexec_b64 s[6:7], s[4:5]
	s_cbranch_execnz .LBB146_41
	s_branch .LBB146_42
.LBB146_71:
	v_add_u32_e32 v16, v9, v5
	v_mov_b32_e32 v17, 0
	s_waitcnt lgkmcnt(0)
	v_lshl_add_u64 v[16:17], v[16:17], 1, s[12:13]
	global_store_short_d16_hi v[16:17], v14, off
	s_or_b64 exec, exec, s[6:7]
	s_and_saveexec_b64 s[6:7], s[0:1]
	s_cbranch_execz .LBB146_45
.LBB146_72:
	v_add_u32_e32 v14, v9, v6
	v_mov_b32_e32 v15, 0
	s_waitcnt lgkmcnt(0)
	v_lshl_add_u64 v[14:15], v[14:15], 1, s[12:13]
	global_store_short_d16_hi v[14:15], v12, off
	s_or_b64 exec, exec, s[6:7]
	s_and_saveexec_b64 s[6:7], s[2:3]
	s_cbranch_execz .LBB146_46
.LBB146_73:
	v_add_u32_e32 v12, v9, v7
	v_mov_b32_e32 v13, 0
	s_waitcnt lgkmcnt(0)
	v_lshl_add_u64 v[12:13], v[12:13], 1, s[12:13]
	global_store_short_d16_hi v[12:13], v11, off
	s_or_b64 exec, exec, s[6:7]
	s_and_saveexec_b64 s[6:7], s[4:5]
	s_cbranch_execnz .LBB146_47
	s_branch .LBB146_48
.LBB146_74:
	v_add_u32_e32 v10, v9, v5
	v_mov_b32_e32 v11, 0
	s_waitcnt lgkmcnt(0)
	v_lshl_add_u64 v[10:11], v[10:11], 1, s[12:13]
	global_store_short v[10:11], v3, off
	s_or_b64 exec, exec, s[6:7]
	s_and_saveexec_b64 s[6:7], s[0:1]
	s_cbranch_execz .LBB146_51
.LBB146_75:
	v_add_u32_e32 v10, v9, v6
	v_mov_b32_e32 v11, 0
	s_waitcnt lgkmcnt(0)
	v_lshl_add_u64 v[10:11], v[10:11], 1, s[12:13]
	global_store_short v[10:11], v2, off
	s_or_b64 exec, exec, s[6:7]
	s_and_saveexec_b64 s[6:7], s[2:3]
	s_cbranch_execz .LBB146_52
.LBB146_76:
	v_add_u32_e32 v10, v9, v7
	v_mov_b32_e32 v11, 0
	s_waitcnt lgkmcnt(0)
	v_lshl_add_u64 v[10:11], v[10:11], 1, s[12:13]
	global_store_short v[10:11], v1, off
	s_or_b64 exec, exec, s[6:7]
	s_and_saveexec_b64 s[6:7], s[4:5]
	s_cbranch_execnz .LBB146_53
	s_branch .LBB146_54
.LBB146_77:
	v_add_u32_e32 v10, v4, v5
	v_mov_b32_e32 v11, 0
	s_waitcnt lgkmcnt(0)
	v_lshl_add_u64 v[10:11], v[10:11], 1, s[12:13]
	global_store_short_d16_hi v[10:11], v3, off
	s_or_b64 exec, exec, s[6:7]
	s_and_saveexec_b64 s[6:7], s[0:1]
	s_cbranch_execz .LBB146_57
.LBB146_78:
	v_add_u32_e32 v10, v4, v6
	v_mov_b32_e32 v11, 0
	s_waitcnt lgkmcnt(0)
	v_lshl_add_u64 v[10:11], v[10:11], 1, s[12:13]
	global_store_short_d16_hi v[10:11], v2, off
	s_or_b64 exec, exec, s[6:7]
	s_and_saveexec_b64 s[0:1], s[2:3]
	s_cbranch_execz .LBB146_58
.LBB146_79:
	v_add_u32_e32 v2, v4, v7
	v_mov_b32_e32 v3, 0
	s_waitcnt lgkmcnt(0)
	v_lshl_add_u64 v[2:3], v[2:3], 1, s[12:13]
	global_store_short_d16_hi v[2:3], v1, off
	s_or_b64 exec, exec, s[0:1]
	s_and_b64 exec, exec, s[4:5]
	s_cbranch_execz .LBB146_3
.LBB146_80:
	v_add_u32_e32 v2, v4, v8
	v_mov_b32_e32 v3, 0
	s_waitcnt lgkmcnt(0)
	v_lshl_add_u64 v[2:3], v[2:3], 1, s[12:13]
	global_store_short_d16_hi v[2:3], v0, off
	s_endpgm
	.section	.rodata,"a",@progbits
	.p2align	6, 0x0
	.amdhsa_kernel _ZL12mul_mat_q8_0IN3c104HalfELb1EEvPKvS3_PT_iiiii
		.amdhsa_group_segment_fixed_size 28224
		.amdhsa_private_segment_fixed_size 0
		.amdhsa_kernarg_size 44
		.amdhsa_user_sgpr_count 2
		.amdhsa_user_sgpr_dispatch_ptr 0
		.amdhsa_user_sgpr_queue_ptr 0
		.amdhsa_user_sgpr_kernarg_segment_ptr 1
		.amdhsa_user_sgpr_dispatch_id 0
		.amdhsa_user_sgpr_kernarg_preload_length 0
		.amdhsa_user_sgpr_kernarg_preload_offset 0
		.amdhsa_user_sgpr_private_segment_size 0
		.amdhsa_uses_dynamic_stack 0
		.amdhsa_enable_private_segment 0
		.amdhsa_system_sgpr_workgroup_id_x 1
		.amdhsa_system_sgpr_workgroup_id_y 1
		.amdhsa_system_sgpr_workgroup_id_z 0
		.amdhsa_system_sgpr_workgroup_info 0
		.amdhsa_system_vgpr_workitem_id 1
		.amdhsa_next_free_vgpr 164
		.amdhsa_next_free_sgpr 96
		.amdhsa_accum_offset 164
		.amdhsa_reserve_vcc 1
		.amdhsa_float_round_mode_32 0
		.amdhsa_float_round_mode_16_64 0
		.amdhsa_float_denorm_mode_32 3
		.amdhsa_float_denorm_mode_16_64 3
		.amdhsa_dx10_clamp 1
		.amdhsa_ieee_mode 1
		.amdhsa_fp16_overflow 0
		.amdhsa_tg_split 0
		.amdhsa_exception_fp_ieee_invalid_op 0
		.amdhsa_exception_fp_denorm_src 0
		.amdhsa_exception_fp_ieee_div_zero 0
		.amdhsa_exception_fp_ieee_overflow 0
		.amdhsa_exception_fp_ieee_underflow 0
		.amdhsa_exception_fp_ieee_inexact 0
		.amdhsa_exception_int_div_zero 0
	.end_amdhsa_kernel
	.section	.text._ZL12mul_mat_q8_0IN3c104HalfELb1EEvPKvS3_PT_iiiii,"axG",@progbits,_ZL12mul_mat_q8_0IN3c104HalfELb1EEvPKvS3_PT_iiiii,comdat
.Lfunc_end146:
	.size	_ZL12mul_mat_q8_0IN3c104HalfELb1EEvPKvS3_PT_iiiii, .Lfunc_end146-_ZL12mul_mat_q8_0IN3c104HalfELb1EEvPKvS3_PT_iiiii
                                        ; -- End function
	.set _ZL12mul_mat_q8_0IN3c104HalfELb1EEvPKvS3_PT_iiiii.num_vgpr, 164
	.set _ZL12mul_mat_q8_0IN3c104HalfELb1EEvPKvS3_PT_iiiii.num_agpr, 0
	.set _ZL12mul_mat_q8_0IN3c104HalfELb1EEvPKvS3_PT_iiiii.numbered_sgpr, 18
	.set _ZL12mul_mat_q8_0IN3c104HalfELb1EEvPKvS3_PT_iiiii.num_named_barrier, 0
	.set _ZL12mul_mat_q8_0IN3c104HalfELb1EEvPKvS3_PT_iiiii.private_seg_size, 0
	.set _ZL12mul_mat_q8_0IN3c104HalfELb1EEvPKvS3_PT_iiiii.uses_vcc, 1
	.set _ZL12mul_mat_q8_0IN3c104HalfELb1EEvPKvS3_PT_iiiii.uses_flat_scratch, 0
	.set _ZL12mul_mat_q8_0IN3c104HalfELb1EEvPKvS3_PT_iiiii.has_dyn_sized_stack, 0
	.set _ZL12mul_mat_q8_0IN3c104HalfELb1EEvPKvS3_PT_iiiii.has_recursion, 0
	.set _ZL12mul_mat_q8_0IN3c104HalfELb1EEvPKvS3_PT_iiiii.has_indirect_call, 0
	.section	.AMDGPU.csdata,"",@progbits
; Kernel info:
; codeLenInByte = 6472
; TotalNumSgprs: 24
; NumVgprs: 164
; NumAgprs: 0
; TotalNumVgprs: 164
; ScratchSize: 0
; MemoryBound: 0
; FloatMode: 240
; IeeeMode: 1
; LDSByteSize: 28224 bytes/workgroup (compile time only)
; SGPRBlocks: 12
; VGPRBlocks: 20
; NumSGPRsForWavesPerEU: 102
; NumVGPRsForWavesPerEU: 164
; AccumOffset: 164
; Occupancy: 3
; WaveLimiterHint : 0
; COMPUTE_PGM_RSRC2:SCRATCH_EN: 0
; COMPUTE_PGM_RSRC2:USER_SGPR: 2
; COMPUTE_PGM_RSRC2:TRAP_HANDLER: 0
; COMPUTE_PGM_RSRC2:TGID_X_EN: 1
; COMPUTE_PGM_RSRC2:TGID_Y_EN: 1
; COMPUTE_PGM_RSRC2:TGID_Z_EN: 0
; COMPUTE_PGM_RSRC2:TIDIG_COMP_CNT: 1
; COMPUTE_PGM_RSRC3_GFX90A:ACCUM_OFFSET: 40
; COMPUTE_PGM_RSRC3_GFX90A:TG_SPLIT: 0
	.section	.text._ZL12mul_mat_q2_KIN3c104HalfELb0EEvPKvS3_PT_iiiii,"axG",@progbits,_ZL12mul_mat_q2_KIN3c104HalfELb0EEvPKvS3_PT_iiiii,comdat
	.globl	_ZL12mul_mat_q2_KIN3c104HalfELb0EEvPKvS3_PT_iiiii ; -- Begin function _ZL12mul_mat_q2_KIN3c104HalfELb0EEvPKvS3_PT_iiiii
	.p2align	8
	.type	_ZL12mul_mat_q2_KIN3c104HalfELb0EEvPKvS3_PT_iiiii,@function
_ZL12mul_mat_q2_KIN3c104HalfELb0EEvPKvS3_PT_iiiii: ; @_ZL12mul_mat_q2_KIN3c104HalfELb0EEvPKvS3_PT_iiiii
; %bb.0:
	s_load_dword s14, s[0:1], 0x18
	s_load_dwordx4 s[8:11], s[0:1], 0x20
	s_waitcnt lgkmcnt(0)
	s_lshl_b32 s11, s3, 6
	v_bfe_u32 v21, v0, 10, 10
	s_cmpk_gt_i32 s14, 0xff
	s_cbranch_scc1 .LBB147_2
; %bb.1:
	v_bfe_u32 v5, v0, 10, 10
	v_and_b32_e32 v17, 0x3ff, v0
	v_add_u32_e32 v23, s11, v5
	s_mov_b64 s[4:5], 0
	s_branch .LBB147_3
.LBB147_2:
	s_mov_b64 s[4:5], -1
                                        ; implicit-def: $vgpr5
                                        ; implicit-def: $vgpr17
                                        ; implicit-def: $vgpr23
.LBB147_3:
	s_load_dwordx2 s[12:13], s[0:1], 0x10
	s_lshl_b32 s6, s2, 7
	s_mov_b32 s7, 0
	v_mov_b32_e32 v1, 0
	s_andn2_b64 vcc, exec, s[4:5]
	v_mov_b32_e32 v9, 0
	v_mov_b32_e32 v13, 0
	;; [unrolled: 1-line block ×15, first 2 shown]
	s_cbranch_vccnz .LBB147_17
; %bb.4:
	s_ashr_i32 s4, s14, 31
	s_load_dwordx4 s[0:3], s[0:1], 0x0
	s_lshr_b32 s4, s4, 24
	s_add_i32 s14, s14, s4
	s_ashr_i32 s5, s9, 31
	s_ashr_i32 s4, s14, 8
	s_lshr_b32 s5, s5, 27
	s_add_i32 s5, s9, s5
	s_mul_i32 s14, s4, s6
	s_ashr_i32 s9, s5, 5
	s_mul_hi_i32 s15, s14, 0x54
	s_mulk_i32 s14, 0x54
	v_and_b32_e32 v17, 0x3ff, v0
	s_waitcnt lgkmcnt(0)
	s_add_u32 s0, s0, s14
	v_lshlrev_b32_e32 v1, 2, v17
	s_movk_i32 s14, 0x84
	s_addc_u32 s1, s1, s15
	v_mad_u32_u24 v25, v21, s14, v1
	s_lshl_b32 s14, s4, 3
	v_mov_b32_e32 v2, s14
	v_mad_i32_i24 v22, s4, v21, v2
	v_lshlrev_b32_e32 v8, 4, v21
	v_bfe_u32 v2, v0, 1, 9
	v_and_b32_e32 v26, 1, v0
	v_add_u32_e32 v2, v2, v8
	v_and_b32_e32 v3, 0x7f, v2
	v_lshlrev_b32_e32 v4, 2, v26
	v_lshrrev_b32_e32 v2, 2, v2
	v_mul_i32_i24_e32 v28, s4, v3
	v_lshl_or_b32 v3, v3, 3, v4
	v_and_b32_e32 v2, 28, v2
	s_movk_i32 s15, 0x7280
	v_bfe_u32 v73, v0, 3, 7
	v_add3_u32 v71, v3, v2, s15
	v_lshl_add_u32 v2, v21, 2, v73
	v_and_b32_e32 v9, 7, v0
	v_and_b32_e32 v3, 0x7fc, v2
	v_lshlrev_b32_e32 v4, 2, v9
	s_movk_i32 s15, 0x6200
	s_lshl_b32 s18, s4, 5
	v_add3_u32 v10, v3, v4, s15
	v_add_u32_e32 v3, 32, v2
	v_mov_b32_e32 v5, s18
	v_mul_i32_i24_e32 v32, s4, v2
	v_lshlrev_b32_e32 v11, 5, v2
	v_mad_i32_i24 v34, s4, v2, v5
	v_and_b32_e32 v5, 0xffc, v3
	v_lshlrev_b32_e32 v13, 5, v3
	v_add_u32_e32 v3, 64, v2
	v_add_u32_e32 v2, 0x60, v2
	v_add3_u32 v12, v5, v4, s15
	v_and_b32_e32 v5, 0xffc, v3
	v_lshlrev_b32_e32 v15, 5, v3
	v_and_b32_e32 v3, 0xffc, v2
	v_and_b32_e32 v18, 60, v1
	;; [unrolled: 1-line block ×3, first 2 shown]
	v_add3_u32 v14, v5, v4, s15
	v_add3_u32 v42, v3, v4, s15
	v_and_b32_e32 v6, 31, v0
	v_and_b32_e32 v4, 28, v1
	v_mov_b32_e32 v1, 0x4200
	v_lshl_or_b32 v1, v6, 2, v1
	v_bfe_u32 v6, v0, 2, 8
	v_lshl_add_u32 v6, v21, 3, v6
	v_and_b32_e32 v7, 63, v6
	s_add_i32 s15, s8, -1
	v_or_b32_e32 v36, s11, v7
	v_and_b32_e32 v6, 3, v0
	v_min_i32_e32 v36, s15, v36
	v_mad_u64_u32 v[36:37], s[16:17], v36, s9, v[6:7]
	v_lshlrev_b32_e32 v6, 2, v6
	v_add_u32_e32 v23, s11, v21
	v_lshl_or_b32 v6, v7, 4, v6
	v_lshlrev_b32_e32 v44, 5, v2
	v_cvt_f64_i32_e32 v[2:3], s15
	v_add_u32_e32 v37, 0x76a0, v6
	v_cvt_f64_u32_e32 v[6:7], v23
	v_min_f64 v[6:7], v[6:7], v[2:3]
	v_cvt_i32_f64_e32 v6, v[6:7]
	v_mul_lo_u32 v81, s9, v6
	v_add_u32_e32 v6, 8, v23
	v_cvt_f64_u32_e32 v[6:7], v6
	v_min_f64 v[6:7], v[6:7], v[2:3]
	v_cvt_i32_f64_e32 v6, v[6:7]
	v_mul_lo_u32 v83, s9, v6
	;; [unrolled: 5-line block ×7, first 2 shown]
	v_add_u32_e32 v6, 56, v23
	v_add_u32_e32 v24, s14, v22
	v_cvt_f64_u32_e32 v[6:7], v6
	v_min_f64 v[2:3], v[6:7], v[2:3]
	v_add_u32_e32 v140, v42, v44
	v_add_u32_e32 v42, s14, v24
	v_lshlrev_b32_e32 v46, 7, v21
	v_cvt_i32_f64_e32 v2, v[2:3]
	v_add_u32_e32 v44, s14, v42
	v_add_u32_e32 v48, 0x400, v46
	;; [unrolled: 1-line block ×7, first 2 shown]
	v_mul_lo_u32 v117, s9, v2
	v_add_u32_e32 v2, 0x1c00, v46
	v_add_u32_e32 v128, 0x4200, v46
	v_add_u32_e32 v141, v1, v46
	v_add_u32_e32 v46, s14, v44
	v_add_u32_e32 v142, v1, v48
	v_add_u32_e32 v48, s14, v46
	v_add_u32_e32 v143, v1, v50
	v_add_u32_e32 v50, s14, v48
	v_add_u32_e32 v144, v1, v52
	v_add_u32_e32 v52, s14, v50
	v_mul_u32_u24_e32 v3, 33, v17
	v_add_u32_e32 v7, 32, v17
	v_add_u32_e32 v145, v1, v54
	;; [unrolled: 1-line block ×3, first 2 shown]
	v_bfe_u32 v16, v0, 4, 6
	v_lshrrev_b32_e32 v60, 4, v7
	v_add_u32_e32 v40, 64, v17
	v_lshlrev_b32_e32 v126, 2, v3
	v_lshlrev_b32_e32 v3, 5, v17
	v_and_b32_e32 v0, 0xfc, v0
	v_add_u32_e32 v146, v1, v56
	v_add_u32_e32 v56, s14, v54
	v_lshlrev_b32_e32 v62, 1, v40
	v_add_u32_e32 v129, v3, v0
	v_and_b32_e32 v0, 0x1fc, v7
	v_lshlrev_b32_e32 v151, 2, v60
	v_add_u32_e32 v60, s14, v56
	v_lshrrev_b32_e32 v64, 4, v40
	v_add_u32_e32 v41, 0x60, v17
	v_add_u32_e32 v131, v3, v0
	v_and_b32_e32 v0, 0x1fc, v40
	v_lshlrev_b32_e32 v154, 2, v62
	v_add_u32_e32 v62, s14, v60
	v_mov_b32_e32 v19, 0
	v_add_u32_e32 v133, v3, v0
	v_and_b32_e32 v0, 0x1fc, v41
	v_lshlrev_b32_e32 v153, 2, v64
	v_add_u32_e32 v64, s14, v62
	v_mov_b32_e32 v5, v19
	v_lshlrev_b32_e32 v6, 1, v17
	v_lshlrev_b32_e32 v59, 1, v7
	;; [unrolled: 1-line block ×3, first 2 shown]
	v_lshrrev_b32_e32 v67, 4, v41
	v_lshrrev_b32_e32 v124, 3, v40
	;; [unrolled: 1-line block ×3, first 2 shown]
	v_add_u32_e32 v135, v3, v0
	v_mov_b32_e32 v40, v19
	v_mov_b32_e32 v41, v19
	v_add_u32_e32 v70, s14, v64
	v_cmp_lt_u32_e32 vcc, 3, v9
	v_add_u32_e32 v82, s18, v34
	s_movk_i32 s5, 0x54
	v_mul_i32_i24_e32 v20, s4, v21
	v_add_u32_e32 v27, 0x420, v25
	v_add_u32_e32 v29, 0x840, v25
	;; [unrolled: 1-line block ×15, first 2 shown]
	v_mov_b32_e32 v31, v19
	v_lshrrev_b32_e32 v119, 3, v7
	v_lshl_add_u64 v[38:39], s[2:3], 0, v[4:5]
	v_add_u32_e32 v127, 0x76a0, v8
	v_add_u32_e32 v130, 0x6200, v129
	;; [unrolled: 1-line block ×10, first 2 shown]
	v_lshlrev_b32_e32 v149, 2, v16
	v_lshlrev_b32_e32 v150, 2, v6
	;; [unrolled: 1-line block ×5, first 2 shown]
	s_mov_b32 s9, 0x1010101
	v_mov_b32_e32 v157, 4
	v_mov_b32_e32 v158, 15
	v_add_u32_e32 v72, s14, v70
	v_cndmask_b32_e64 v80, 0, 1, vcc
	v_add_u32_e32 v84, s18, v82
	v_mov_b64_e32 v[74:75], v[40:41]
	v_mov_b64_e32 v[66:67], v[40:41]
	;; [unrolled: 1-line block ×15, first 2 shown]
	s_branch .LBB147_6
.LBB147_5:                              ;   in Loop: Header=BB147_6 Depth=1
	s_add_i32 s7, s7, 2
	s_cmp_ge_i32 s7, s4
	s_cbranch_scc1 .LBB147_16
.LBB147_6:                              ; =>This Loop Header: Depth=1
                                        ;     Child Loop BB147_7 Depth 2
                                        ;     Child Loop BB147_9 Depth 2
	;; [unrolled: 1-line block ×4, first 2 shown]
	s_mul_i32 s14, s7, 0x54
	s_mul_hi_u32 s15, s7, 0x54
	s_add_u32 s14, s0, s14
	s_addc_u32 s15, s1, s15
	v_mov_b64_e32 v[0:1], s[14:15]
	v_mad_u64_u32 v[2:3], s[14:15], v16, s5, v[0:1]
	v_mad_u64_u32 v[4:5], s[14:15], v20, s5, v[2:3]
	;; [unrolled: 1-line block ×9, first 2 shown]
	v_lshl_add_u64 v[4:5], v[4:5], 0, v[18:19]
	v_lshl_add_u64 v[6:7], v[6:7], 0, v[18:19]
	;; [unrolled: 1-line block ×8, first 2 shown]
	global_load_dword v104, v[4:5], off offset:16
	global_load_dword v106, v[6:7], off offset:16
	;; [unrolled: 1-line block ×7, first 2 shown]
	s_nop 0
	global_load_dword v114, v[114:115], off offset:16
	v_mad_u64_u32 v[4:5], s[14:15], v52, s5, v[2:3]
	v_mad_u64_u32 v[6:7], s[14:15], v54, s5, v[2:3]
	;; [unrolled: 1-line block ×8, first 2 shown]
	v_lshl_add_u64 v[4:5], v[4:5], 0, v[18:19]
	v_lshl_add_u64 v[10:11], v[10:11], 0, v[18:19]
	v_lshl_add_u64 v[12:13], v[12:13], 0, v[18:19]
	v_lshl_add_u64 v[14:15], v[14:15], 0, v[18:19]
	v_lshl_add_u64 v[2:3], v[2:3], 0, v[18:19]
	v_lshl_add_u64 v[6:7], v[6:7], 0, v[18:19]
	v_lshl_add_u64 v[8:9], v[8:9], 0, v[18:19]
	v_lshl_add_u64 v[112:113], v[112:113], 0, v[18:19]
	global_load_dword v115, v[4:5], off offset:16
	global_load_dword v121, v[6:7], off offset:16
	;; [unrolled: 1-line block ×3, first 2 shown]
	s_nop 0
	global_load_dword v10, v[10:11], off offset:16
	s_nop 0
	global_load_dword v11, v[12:13], off offset:16
	;; [unrolled: 2-line block ×3, first 2 shown]
	global_load_dword v13, v[112:113], off offset:16
	s_nop 0
	global_load_dword v14, v[2:3], off offset:16
	v_mad_u64_u32 v[2:3], s[14:15], v28, s5, v[0:1]
	v_mad_u64_u32 v[0:1], s[14:15], v80, s5, v[0:1]
	v_lshl_add_u64 v[0:1], v[0:1], 0, v[30:31]
	v_mad_u64_u32 v[2:3], s[14:15], v26, s5, v[2:3]
	v_mad_u64_u32 v[4:5], s[14:15], v32, s5, v[0:1]
	;; [unrolled: 1-line block ×5, first 2 shown]
	s_lshl_b32 s14, s7, 3
	s_nop 0
	v_add_u32_e32 v161, s14, v73
	global_load_dword v15, v[2:3], off offset:80
	global_load_dword v112, v[4:5], off
	global_load_dword v113, v[6:7], off
	global_load_dword v123, v[8:9], off
	global_load_dword v160, v[0:1], off
	v_add_u32_e32 v0, v161, v81
	v_add_u32_e32 v2, v161, v83
	;; [unrolled: 1-line block ×3, first 2 shown]
	v_mad_i64_i32 v[0:1], s[16:17], v0, 36, v[38:39]
	v_mad_i64_i32 v[2:3], s[16:17], v2, 36, v[38:39]
	v_add_u32_e32 v4, v161, v85
	v_add_u32_e32 v6, v161, v105
	v_mad_i64_i32 v[8:9], s[16:17], v8, 36, v[38:39]
	v_add_u32_e32 v159, s14, v36
	v_mad_i64_i32 v[4:5], s[16:17], v4, 36, v[38:39]
	v_mad_i64_i32 v[6:7], s[16:17], v6, 36, v[38:39]
	global_load_dword v162, v[0:1], off offset:4
	global_load_dword v163, v[2:3], off offset:4
	;; [unrolled: 1-line block ×4, first 2 shown]
	s_nop 0
	global_load_dword v8, v[8:9], off offset:4
	v_add_u32_e32 v0, v161, v109
	v_add_u32_e32 v2, v161, v111
	v_mad_i64_i32 v[0:1], s[16:17], v0, 36, v[38:39]
	v_mad_i64_i32 v[2:3], s[16:17], v2, 36, v[38:39]
	v_add_u32_e32 v4, v161, v117
	v_mad_u64_u32 v[6:7], s[16:17], v159, 36, s[2:3]
	v_mad_i64_i32 v[4:5], s[16:17], v4, 36, v[38:39]
	global_load_dword v6, v[6:7], off
	s_nop 0
	global_load_dword v0, v[0:1], off offset:4
	s_nop 0
	global_load_dword v1, v[2:3], off offset:4
	;; [unrolled: 2-line block ×3, first 2 shown]
	s_waitcnt vmcnt(29)
	ds_write_b32 v25, v104
	s_waitcnt vmcnt(28)
	ds_write_b32 v27, v106
	;; [unrolled: 2-line block ×26, first 2 shown]
	v_mov_b32_e32 v113, v128
	v_mov_b32_e32 v115, v127
	s_mov_b32 s15, 0
	s_waitcnt vmcnt(3)
	v_cvt_f32_f16_e32 v3, v6
	s_waitcnt vmcnt(2)
	ds_write_b32 v146, v0
	s_waitcnt vmcnt(1)
	ds_write_b32 v147, v1
	;; [unrolled: 2-line block ×3, first 2 shown]
	ds_write_b32 v37, v3
	s_waitcnt lgkmcnt(0)
	s_barrier
.LBB147_7:                              ;   Parent Loop BB147_6 Depth=1
                                        ; =>  This Inner Loop Header: Depth=2
	s_and_b32 s17, s15, 0x3ffffff8
	v_lshl_add_u32 v10, s17, 2, v126
	ds_read2_b32 v[120:121], v115 offset1:32
	ds_read_b128 v[4:7], v113
	ds_read_b128 v[0:3], v113 offset:16
	ds_read2_b32 v[8:9], v10 offset1:1
	s_lshr_b32 s17, s15, 2
	s_and_b32 s17, s17, 0x3ffffffc
	s_addk_i32 s17, 0x7280
	s_and_b32 s16, s15, -16
	s_waitcnt lgkmcnt(0)
	v_ashrrev_i32_e32 v8, s15, v8
	v_and_b32_e32 v171, 0x3030303, v8
	v_ashrrev_i32_e32 v8, s15, v9
	v_and_b32_e32 v168, 0x3030303, v8
	ds_read2_b32 v[8:9], v10 offset0:2 offset1:3
	s_add_i32 s16, s15, s16
	v_add_u32_e32 v193, s16, v130
	v_mov_b32_e32 v200, 0
	v_mov_b32_e32 v204, 0
	s_waitcnt lgkmcnt(0)
	v_ashrrev_i32_e32 v8, s15, v8
	v_and_b32_e32 v169, 0x3030303, v8
	v_ashrrev_i32_e32 v8, s15, v9
	v_and_b32_e32 v170, 0x3030303, v8
	ds_read2_b32 v[8:9], v10 offset0:4 offset1:5
	v_mov_b32_e32 v122, 0
	v_mov_b32_e32 v198, 0
	v_dot4c_i32_i8_e32 v122, v171, v4
	v_mov_b32_e32 v123, 0
	s_waitcnt lgkmcnt(0)
	v_ashrrev_i32_e32 v8, s15, v8
	v_and_b32_e32 v164, 0x3030303, v8
	v_ashrrev_i32_e32 v8, s15, v9
	v_and_b32_e32 v165, 0x3030303, v8
	ds_read2_b32 v[8:9], v10 offset0:6 offset1:7
	v_mov_b32_e32 v199, 0
	v_dot4c_i32_i8_e32 v122, v168, v5
	v_dot4c_i32_i8_e32 v123, v164, v0
	;; [unrolled: 1-line block ×3, first 2 shown]
	s_waitcnt lgkmcnt(0)
	v_ashrrev_i32_e32 v8, s15, v8
	v_and_b32_e32 v166, 0x3030303, v8
	v_ashrrev_i32_e32 v8, s15, v9
	v_and_b32_e32 v167, 0x3030303, v8
	v_add3_u32 v8, s17, v149, v150
	ds_read_b32 v8, v8
	v_dot4c_i32_i8_e32 v123, v165, v1
	v_dot4c_i32_i8_e32 v122, v170, v7
	;; [unrolled: 1-line block ×4, first 2 shown]
	s_waitcnt lgkmcnt(0)
	v_cvt_f32_f16_e32 v108, v8
	v_cvt_f32_f16_sdwa v110, v8 dst_sel:DWORD dst_unused:UNUSED_PAD src0_sel:WORD_1
	v_add_u32_e32 v8, 0x1080, v10
	ds_read2_b32 v[8:9], v8 offset1:1
	v_add_u32_e32 v197, s16, v132
	v_add_u32_e32 v201, s16, v134
	;; [unrolled: 1-line block ×3, first 2 shown]
	v_mov_b32_e32 v209, 0
	s_waitcnt lgkmcnt(0)
	v_ashrrev_i32_e32 v8, s15, v8
	v_and_b32_e32 v191, 0x3030303, v8
	v_ashrrev_i32_e32 v8, s15, v9
	v_and_b32_e32 v185, 0x3030303, v8
	v_add_u32_e32 v8, 0x1088, v10
	ds_read2_b32 v[8:9], v8 offset1:1
	v_mov_b32_e32 v212, 0
	v_mov_b32_e32 v202, 0
	v_dot4c_i32_i8_e32 v202, v191, v4
	v_mov_b32_e32 v203, 0
	s_waitcnt lgkmcnt(0)
	v_ashrrev_i32_e32 v8, s15, v8
	v_and_b32_e32 v189, 0x3030303, v8
	v_ashrrev_i32_e32 v8, s15, v9
	v_and_b32_e32 v190, 0x3030303, v8
	v_add_u32_e32 v8, 0x1090, v10
	ds_read2_b32 v[8:9], v8 offset1:1
	v_dot4c_i32_i8_e32 v202, v185, v5
	v_dot4c_i32_i8_e32 v202, v189, v6
	;; [unrolled: 1-line block ×3, first 2 shown]
	v_mov_b32_e32 v213, 0
	s_waitcnt lgkmcnt(0)
	v_ashrrev_i32_e32 v8, s15, v8
	v_and_b32_e32 v180, 0x3030303, v8
	v_ashrrev_i32_e32 v8, s15, v9
	v_and_b32_e32 v181, 0x3030303, v8
	v_add_u32_e32 v8, 0x1098, v10
	ds_read2_b32 v[8:9], v8 offset1:1
	v_dot4c_i32_i8_e32 v203, v180, v0
	v_dot4c_i32_i8_e32 v203, v181, v1
	v_mov_b32_e32 v205, 0
	v_mov_b32_e32 v208, 0
	s_waitcnt lgkmcnt(0)
	v_ashrrev_i32_e32 v8, s15, v8
	v_and_b32_e32 v182, 0x3030303, v8
	v_ashrrev_i32_e32 v8, s15, v9
	v_and_b32_e32 v183, 0x3030303, v8
	v_add3_u32 v8, s17, v151, v152
	ds_read_b32 v8, v8
	v_dot4c_i32_i8_e32 v203, v182, v2
	v_dot4c_i32_i8_e32 v203, v183, v3
	v_mov_b32_e32 v206, 0
	v_mov_b32_e32 v207, 0
	s_waitcnt lgkmcnt(0)
	v_cvt_f32_f16_e32 v116, v8
	v_cvt_f32_f16_sdwa v118, v8 dst_sel:DWORD dst_unused:UNUSED_PAD src0_sel:WORD_1
	v_add_u32_e32 v8, 0x2100, v10
	ds_read2_b32 v[8:9], v8 offset1:1
	s_waitcnt lgkmcnt(0)
	v_ashrrev_i32_e32 v8, s15, v8
	v_and_b32_e32 v179, 0x3030303, v8
	v_ashrrev_i32_e32 v8, s15, v9
	v_and_b32_e32 v176, 0x3030303, v8
	v_add_u32_e32 v8, 0x2108, v10
	ds_read2_b32 v[8:9], v8 offset1:1
	v_dot4c_i32_i8_e32 v205, v179, v4
	v_dot4c_i32_i8_e32 v205, v176, v5
	s_waitcnt lgkmcnt(0)
	v_ashrrev_i32_e32 v8, s15, v8
	v_and_b32_e32 v177, 0x3030303, v8
	v_ashrrev_i32_e32 v8, s15, v9
	v_and_b32_e32 v178, 0x3030303, v8
	v_add_u32_e32 v8, 0x2110, v10
	ds_read2_b32 v[8:9], v8 offset1:1
	v_dot4c_i32_i8_e32 v205, v177, v6
	v_dot4c_i32_i8_e32 v205, v178, v7
	;; [unrolled: 9-line block ×3, first 2 shown]
	s_waitcnt lgkmcnt(0)
	v_ashrrev_i32_e32 v8, s15, v8
	v_and_b32_e32 v174, 0x3030303, v8
	v_ashrrev_i32_e32 v8, s15, v9
	v_and_b32_e32 v175, 0x3030303, v8
	v_add3_u32 v8, s17, v153, v154
	ds_read_b32 v8, v8
	v_dot4c_i32_i8_e32 v208, v174, v2
	v_dot4c_i32_i8_e32 v208, v175, v3
	s_waitcnt lgkmcnt(0)
	v_cvt_f32_f16_e32 v112, v8
	v_cvt_f32_f16_sdwa v114, v8 dst_sel:DWORD dst_unused:UNUSED_PAD src0_sel:WORD_1
	v_add_u32_e32 v8, 0x3180, v10
	ds_read2_b32 v[8:9], v8 offset1:1
	s_waitcnt lgkmcnt(0)
	v_ashrrev_i32_e32 v8, s15, v8
	v_and_b32_e32 v186, 0x3030303, v8
	v_ashrrev_i32_e32 v8, s15, v9
	v_and_b32_e32 v184, 0x3030303, v8
	v_add_u32_e32 v8, 0x3188, v10
	ds_read2_b32 v[8:9], v8 offset1:1
	v_dot4c_i32_i8_e32 v206, v186, v4
	v_dot4c_i32_i8_e32 v206, v184, v5
	s_waitcnt lgkmcnt(0)
	v_ashrrev_i32_e32 v8, s15, v8
	v_and_b32_e32 v187, 0x3030303, v8
	v_ashrrev_i32_e32 v8, s15, v9
	v_and_b32_e32 v188, 0x3030303, v8
	v_add_u32_e32 v8, 0x3190, v10
	ds_read2_b32 v[8:9], v8 offset1:1
	v_dot4c_i32_i8_e32 v206, v187, v6
	v_dot4c_i32_i8_e32 v206, v188, v7
	;; [unrolled: 9-line block ×3, first 2 shown]
	s_waitcnt lgkmcnt(0)
	v_ashrrev_i32_e32 v8, s15, v8
	v_and_b32_e32 v162, 0x3030303, v8
	v_ashrrev_i32_e32 v8, s15, v9
	v_and_b32_e32 v163, 0x3030303, v8
	v_add3_u32 v8, s17, v155, v156
	ds_read_b32 v8, v8
	v_dot4c_i32_i8_e32 v207, v162, v2
	v_dot4c_i32_i8_e32 v207, v163, v3
	s_waitcnt lgkmcnt(0)
	v_cvt_f32_f16_e32 v104, v8
	v_cvt_f32_f16_sdwa v106, v8 dst_sel:DWORD dst_unused:UNUSED_PAD src0_sel:WORD_1
	ds_read_b128 v[12:15], v113 offset:1024
	ds_read_b128 v[8:11], v113 offset:1040
	ds_read_u16 v195, v193
	s_waitcnt lgkmcnt(2)
	v_dot4c_i32_i8_e32 v199, v171, v12
	s_waitcnt lgkmcnt(1)
	v_dot4c_i32_i8_e32 v198, v164, v8
	s_waitcnt lgkmcnt(0)
	v_bfe_u32 v193, v195, 4, 4
	v_mul_lo_u32 v193, v193, s9
	v_dot4c_i32_i8_e32 v200, v193, v4
	v_dot4c_i32_i8_e32 v204, v193, v12
	;; [unrolled: 1-line block ×5, first 2 shown]
	v_lshrrev_b32_sdwa v194, v157, v195 dst_sel:DWORD dst_unused:UNUSED_PAD src0_sel:DWORD src1_sel:BYTE_1
	v_dot4c_i32_i8_e32 v204, v193, v14
	v_dot4c_i32_i8_e32 v198, v165, v9
	;; [unrolled: 1-line block ×3, first 2 shown]
	v_mul_lo_u32 v194, v194, s9
	v_dot4c_i32_i8_e32 v204, v193, v15
	v_dot4c_i32_i8_e32 v199, v168, v13
	;; [unrolled: 1-line block ×4, first 2 shown]
	v_and_b32_e32 v196, 15, v195
	v_and_b32_sdwa v195, v195, v158 dst_sel:DWORD dst_unused:UNUSED_PAD src0_sel:BYTE_1 src1_sel:DWORD
	v_dot4c_i32_i8_e32 v204, v194, v8
	v_dot4c_i32_i8_e32 v199, v169, v14
	;; [unrolled: 1-line block ×4, first 2 shown]
	v_and_b32_e32 v195, 0xffff, v195
	v_and_b32_e32 v196, 0xffff, v196
	v_dot4c_i32_i8_e32 v204, v194, v9
	v_dot4c_i32_i8_e32 v199, v170, v15
	;; [unrolled: 1-line block ×4, first 2 shown]
	v_mul_lo_u32 v122, v122, v196
	v_mul_lo_u32 v198, v198, v195
	v_dot4c_i32_i8_e32 v200, v194, v3
	v_dot4c_i32_i8_e32 v204, v194, v11
	v_mad_u64_u32 v[198:199], s[16:17], v199, v196, v[198:199]
	v_mad_u64_u32 v[122:123], s[16:17], v123, v195, v[122:123]
	v_cvt_f32_i32_e32 v123, v122
	v_cvt_f32_i32_e32 v122, v198
	v_cvt_f32_i32_e32 v199, v200
	v_cvt_f32_i32_e32 v198, v204
	v_mov_b32_e32 v204, 0
	v_dot4c_i32_i8_e32 v204, v180, v8
	v_dot4c_i32_i8_e32 v204, v181, v9
	v_pk_mul_f32 v[198:199], v[110:111], v[198:199] op_sel_hi:[0,1]
	v_pk_fma_f32 v[198:199], v[108:109], v[122:123], v[198:199] op_sel_hi:[0,1,1] neg_lo:[0,0,1] neg_hi:[0,0,1]
	v_mov_b32_e32 v123, v120
	ds_read_u16 v120, v197
	v_mov_b32_e32 v122, v121
	v_pk_fma_f32 v[40:41], v[122:123], v[198:199], v[40:41]
	v_mov_b32_e32 v121, 0
	v_dot4c_i32_i8_e32 v121, v191, v12
	s_waitcnt lgkmcnt(0)
	v_bfe_u32 v197, v120, 4, 4
	v_mul_lo_u32 v197, v197, s9
	v_dot4c_i32_i8_e32 v209, v197, v4
	v_dot4c_i32_i8_e32 v212, v197, v12
	;; [unrolled: 1-line block ×5, first 2 shown]
	v_lshrrev_b32_sdwa v198, v157, v120 dst_sel:DWORD dst_unused:UNUSED_PAD src0_sel:DWORD src1_sel:BYTE_1
	v_dot4c_i32_i8_e32 v212, v197, v14
	v_dot4c_i32_i8_e32 v209, v197, v7
	v_mul_lo_u32 v198, v198, s9
	v_dot4c_i32_i8_e32 v212, v197, v15
	v_dot4c_i32_i8_e32 v209, v198, v0
	;; [unrolled: 1-line block ×6, first 2 shown]
	v_and_b32_e32 v200, 15, v120
	v_and_b32_sdwa v120, v120, v158 dst_sel:DWORD dst_unused:UNUSED_PAD src0_sel:BYTE_1 src1_sel:DWORD
	v_dot4c_i32_i8_e32 v212, v198, v9
	v_dot4c_i32_i8_e32 v121, v189, v14
	;; [unrolled: 1-line block ×4, first 2 shown]
	v_and_b32_e32 v199, 0xffff, v120
	v_and_b32_e32 v200, 0xffff, v200
	v_dot4c_i32_i8_e32 v212, v198, v10
	v_dot4c_i32_i8_e32 v121, v190, v15
	;; [unrolled: 1-line block ×4, first 2 shown]
	v_mul_lo_u32 v120, v202, v200
	v_mul_lo_u32 v202, v204, v199
	v_mad_u64_u32 v[210:211], s[16:17], v121, v200, v[202:203]
	v_mad_u64_u32 v[120:121], s[16:17], v203, v199, v[120:121]
	v_cvt_f32_i32_e32 v203, v209
	v_cvt_f32_i32_e32 v202, v212
	;; [unrolled: 1-line block ×4, first 2 shown]
	v_mov_b32_e32 v212, 0
	v_pk_mul_f32 v[202:203], v[118:119], v[202:203] op_sel_hi:[0,1]
	v_mov_b32_e32 v209, 0
	v_pk_fma_f32 v[120:121], v[116:117], v[120:121], v[202:203] op_sel_hi:[0,1,1] neg_lo:[0,0,1] neg_hi:[0,0,1]
	v_pk_fma_f32 v[92:93], v[122:123], v[120:121], v[92:93]
	ds_read_u16 v120, v201
	v_mov_b32_e32 v121, 0
	v_dot4c_i32_i8_e32 v209, v172, v8
	v_dot4c_i32_i8_e32 v121, v179, v12
	;; [unrolled: 1-line block ×3, first 2 shown]
	s_waitcnt lgkmcnt(0)
	v_bfe_u32 v201, v120, 4, 4
	v_mul_lo_u32 v201, v201, s9
	v_dot4c_i32_i8_e32 v212, v201, v4
	v_dot4c_i32_i8_e32 v213, v201, v12
	;; [unrolled: 1-line block ×5, first 2 shown]
	v_lshrrev_b32_sdwa v202, v157, v120 dst_sel:DWORD dst_unused:UNUSED_PAD src0_sel:DWORD src1_sel:BYTE_1
	v_dot4c_i32_i8_e32 v213, v201, v14
	v_dot4c_i32_i8_e32 v212, v201, v7
	v_mul_lo_u32 v202, v202, s9
	v_dot4c_i32_i8_e32 v213, v201, v15
	v_dot4c_i32_i8_e32 v212, v202, v0
	;; [unrolled: 1-line block ×6, first 2 shown]
	v_and_b32_e32 v204, 15, v120
	v_and_b32_sdwa v120, v120, v158 dst_sel:DWORD dst_unused:UNUSED_PAD src0_sel:BYTE_1 src1_sel:DWORD
	v_dot4c_i32_i8_e32 v213, v202, v9
	v_dot4c_i32_i8_e32 v121, v177, v14
	;; [unrolled: 1-line block ×4, first 2 shown]
	v_and_b32_e32 v203, 0xffff, v120
	v_and_b32_e32 v204, 0xffff, v204
	v_dot4c_i32_i8_e32 v213, v202, v10
	v_dot4c_i32_i8_e32 v121, v178, v15
	;; [unrolled: 1-line block ×4, first 2 shown]
	v_mul_lo_u32 v120, v205, v204
	v_mul_lo_u32 v210, v209, v203
	v_mad_u64_u32 v[210:211], s[16:17], v121, v204, v[210:211]
	v_mad_u64_u32 v[120:121], s[16:17], v208, v203, v[120:121]
	v_cvt_f32_i32_e32 v209, v212
	v_cvt_f32_i32_e32 v208, v213
	;; [unrolled: 1-line block ×4, first 2 shown]
	v_mov_b32_e32 v210, 0
	v_pk_mul_f32 v[208:209], v[114:115], v[208:209] op_sel_hi:[0,1]
	v_mov_b32_e32 v211, 0
	v_pk_fma_f32 v[120:121], v[112:113], v[120:121], v[208:209] op_sel_hi:[0,1,1] neg_lo:[0,0,1] neg_hi:[0,0,1]
	v_pk_fma_f32 v[98:99], v[122:123], v[120:121], v[98:99]
	ds_read_u16 v121, v192
	v_mov_b32_e32 v209, 0
	v_mov_b32_e32 v208, 0
	v_dot4c_i32_i8_e32 v209, v160, v8
	v_dot4c_i32_i8_e32 v208, v186, v12
	s_waitcnt lgkmcnt(0)
	v_bfe_u32 v120, v121, 4, 4
	v_mul_lo_u32 v205, v120, s9
	v_dot4c_i32_i8_e32 v210, v205, v4
	v_lshrrev_b32_sdwa v4, v157, v121 dst_sel:DWORD dst_unused:UNUSED_PAD src0_sel:DWORD src1_sel:BYTE_1
	v_mul_lo_u32 v120, v4, s9
	v_mov_b32_e32 v4, 0
	v_dot4c_i32_i8_e32 v210, v205, v5
	v_dot4c_i32_i8_e32 v4, v205, v12
	;; [unrolled: 1-line block ×12, first 2 shown]
	v_and_b32_e32 v0, 15, v121
	v_and_b32_sdwa v1, v121, v158 dst_sel:DWORD dst_unused:UNUSED_PAD src0_sel:BYTE_1 src1_sel:DWORD
	v_dot4c_i32_i8_e32 v4, v120, v8
	v_dot4c_i32_i8_e32 v208, v187, v14
	;; [unrolled: 1-line block ×3, first 2 shown]
	v_and_b32_e32 v121, 0xffff, v1
	v_and_b32_e32 v192, 0xffff, v0
	v_dot4c_i32_i8_e32 v4, v120, v9
	v_dot4c_i32_i8_e32 v208, v188, v15
	;; [unrolled: 1-line block ×4, first 2 shown]
	v_mul_lo_u32 v0, v206, v192
	v_mul_lo_u32 v2, v209, v121
	v_dot4c_i32_i8_e32 v210, v120, v3
	v_dot4c_i32_i8_e32 v4, v120, v11
	v_mad_u64_u32 v[2:3], s[16:17], v208, v192, v[2:3]
	v_mad_u64_u32 v[0:1], s[16:17], v207, v121, v[0:1]
	v_cvt_f32_i32_e32 v1, v0
	v_cvt_f32_i32_e32 v0, v2
	;; [unrolled: 1-line block ×4, first 2 shown]
	v_mov_b32_e32 v206, 0
	v_mov_b32_e32 v209, 0
	;; [unrolled: 1-line block ×3, first 2 shown]
	v_pk_mul_f32 v[2:3], v[106:107], v[2:3] op_sel_hi:[0,1]
	v_pk_fma_f32 v[0:1], v[104:105], v[0:1], v[2:3] op_sel_hi:[0,1,1] neg_lo:[0,0,1] neg_hi:[0,0,1]
	v_pk_fma_f32 v[102:103], v[122:123], v[0:1], v[102:103]
	ds_read2_b32 v[8:9], v115 offset0:64 offset1:96
	ds_read_b128 v[4:7], v113 offset:2048
	ds_read_b128 v[0:3], v113 offset:2064
	v_mov_b32_e32 v122, 0
	v_mov_b32_e32 v10, 0
	;; [unrolled: 1-line block ×3, first 2 shown]
	s_waitcnt lgkmcnt(1)
	v_dot4c_i32_i8_e32 v122, v193, v4
	v_dot4c_i32_i8_e32 v206, v197, v4
	;; [unrolled: 1-line block ×13, first 2 shown]
	v_mov_b32_e32 v123, 0
	v_dot4c_i32_i8_e32 v206, v197, v7
	v_mov_b32_e32 v207, 0
	v_mov_b32_e32 v208, 0
	v_dot4c_i32_i8_e32 v209, v201, v7
	v_mov_b32_e32 v210, 0
	v_mov_b32_e32 v13, 0
	v_dot4c_i32_i8_e32 v12, v205, v7
	v_dot4c_i32_i8_e32 v10, v171, v4
	s_waitcnt lgkmcnt(0)
	v_dot4c_i32_i8_e32 v11, v164, v0
	v_dot4c_i32_i8_e32 v122, v194, v0
	v_dot4c_i32_i8_e32 v123, v191, v4
	v_dot4c_i32_i8_e32 v207, v180, v0
	v_dot4c_i32_i8_e32 v206, v198, v0
	v_dot4c_i32_i8_e32 v208, v179, v4
	v_dot4c_i32_i8_e32 v210, v172, v0
	v_dot4c_i32_i8_e32 v209, v202, v0
	v_dot4c_i32_i8_e32 v13, v186, v4
	v_dot4c_i32_i8_e32 v211, v160, v0
	v_dot4c_i32_i8_e32 v12, v120, v0
	v_dot4c_i32_i8_e32 v10, v168, v5
	v_dot4c_i32_i8_e32 v11, v165, v1
	v_dot4c_i32_i8_e32 v122, v194, v1
	v_dot4c_i32_i8_e32 v123, v185, v5
	v_dot4c_i32_i8_e32 v207, v181, v1
	v_dot4c_i32_i8_e32 v206, v198, v1
	v_dot4c_i32_i8_e32 v208, v176, v5
	v_dot4c_i32_i8_e32 v210, v173, v1
	v_dot4c_i32_i8_e32 v209, v202, v1
	v_dot4c_i32_i8_e32 v13, v184, v5
	v_dot4c_i32_i8_e32 v211, v161, v1
	v_dot4c_i32_i8_e32 v12, v120, v1
	v_dot4c_i32_i8_e32 v10, v169, v6
	v_dot4c_i32_i8_e32 v11, v166, v2
	v_dot4c_i32_i8_e32 v122, v194, v2
	v_dot4c_i32_i8_e32 v123, v189, v6
	v_dot4c_i32_i8_e32 v207, v182, v2
	v_dot4c_i32_i8_e32 v206, v198, v2
	v_dot4c_i32_i8_e32 v208, v177, v6
	v_dot4c_i32_i8_e32 v210, v174, v2
	v_dot4c_i32_i8_e32 v209, v202, v2
	v_dot4c_i32_i8_e32 v13, v187, v6
	v_dot4c_i32_i8_e32 v211, v162, v2
	v_dot4c_i32_i8_e32 v12, v120, v2
	v_dot4c_i32_i8_e32 v10, v170, v7
	v_dot4c_i32_i8_e32 v11, v167, v3
	v_dot4c_i32_i8_e32 v122, v194, v3
	v_dot4c_i32_i8_e32 v123, v190, v7
	v_dot4c_i32_i8_e32 v207, v183, v3
	v_dot4c_i32_i8_e32 v206, v198, v3
	v_dot4c_i32_i8_e32 v208, v178, v7
	v_dot4c_i32_i8_e32 v210, v175, v3
	v_dot4c_i32_i8_e32 v209, v202, v3
	v_dot4c_i32_i8_e32 v13, v188, v7
	v_dot4c_i32_i8_e32 v211, v163, v3
	v_dot4c_i32_i8_e32 v12, v120, v3
	ds_read_b128 v[4:7], v113 offset:3072
	ds_read_b128 v[0:3], v113 offset:3088
	v_mov_b32_e32 v212, 0
	v_mov_b32_e32 v14, 0
	;; [unrolled: 1-line block ×3, first 2 shown]
	s_waitcnt lgkmcnt(1)
	v_dot4c_i32_i8_e32 v212, v193, v4
	v_dot4c_i32_i8_e32 v212, v193, v5
	v_dot4c_i32_i8_e32 v212, v193, v6
	s_waitcnt lgkmcnt(0)
	v_dot4c_i32_i8_e32 v14, v164, v0
	v_dot4c_i32_i8_e32 v15, v171, v4
	v_dot4c_i32_i8_e32 v212, v193, v7
	v_dot4c_i32_i8_e32 v14, v165, v1
	v_dot4c_i32_i8_e32 v15, v168, v5
	v_dot4c_i32_i8_e32 v212, v194, v0
	v_dot4c_i32_i8_e32 v14, v166, v2
	v_dot4c_i32_i8_e32 v15, v169, v6
	v_dot4c_i32_i8_e32 v212, v194, v1
	v_dot4c_i32_i8_e32 v14, v167, v3
	v_dot4c_i32_i8_e32 v15, v170, v7
	v_dot4c_i32_i8_e32 v212, v194, v2
	v_mul_lo_u32 v10, v10, v196
	v_mul_lo_u32 v14, v14, v195
	v_dot4c_i32_i8_e32 v212, v194, v3
	v_mad_u64_u32 v[14:15], s[16:17], v15, v196, v[14:15]
	v_mad_u64_u32 v[10:11], s[16:17], v11, v195, v[10:11]
	v_cvt_f32_i32_e32 v11, v10
	v_cvt_f32_i32_e32 v10, v14
	;; [unrolled: 1-line block ×4, first 2 shown]
	v_mov_b32_e32 v122, 0
	v_dot4c_i32_i8_e32 v122, v197, v4
	v_dot4c_i32_i8_e32 v122, v197, v5
	v_pk_mul_f32 v[14:15], v[110:111], v[14:15] op_sel_hi:[0,1]
	v_pk_fma_f32 v[14:15], v[108:109], v[10:11], v[14:15] op_sel_hi:[0,1,1] neg_lo:[0,0,1] neg_hi:[0,0,1]
	v_mov_b32_e32 v10, v9
	v_mov_b32_e32 v11, v8
	v_pk_fma_f32 v[74:75], v[10:11], v[14:15], v[74:75]
	v_mov_b32_e32 v14, 0
	v_mov_b32_e32 v9, 0
	v_dot4c_i32_i8_e32 v122, v197, v6
	v_dot4c_i32_i8_e32 v14, v180, v0
	;; [unrolled: 1-line block ×13, first 2 shown]
	v_mul_lo_u32 v8, v123, v200
	v_mul_lo_u32 v14, v14, v199
	v_dot4c_i32_i8_e32 v122, v198, v3
	v_mad_u64_u32 v[14:15], s[16:17], v9, v200, v[14:15]
	v_mad_u64_u32 v[8:9], s[16:17], v207, v199, v[8:9]
	v_cvt_f32_i32_e32 v9, v8
	v_cvt_f32_i32_e32 v8, v14
	;; [unrolled: 1-line block ×4, first 2 shown]
	v_mov_b32_e32 v122, 0
	v_dot4c_i32_i8_e32 v122, v201, v4
	v_dot4c_i32_i8_e32 v122, v201, v5
	v_pk_mul_f32 v[14:15], v[118:119], v[14:15] op_sel_hi:[0,1]
	v_pk_fma_f32 v[8:9], v[116:117], v[8:9], v[14:15] op_sel_hi:[0,1,1] neg_lo:[0,0,1] neg_hi:[0,0,1]
	v_mov_b32_e32 v14, 0
	v_pk_fma_f32 v[86:87], v[10:11], v[8:9], v[86:87]
	v_mov_b32_e32 v9, 0
	v_dot4c_i32_i8_e32 v122, v201, v6
	v_dot4c_i32_i8_e32 v14, v172, v0
	v_dot4c_i32_i8_e32 v9, v179, v4
	v_dot4c_i32_i8_e32 v122, v201, v7
	v_dot4c_i32_i8_e32 v14, v173, v1
	v_dot4c_i32_i8_e32 v9, v176, v5
	v_dot4c_i32_i8_e32 v122, v202, v0
	v_dot4c_i32_i8_e32 v14, v174, v2
	v_dot4c_i32_i8_e32 v9, v177, v6
	v_dot4c_i32_i8_e32 v122, v202, v1
	v_dot4c_i32_i8_e32 v14, v175, v3
	v_dot4c_i32_i8_e32 v9, v178, v7
	v_dot4c_i32_i8_e32 v122, v202, v2
	v_mul_lo_u32 v8, v208, v204
	v_mul_lo_u32 v14, v14, v203
	v_dot4c_i32_i8_e32 v122, v202, v3
	v_mad_u64_u32 v[14:15], s[16:17], v9, v204, v[14:15]
	v_mad_u64_u32 v[8:9], s[16:17], v210, v203, v[8:9]
	v_cvt_f32_i32_e32 v9, v8
	v_cvt_f32_i32_e32 v8, v14
	;; [unrolled: 1-line block ×4, first 2 shown]
	v_mov_b32_e32 v209, 0
	v_mov_b32_e32 v206, 0
	;; [unrolled: 1-line block ×3, first 2 shown]
	v_pk_mul_f32 v[14:15], v[114:115], v[14:15] op_sel_hi:[0,1]
	v_pk_fma_f32 v[8:9], v[112:113], v[8:9], v[14:15] op_sel_hi:[0,1,1] neg_lo:[0,0,1] neg_hi:[0,0,1]
	v_pk_fma_f32 v[94:95], v[10:11], v[8:9], v[94:95]
	v_mov_b32_e32 v9, 0
	v_mov_b32_e32 v8, 0
	v_dot4c_i32_i8_e32 v9, v205, v4
	v_dot4c_i32_i8_e32 v8, v186, v4
	v_dot4c_i32_i8_e32 v9, v205, v5
	v_mov_b32_e32 v4, 0
	v_dot4c_i32_i8_e32 v9, v205, v6
	v_dot4c_i32_i8_e32 v4, v160, v0
	;; [unrolled: 1-line block ×12, first 2 shown]
	v_mul_lo_u32 v0, v13, v192
	v_mul_lo_u32 v2, v4, v121
	v_dot4c_i32_i8_e32 v9, v120, v3
	v_mad_u64_u32 v[2:3], s[16:17], v8, v192, v[2:3]
	v_mad_u64_u32 v[0:1], s[16:17], v211, v121, v[0:1]
	v_cvt_f32_i32_e32 v1, v0
	v_cvt_f32_i32_e32 v0, v2
	;; [unrolled: 1-line block ×4, first 2 shown]
	v_mov_b32_e32 v15, 0
	v_mov_b32_e32 v12, 0
	;; [unrolled: 1-line block ×3, first 2 shown]
	v_pk_mul_f32 v[2:3], v[106:107], v[2:3] op_sel_hi:[0,1]
	v_pk_fma_f32 v[0:1], v[104:105], v[0:1], v[2:3] op_sel_hi:[0,1,1] neg_lo:[0,0,1] neg_hi:[0,0,1]
	v_pk_fma_f32 v[100:101], v[10:11], v[0:1], v[100:101]
	ds_read2_b32 v[10:11], v115 offset0:128 offset1:160
	ds_read_b128 v[4:7], v113 offset:4096
	ds_read_b128 v[0:3], v113 offset:4112
	v_mov_b32_e32 v9, 0
	v_mov_b32_e32 v208, 0
	;; [unrolled: 1-line block ×3, first 2 shown]
	s_waitcnt lgkmcnt(1)
	v_dot4c_i32_i8_e32 v209, v193, v4
	v_dot4c_i32_i8_e32 v206, v197, v4
	;; [unrolled: 1-line block ×15, first 2 shown]
	v_mov_b32_e32 v123, 0
	v_mov_b32_e32 v13, 0
	v_dot4c_i32_i8_e32 v12, v205, v7
	v_mov_b32_e32 v14, 0
	v_dot4c_i32_i8_e32 v8, v171, v4
	s_waitcnt lgkmcnt(0)
	v_dot4c_i32_i8_e32 v9, v164, v0
	v_dot4c_i32_i8_e32 v209, v194, v0
	;; [unrolled: 1-line block ×47, first 2 shown]
	ds_read_b128 v[4:7], v113 offset:5120
	ds_read_b128 v[0:3], v113 offset:5136
	v_mov_b32_e32 v212, 0
	v_mov_b32_e32 v210, 0
	v_mov_b32_e32 v211, 0
	s_waitcnt lgkmcnt(1)
	v_dot4c_i32_i8_e32 v212, v193, v4
	v_dot4c_i32_i8_e32 v212, v193, v5
	v_dot4c_i32_i8_e32 v212, v193, v6
	s_waitcnt lgkmcnt(0)
	v_dot4c_i32_i8_e32 v210, v164, v0
	v_dot4c_i32_i8_e32 v211, v171, v4
	v_dot4c_i32_i8_e32 v212, v193, v7
	v_dot4c_i32_i8_e32 v210, v165, v1
	v_dot4c_i32_i8_e32 v211, v168, v5
	v_dot4c_i32_i8_e32 v212, v194, v0
	v_dot4c_i32_i8_e32 v210, v166, v2
	v_dot4c_i32_i8_e32 v211, v169, v6
	v_dot4c_i32_i8_e32 v212, v194, v1
	v_dot4c_i32_i8_e32 v210, v167, v3
	v_dot4c_i32_i8_e32 v211, v170, v7
	v_dot4c_i32_i8_e32 v212, v194, v2
	v_mul_lo_u32 v8, v8, v196
	v_mul_lo_u32 v210, v210, v195
	v_dot4c_i32_i8_e32 v212, v194, v3
	v_mad_u64_u32 v[210:211], s[16:17], v211, v196, v[210:211]
	v_mad_u64_u32 v[8:9], s[16:17], v9, v195, v[8:9]
	v_cvt_f32_i32_e32 v9, v8
	v_cvt_f32_i32_e32 v8, v210
	;; [unrolled: 1-line block ×4, first 2 shown]
	v_mov_b32_e32 v209, 0
	v_dot4c_i32_i8_e32 v209, v197, v4
	v_dot4c_i32_i8_e32 v209, v197, v5
	v_pk_mul_f32 v[210:211], v[110:111], v[210:211] op_sel_hi:[0,1]
	v_pk_fma_f32 v[210:211], v[108:109], v[8:9], v[210:211] op_sel_hi:[0,1,1] neg_lo:[0,0,1] neg_hi:[0,0,1]
	v_mov_b32_e32 v8, v11
	v_mov_b32_e32 v9, v10
	v_pk_fma_f32 v[66:67], v[8:9], v[210:211], v[66:67]
	v_dot4c_i32_i8_e32 v209, v197, v6
	v_mov_b32_e32 v210, 0
	v_mov_b32_e32 v11, 0
	v_dot4c_i32_i8_e32 v209, v197, v7
	v_dot4c_i32_i8_e32 v210, v180, v0
	v_dot4c_i32_i8_e32 v11, v191, v4
	v_dot4c_i32_i8_e32 v209, v198, v0
	v_dot4c_i32_i8_e32 v210, v181, v1
	v_dot4c_i32_i8_e32 v11, v185, v5
	v_dot4c_i32_i8_e32 v209, v198, v1
	v_dot4c_i32_i8_e32 v210, v182, v2
	v_dot4c_i32_i8_e32 v11, v189, v6
	v_dot4c_i32_i8_e32 v209, v198, v2
	v_dot4c_i32_i8_e32 v210, v183, v3
	v_dot4c_i32_i8_e32 v11, v190, v7
	v_dot4c_i32_i8_e32 v209, v198, v3
	v_mul_lo_u32 v10, v207, v200
	v_mul_lo_u32 v210, v210, v199
	v_mad_u64_u32 v[210:211], s[16:17], v11, v200, v[210:211]
	v_mad_u64_u32 v[10:11], s[16:17], v208, v199, v[10:11]
	v_cvt_f32_i32_e32 v207, v206
	v_cvt_f32_i32_e32 v206, v209
	;; [unrolled: 1-line block ×4, first 2 shown]
	v_mov_b32_e32 v208, 0
	v_dot4c_i32_i8_e32 v208, v201, v4
	v_pk_mul_f32 v[206:207], v[118:119], v[206:207] op_sel_hi:[0,1]
	v_dot4c_i32_i8_e32 v208, v201, v5
	v_pk_fma_f32 v[10:11], v[116:117], v[10:11], v[206:207] op_sel_hi:[0,1,1] neg_lo:[0,0,1] neg_hi:[0,0,1]
	v_dot4c_i32_i8_e32 v208, v201, v6
	v_mov_b32_e32 v206, 0
	v_pk_fma_f32 v[76:77], v[8:9], v[10:11], v[76:77]
	v_mov_b32_e32 v11, 0
	v_dot4c_i32_i8_e32 v208, v201, v7
	v_dot4c_i32_i8_e32 v206, v172, v0
	;; [unrolled: 1-line block ×13, first 2 shown]
	v_mul_lo_u32 v10, v122, v204
	v_mul_lo_u32 v122, v206, v203
	v_mad_u64_u32 v[206:207], s[16:17], v11, v204, v[122:123]
	v_mad_u64_u32 v[10:11], s[16:17], v123, v203, v[10:11]
	v_cvt_f32_i32_e32 v123, v15
	v_cvt_f32_i32_e32 v122, v208
	;; [unrolled: 1-line block ×4, first 2 shown]
	v_mov_b32_e32 v208, 0
	v_pk_mul_f32 v[122:123], v[114:115], v[122:123] op_sel_hi:[0,1]
	v_mov_b32_e32 v207, 0
	v_pk_fma_f32 v[10:11], v[112:113], v[10:11], v[122:123] op_sel_hi:[0,1,1] neg_lo:[0,0,1] neg_hi:[0,0,1]
	v_pk_fma_f32 v[88:89], v[8:9], v[10:11], v[88:89]
	v_mov_b32_e32 v11, 0
	v_mov_b32_e32 v10, 0
	v_dot4c_i32_i8_e32 v11, v205, v4
	v_dot4c_i32_i8_e32 v10, v186, v4
	;; [unrolled: 1-line block ×3, first 2 shown]
	v_mov_b32_e32 v4, 0
	v_dot4c_i32_i8_e32 v11, v205, v6
	v_dot4c_i32_i8_e32 v4, v160, v0
	;; [unrolled: 1-line block ×12, first 2 shown]
	v_mul_lo_u32 v0, v13, v192
	v_mul_lo_u32 v2, v4, v121
	v_dot4c_i32_i8_e32 v11, v120, v3
	v_mad_u64_u32 v[2:3], s[16:17], v10, v192, v[2:3]
	v_mad_u64_u32 v[0:1], s[16:17], v14, v121, v[0:1]
	v_cvt_f32_i32_e32 v1, v0
	v_cvt_f32_i32_e32 v0, v2
	;; [unrolled: 1-line block ×4, first 2 shown]
	v_mov_b32_e32 v122, 0
	v_mov_b32_e32 v13, 0
	v_mov_b32_e32 v206, 0
	v_pk_mul_f32 v[2:3], v[106:107], v[2:3] op_sel_hi:[0,1]
	v_pk_fma_f32 v[0:1], v[104:105], v[0:1], v[2:3] op_sel_hi:[0,1,1] neg_lo:[0,0,1] neg_hi:[0,0,1]
	v_pk_fma_f32 v[96:97], v[8:9], v[0:1], v[96:97]
	ds_read2_b32 v[10:11], v115 offset0:192 offset1:224
	ds_read_b128 v[4:7], v113 offset:6144
	ds_read_b128 v[0:3], v113 offset:6160
	v_mov_b32_e32 v8, 0
	v_mov_b32_e32 v9, 0
	;; [unrolled: 1-line block ×3, first 2 shown]
	s_waitcnt lgkmcnt(1)
	v_dot4c_i32_i8_e32 v208, v193, v4
	v_dot4c_i32_i8_e32 v207, v197, v4
	;; [unrolled: 1-line block ×14, first 2 shown]
	v_mov_b32_e32 v15, 0
	v_dot4c_i32_i8_e32 v122, v201, v7
	v_mov_b32_e32 v123, 0
	v_mov_b32_e32 v12, 0
	v_dot4c_i32_i8_e32 v13, v205, v7
	v_mov_b32_e32 v14, 0
	v_dot4c_i32_i8_e32 v8, v171, v4
	s_waitcnt lgkmcnt(0)
	v_dot4c_i32_i8_e32 v9, v164, v0
	v_dot4c_i32_i8_e32 v208, v194, v0
	;; [unrolled: 1-line block ×47, first 2 shown]
	ds_read_b128 v[4:7], v113 offset:7168
	ds_read_b128 v[0:3], v113 offset:7184
	v_mov_b32_e32 v210, 0
	v_mul_lo_u32 v8, v8, v196
	v_mad_u64_u32 v[8:9], s[16:17], v9, v195, v[8:9]
	s_waitcnt lgkmcnt(1)
	v_dot4c_i32_i8_e32 v210, v171, v4
	v_mov_b32_e32 v171, 0
	v_dot4c_i32_i8_e32 v171, v193, v4
	v_dot4c_i32_i8_e32 v210, v168, v5
	;; [unrolled: 1-line block ×3, first 2 shown]
	v_mov_b32_e32 v168, 0
	v_dot4c_i32_i8_e32 v171, v193, v6
	s_waitcnt lgkmcnt(0)
	v_dot4c_i32_i8_e32 v168, v164, v0
	v_dot4c_i32_i8_e32 v171, v193, v7
	;; [unrolled: 1-line block ×11, first 2 shown]
	v_mul_lo_u32 v164, v168, v195
	v_mad_u64_u32 v[164:165], s[16:17], v210, v196, v[164:165]
	v_cvt_f32_i32_e32 v9, v8
	v_cvt_f32_i32_e32 v8, v164
	;; [unrolled: 1-line block ×4, first 2 shown]
	v_pk_mul_f32 v[164:165], v[110:111], v[164:165] op_sel_hi:[0,1]
	v_mov_b32_e32 v110, 0
	v_dot4c_i32_i8_e32 v110, v197, v4
	v_pk_fma_f32 v[164:165], v[108:109], v[8:9], v[164:165] op_sel_hi:[0,1,1] neg_lo:[0,0,1] neg_hi:[0,0,1]
	v_dot4c_i32_i8_e32 v110, v197, v5
	v_mov_b32_e32 v108, 0
	v_mov_b32_e32 v8, v11
	;; [unrolled: 1-line block ×3, first 2 shown]
	v_dot4c_i32_i8_e32 v110, v197, v6
	v_dot4c_i32_i8_e32 v108, v180, v0
	;; [unrolled: 1-line block ×11, first 2 shown]
	v_mov_b32_e32 v9, v10
	v_dot4c_i32_i8_e32 v11, v190, v7
	v_dot4c_i32_i8_e32 v110, v198, v2
	v_mul_lo_u32 v10, v206, v200
	v_mul_lo_u32 v108, v108, v199
	v_pk_fma_f32 v[58:59], v[8:9], v[164:165], v[58:59]
	v_dot4c_i32_i8_e32 v110, v198, v3
	v_mad_u64_u32 v[164:165], s[16:17], v11, v200, v[108:109]
	v_mad_u64_u32 v[10:11], s[16:17], v209, v199, v[10:11]
	v_cvt_f32_i32_e32 v11, v10
	v_cvt_f32_i32_e32 v10, v164
	;; [unrolled: 1-line block ×4, first 2 shown]
	v_mov_b32_e32 v110, 0
	v_dot4c_i32_i8_e32 v110, v201, v4
	v_dot4c_i32_i8_e32 v110, v201, v5
	v_pk_mul_f32 v[164:165], v[118:119], v[164:165] op_sel_hi:[0,1]
	v_pk_fma_f32 v[10:11], v[116:117], v[10:11], v[164:165] op_sel_hi:[0,1,1] neg_lo:[0,0,1] neg_hi:[0,0,1]
	v_dot4c_i32_i8_e32 v110, v201, v6
	v_mov_b32_e32 v108, 0
	v_pk_fma_f32 v[68:69], v[8:9], v[10:11], v[68:69]
	v_mov_b32_e32 v11, 0
	v_dot4c_i32_i8_e32 v110, v201, v7
	v_dot4c_i32_i8_e32 v108, v172, v0
	;; [unrolled: 1-line block ×13, first 2 shown]
	v_mul_lo_u32 v10, v15, v204
	v_mul_lo_u32 v108, v108, v203
	v_mad_u64_u32 v[164:165], s[16:17], v11, v204, v[108:109]
	v_mad_u64_u32 v[10:11], s[16:17], v123, v203, v[10:11]
	v_cvt_f32_i32_e32 v123, v122
	v_cvt_f32_i32_e32 v122, v110
	;; [unrolled: 1-line block ×4, first 2 shown]
	v_pk_mul_f32 v[122:123], v[114:115], v[122:123] op_sel_hi:[0,1]
	v_add_u32_e32 v115, 4, v115
	v_pk_fma_f32 v[10:11], v[112:113], v[10:11], v[122:123] op_sel_hi:[0,1,1] neg_lo:[0,0,1] neg_hi:[0,0,1]
	v_pk_fma_f32 v[78:79], v[8:9], v[10:11], v[78:79]
	v_mov_b32_e32 v10, 0
	v_mov_b32_e32 v11, 0
	v_dot4c_i32_i8_e32 v10, v205, v4
	v_dot4c_i32_i8_e32 v11, v186, v4
	;; [unrolled: 1-line block ×3, first 2 shown]
	v_mov_b32_e32 v4, 0
	v_dot4c_i32_i8_e32 v10, v205, v6
	v_dot4c_i32_i8_e32 v4, v160, v0
	v_dot4c_i32_i8_e32 v10, v205, v7
	v_dot4c_i32_i8_e32 v4, v161, v1
	v_dot4c_i32_i8_e32 v11, v184, v5
	v_dot4c_i32_i8_e32 v10, v120, v0
	v_dot4c_i32_i8_e32 v4, v162, v2
	v_dot4c_i32_i8_e32 v11, v187, v6
	v_dot4c_i32_i8_e32 v10, v120, v1
	v_dot4c_i32_i8_e32 v4, v163, v3
	v_dot4c_i32_i8_e32 v11, v188, v7
	v_dot4c_i32_i8_e32 v10, v120, v2
	v_mul_lo_u32 v0, v12, v192
	v_mul_lo_u32 v2, v4, v121
	v_dot4c_i32_i8_e32 v10, v120, v3
	v_mad_u64_u32 v[2:3], s[16:17], v11, v192, v[2:3]
	v_mad_u64_u32 v[0:1], s[16:17], v14, v121, v[0:1]
	v_cvt_f32_i32_e32 v1, v0
	v_cvt_f32_i32_e32 v0, v2
	;; [unrolled: 1-line block ×4, first 2 shown]
	s_add_i32 s16, s15, 2
	v_add_u32_e32 v113, 32, v113
	s_cmp_lt_u32 s15, 6
	v_pk_mul_f32 v[2:3], v[106:107], v[2:3] op_sel_hi:[0,1]
	v_pk_fma_f32 v[0:1], v[104:105], v[0:1], v[2:3] op_sel_hi:[0,1,1] neg_lo:[0,0,1] neg_hi:[0,0,1]
	v_pk_fma_f32 v[90:91], v[8:9], v[0:1], v[90:91]
	s_mov_b32 s15, s16
	s_cbranch_scc1 .LBB147_7
; %bb.8:                                ;   in Loop: Header=BB147_6 Depth=1
	v_add_u32_e32 v14, s14, v119
	v_add_u32_e32 v0, v14, v81
	;; [unrolled: 1-line block ×6, first 2 shown]
	v_mad_i64_i32 v[0:1], s[16:17], v0, 36, v[38:39]
	v_mad_i64_i32 v[2:3], s[16:17], v2, 36, v[38:39]
	;; [unrolled: 1-line block ×4, first 2 shown]
	v_add_u32_e32 v8, v14, v107
	v_add_u32_e32 v10, v14, v109
	;; [unrolled: 1-line block ×4, first 2 shown]
	v_mad_u64_u32 v[112:113], s[16:17], v104, 36, s[2:3]
	s_barrier
	v_mad_i64_i32 v[8:9], s[16:17], v8, 36, v[38:39]
	v_mad_i64_i32 v[10:11], s[16:17], v10, 36, v[38:39]
	;; [unrolled: 1-line block ×4, first 2 shown]
	global_load_dword v104, v[112:113], off
	s_nop 0
	global_load_dword v0, v[0:1], off offset:4
	s_nop 0
	global_load_dword v1, v[2:3], off offset:4
	;; [unrolled: 2-line block ×3, first 2 shown]
	global_load_dword v3, v[6:7], off offset:4
	s_nop 0
	global_load_dword v4, v[8:9], off offset:4
	global_load_dword v5, v[10:11], off offset:4
	;; [unrolled: 1-line block ×4, first 2 shown]
	s_mov_b32 s15, 8
	v_mov_b32_e32 v113, v128
	v_mov_b32_e32 v115, v127
	s_waitcnt vmcnt(8)
	v_cvt_f32_f16_e32 v8, v104
	s_waitcnt vmcnt(7)
	ds_write_b32 v141, v0
	s_waitcnt vmcnt(6)
	ds_write_b32 v142, v1
	;; [unrolled: 2-line block ×8, first 2 shown]
	ds_write_b32 v37, v8
	s_waitcnt lgkmcnt(0)
	s_barrier
.LBB147_9:                              ;   Parent Loop BB147_6 Depth=1
                                        ; =>  This Inner Loop Header: Depth=2
	s_and_b32 s18, s15, 0x3ffffff8
	v_lshl_add_u32 v10, s18, 2, v126
	ds_read2_b32 v[120:121], v115 offset1:32
	ds_read_b128 v[4:7], v113
	ds_read_b128 v[0:3], v113 offset:16
	ds_read2_b32 v[8:9], v10 offset1:1
	s_add_i32 s16, s15, -8
	s_lshr_b32 s18, s15, 2
	s_and_b32 s18, s18, 0x3ffffffc
	s_addk_i32 s18, 0x7280
	s_waitcnt lgkmcnt(0)
	v_ashrrev_i32_e32 v8, s16, v8
	v_and_b32_e32 v178, 0x3030303, v8
	v_ashrrev_i32_e32 v8, s16, v9
	v_and_b32_e32 v175, 0x3030303, v8
	ds_read2_b32 v[8:9], v10 offset0:2 offset1:3
	s_and_b32 s17, s15, -16
	s_add_i32 s17, s15, s17
	v_add_u32_e32 v194, s17, v129
	v_add_u32_e32 v192, s17, v135
	s_waitcnt lgkmcnt(0)
	v_ashrrev_i32_e32 v8, s16, v8
	v_and_b32_e32 v176, 0x3030303, v8
	v_ashrrev_i32_e32 v8, s16, v9
	v_and_b32_e32 v177, 0x3030303, v8
	ds_read2_b32 v[8:9], v10 offset0:4 offset1:5
	v_mov_b32_e32 v210, 0
	v_mov_b32_e32 v211, 0
	v_mov_b32_e32 v123, 0
	v_mov_b32_e32 v203, 0
	s_waitcnt lgkmcnt(0)
	v_ashrrev_i32_e32 v8, s16, v8
	v_and_b32_e32 v167, 0x3030303, v8
	v_ashrrev_i32_e32 v8, s16, v9
	v_and_b32_e32 v168, 0x3030303, v8
	ds_read2_b32 v[8:9], v10 offset0:6 offset1:7
	v_dot4c_i32_i8_e32 v123, v178, v4
	v_mov_b32_e32 v122, 0
	v_mov_b32_e32 v201, 0
	v_dot4c_i32_i8_e32 v123, v175, v5
	s_waitcnt lgkmcnt(0)
	v_ashrrev_i32_e32 v8, s16, v8
	v_and_b32_e32 v169, 0x3030303, v8
	v_ashrrev_i32_e32 v8, s16, v9
	v_and_b32_e32 v170, 0x3030303, v8
	v_add3_u32 v8, s18, v149, v150
	ds_read_b32 v8, v8
	v_dot4c_i32_i8_e32 v122, v167, v0
	v_dot4c_i32_i8_e32 v123, v176, v6
	;; [unrolled: 1-line block ×4, first 2 shown]
	s_waitcnt lgkmcnt(0)
	v_cvt_f32_f16_e32 v108, v8
	v_cvt_f32_f16_sdwa v110, v8 dst_sel:DWORD dst_unused:UNUSED_PAD src0_sel:WORD_1
	v_add_u32_e32 v8, 0x1080, v10
	ds_read2_b32 v[8:9], v8 offset1:1
	v_dot4c_i32_i8_e32 v122, v169, v2
	v_dot4c_i32_i8_e32 v122, v170, v3
	v_add_u32_e32 v200, s17, v131
	v_add_u32_e32 v196, s17, v133
	s_waitcnt lgkmcnt(0)
	v_ashrrev_i32_e32 v8, s16, v8
	v_and_b32_e32 v182, 0x3030303, v8
	v_ashrrev_i32_e32 v8, s16, v9
	v_and_b32_e32 v179, 0x3030303, v8
	v_add_u32_e32 v8, 0x1088, v10
	ds_read2_b32 v[8:9], v8 offset1:1
	v_mov_b32_e32 v205, 0
	v_dot4c_i32_i8_e32 v205, v182, v4
	v_mov_b32_e32 v204, 0
	v_dot4c_i32_i8_e32 v205, v179, v5
	s_waitcnt lgkmcnt(0)
	v_ashrrev_i32_e32 v8, s16, v8
	v_and_b32_e32 v180, 0x3030303, v8
	v_ashrrev_i32_e32 v8, s16, v9
	v_and_b32_e32 v181, 0x3030303, v8
	v_add_u32_e32 v8, 0x1090, v10
	ds_read2_b32 v[8:9], v8 offset1:1
	v_dot4c_i32_i8_e32 v205, v180, v6
	v_dot4c_i32_i8_e32 v205, v181, v7
	v_mov_b32_e32 v212, 0
	v_mov_b32_e32 v213, 0
	s_waitcnt lgkmcnt(0)
	v_ashrrev_i32_e32 v8, s16, v8
	v_and_b32_e32 v171, 0x3030303, v8
	v_ashrrev_i32_e32 v8, s16, v9
	v_and_b32_e32 v172, 0x3030303, v8
	v_add_u32_e32 v8, 0x1098, v10
	ds_read2_b32 v[8:9], v8 offset1:1
	v_dot4c_i32_i8_e32 v204, v171, v0
	v_dot4c_i32_i8_e32 v204, v172, v1
	v_mov_b32_e32 v198, 0
	v_mov_b32_e32 v193, 0
	s_waitcnt lgkmcnt(0)
	v_ashrrev_i32_e32 v8, s16, v8
	v_and_b32_e32 v173, 0x3030303, v8
	v_ashrrev_i32_e32 v8, s16, v9
	v_and_b32_e32 v174, 0x3030303, v8
	v_add3_u32 v8, s18, v151, v152
	ds_read_b32 v8, v8
	v_dot4c_i32_i8_e32 v204, v173, v2
	v_dot4c_i32_i8_e32 v204, v174, v3
	v_mov_b32_e32 v209, 0
	v_mov_b32_e32 v208, 0
	s_waitcnt lgkmcnt(0)
	v_cvt_f32_f16_e32 v112, v8
	v_cvt_f32_f16_sdwa v114, v8 dst_sel:DWORD dst_unused:UNUSED_PAD src0_sel:WORD_1
	v_add_u32_e32 v8, 0x2100, v10
	ds_read2_b32 v[8:9], v8 offset1:1
	s_waitcnt lgkmcnt(0)
	v_ashrrev_i32_e32 v8, s16, v8
	v_and_b32_e32 v190, 0x3030303, v8
	v_ashrrev_i32_e32 v8, s16, v9
	v_and_b32_e32 v187, 0x3030303, v8
	v_add_u32_e32 v8, 0x2108, v10
	ds_read2_b32 v[8:9], v8 offset1:1
	v_dot4c_i32_i8_e32 v198, v190, v4
	v_dot4c_i32_i8_e32 v198, v187, v5
	s_waitcnt lgkmcnt(0)
	v_ashrrev_i32_e32 v8, s16, v8
	v_and_b32_e32 v188, 0x3030303, v8
	v_ashrrev_i32_e32 v8, s16, v9
	v_and_b32_e32 v189, 0x3030303, v8
	v_add_u32_e32 v8, 0x2110, v10
	ds_read2_b32 v[8:9], v8 offset1:1
	v_dot4c_i32_i8_e32 v198, v188, v6
	v_dot4c_i32_i8_e32 v198, v189, v7
	;; [unrolled: 9-line block ×3, first 2 shown]
	s_waitcnt lgkmcnt(0)
	v_ashrrev_i32_e32 v8, s16, v8
	v_and_b32_e32 v185, 0x3030303, v8
	v_ashrrev_i32_e32 v8, s16, v9
	v_and_b32_e32 v186, 0x3030303, v8
	v_add3_u32 v8, s18, v153, v154
	ds_read_b32 v8, v8
	v_dot4c_i32_i8_e32 v193, v185, v2
	v_dot4c_i32_i8_e32 v193, v186, v3
	s_waitcnt lgkmcnt(0)
	v_cvt_f32_f16_e32 v116, v8
	v_cvt_f32_f16_sdwa v118, v8 dst_sel:DWORD dst_unused:UNUSED_PAD src0_sel:WORD_1
	v_add_u32_e32 v8, 0x3180, v10
	ds_read2_b32 v[8:9], v8 offset1:1
	s_waitcnt lgkmcnt(0)
	v_ashrrev_i32_e32 v8, s16, v8
	v_and_b32_e32 v191, 0x3030303, v8
	v_ashrrev_i32_e32 v8, s16, v9
	v_and_b32_e32 v164, 0x3030303, v8
	v_add_u32_e32 v8, 0x3188, v10
	ds_read2_b32 v[8:9], v8 offset1:1
	v_dot4c_i32_i8_e32 v209, v191, v4
	v_dot4c_i32_i8_e32 v209, v164, v5
	s_waitcnt lgkmcnt(0)
	v_ashrrev_i32_e32 v8, s16, v8
	v_and_b32_e32 v165, 0x3030303, v8
	v_ashrrev_i32_e32 v8, s16, v9
	v_and_b32_e32 v166, 0x3030303, v8
	v_add_u32_e32 v8, 0x3190, v10
	ds_read2_b32 v[8:9], v8 offset1:1
	v_dot4c_i32_i8_e32 v209, v165, v6
	v_dot4c_i32_i8_e32 v209, v166, v7
	;; [unrolled: 9-line block ×3, first 2 shown]
	s_waitcnt lgkmcnt(0)
	v_ashrrev_i32_e32 v8, s16, v8
	v_and_b32_e32 v162, 0x3030303, v8
	v_ashrrev_i32_e32 v8, s16, v9
	v_and_b32_e32 v163, 0x3030303, v8
	v_add3_u32 v8, s18, v155, v156
	ds_read_b32 v8, v8
	v_dot4c_i32_i8_e32 v208, v162, v2
	v_dot4c_i32_i8_e32 v208, v163, v3
	s_waitcnt lgkmcnt(0)
	v_cvt_f32_f16_e32 v104, v8
	v_cvt_f32_f16_sdwa v106, v8 dst_sel:DWORD dst_unused:UNUSED_PAD src0_sel:WORD_1
	ds_read_b128 v[12:15], v113 offset:1024
	ds_read_b128 v[8:11], v113 offset:1040
	ds_read_u16 v194, v194 offset:25088
	ds_read_u16 v192, v192 offset:28160
	s_waitcnt lgkmcnt(3)
	v_dot4c_i32_i8_e32 v201, v178, v12
	s_waitcnt lgkmcnt(2)
	v_dot4c_i32_i8_e32 v203, v167, v8
	s_waitcnt lgkmcnt(1)
	v_bfe_u32 v195, v194, 4, 4
	v_mul_lo_u32 v197, v195, s9
	v_dot4c_i32_i8_e32 v210, v197, v4
	v_dot4c_i32_i8_e32 v211, v197, v12
	;; [unrolled: 1-line block ×5, first 2 shown]
	v_lshrrev_b32_sdwa v195, v157, v194 dst_sel:DWORD dst_unused:UNUSED_PAD src0_sel:DWORD src1_sel:BYTE_1
	v_dot4c_i32_i8_e32 v211, v197, v14
	v_dot4c_i32_i8_e32 v210, v197, v7
	v_mul_lo_u32 v195, v195, s9
	v_dot4c_i32_i8_e32 v211, v197, v15
	v_dot4c_i32_i8_e32 v203, v168, v9
	;; [unrolled: 1-line block ×7, first 2 shown]
	v_and_b32_e32 v199, 15, v194
	v_and_b32_sdwa v194, v194, v158 dst_sel:DWORD dst_unused:UNUSED_PAD src0_sel:BYTE_1 src1_sel:DWORD
	v_dot4c_i32_i8_e32 v211, v195, v9
	v_dot4c_i32_i8_e32 v201, v176, v14
	;; [unrolled: 1-line block ×4, first 2 shown]
	v_and_b32_e32 v194, 0xffff, v194
	v_and_b32_e32 v199, 0xffff, v199
	v_dot4c_i32_i8_e32 v211, v195, v10
	v_dot4c_i32_i8_e32 v201, v177, v15
	;; [unrolled: 1-line block ×4, first 2 shown]
	v_mul_lo_u32 v202, v123, v199
	v_mul_lo_u32 v206, v203, v194
	v_mad_u64_u32 v[206:207], s[16:17], v201, v199, v[206:207]
	v_mad_u64_u32 v[122:123], s[16:17], v122, v194, v[202:203]
	v_cvt_f32_i32_e32 v203, v210
	v_cvt_f32_i32_e32 v202, v211
	;; [unrolled: 1-line block ×4, first 2 shown]
	v_mov_b32_e32 v210, 0
	v_pk_mul_f32 v[202:203], v[110:111], v[202:203] op_sel_hi:[0,1]
	v_mov_b32_e32 v211, 0
	v_pk_fma_f32 v[202:203], v[108:109], v[122:123], v[202:203] op_sel_hi:[0,1,1] neg_lo:[0,0,1] neg_hi:[0,0,1]
	v_mov_b32_e32 v123, v120
	ds_read_u16 v120, v200 offset:26112
	v_mov_b32_e32 v122, v121
	v_pk_fma_f32 v[40:41], v[122:123], v[202:203], v[40:41]
	v_mov_b32_e32 v206, 0
	v_mov_b32_e32 v121, 0
	s_waitcnt lgkmcnt(0)
	v_bfe_u32 v200, v120, 4, 4
	v_mul_lo_u32 v202, v200, s9
	v_dot4c_i32_i8_e32 v210, v202, v4
	v_dot4c_i32_i8_e32 v211, v202, v12
	;; [unrolled: 1-line block ×6, first 2 shown]
	v_lshrrev_b32_sdwa v200, v157, v120 dst_sel:DWORD dst_unused:UNUSED_PAD src0_sel:DWORD src1_sel:BYTE_1
	v_dot4c_i32_i8_e32 v211, v202, v14
	v_dot4c_i32_i8_e32 v121, v182, v12
	v_dot4c_i32_i8_e32 v206, v172, v9
	v_dot4c_i32_i8_e32 v210, v202, v7
	v_mul_lo_u32 v201, v200, s9
	v_dot4c_i32_i8_e32 v211, v202, v15
	v_dot4c_i32_i8_e32 v121, v179, v13
	;; [unrolled: 1-line block ×4, first 2 shown]
	v_and_b32_e32 v203, 15, v120
	v_and_b32_sdwa v120, v120, v158 dst_sel:DWORD dst_unused:UNUSED_PAD src0_sel:BYTE_1 src1_sel:DWORD
	v_dot4c_i32_i8_e32 v211, v201, v8
	v_dot4c_i32_i8_e32 v121, v180, v14
	;; [unrolled: 1-line block ×4, first 2 shown]
	v_and_b32_e32 v200, 0xffff, v120
	v_dot4c_i32_i8_e32 v211, v201, v9
	v_dot4c_i32_i8_e32 v121, v181, v15
	;; [unrolled: 1-line block ×3, first 2 shown]
	v_and_b32_e32 v203, 0xffff, v203
	v_dot4c_i32_i8_e32 v211, v201, v10
	v_mul_lo_u32 v206, v206, v200
	v_dot4c_i32_i8_e32 v210, v201, v3
	v_dot4c_i32_i8_e32 v211, v201, v11
	v_mul_lo_u32 v120, v205, v203
	v_mad_u64_u32 v[206:207], s[16:17], v121, v203, v[206:207]
                                        ; kill: def $vgpr121 killed $sgpr0 killed $exec
	v_cvt_f32_i32_e32 v205, v210
	v_mad_u64_u32 v[120:121], s[16:17], v204, v200, v[120:121]
	v_cvt_f32_i32_e32 v204, v211
	v_cvt_f32_i32_e32 v121, v120
	;; [unrolled: 1-line block ×3, first 2 shown]
	v_mov_b32_e32 v210, 0
	v_pk_mul_f32 v[204:205], v[114:115], v[204:205] op_sel_hi:[0,1]
	v_dot4c_i32_i8_e32 v210, v183, v8
	v_pk_fma_f32 v[120:121], v[112:113], v[120:121], v[204:205] op_sel_hi:[0,1,1] neg_lo:[0,0,1] neg_hi:[0,0,1]
	v_pk_fma_f32 v[92:93], v[122:123], v[120:121], v[92:93]
	ds_read_u16 v120, v196 offset:27136
	v_mov_b32_e32 v121, 0
	v_dot4c_i32_i8_e32 v121, v190, v12
	v_dot4c_i32_i8_e32 v210, v184, v9
	;; [unrolled: 1-line block ×3, first 2 shown]
	s_waitcnt lgkmcnt(0)
	v_bfe_u32 v196, v120, 4, 4
	v_mul_lo_u32 v206, v196, s9
	v_dot4c_i32_i8_e32 v212, v206, v4
	v_dot4c_i32_i8_e32 v213, v206, v12
	;; [unrolled: 1-line block ×5, first 2 shown]
	v_lshrrev_b32_sdwa v196, v157, v120 dst_sel:DWORD dst_unused:UNUSED_PAD src0_sel:DWORD src1_sel:BYTE_1
	v_dot4c_i32_i8_e32 v213, v206, v14
	v_dot4c_i32_i8_e32 v210, v185, v10
	;; [unrolled: 1-line block ×3, first 2 shown]
	v_mul_lo_u32 v205, v196, s9
	v_and_b32_e32 v196, 15, v120
	v_and_b32_sdwa v120, v120, v158 dst_sel:DWORD dst_unused:UNUSED_PAD src0_sel:BYTE_1 src1_sel:DWORD
	v_dot4c_i32_i8_e32 v213, v206, v15
	v_dot4c_i32_i8_e32 v121, v188, v14
	;; [unrolled: 1-line block ×4, first 2 shown]
	v_and_b32_e32 v204, 0xffff, v120
	v_dot4c_i32_i8_e32 v213, v205, v8
	v_dot4c_i32_i8_e32 v121, v189, v15
	;; [unrolled: 1-line block ×3, first 2 shown]
	v_and_b32_e32 v207, 0xffff, v196
	v_dot4c_i32_i8_e32 v213, v205, v9
	v_mul_lo_u32 v196, v210, v204
	v_dot4c_i32_i8_e32 v212, v205, v2
	v_dot4c_i32_i8_e32 v213, v205, v10
	v_mul_lo_u32 v120, v198, v207
	v_mad_u64_u32 v[210:211], s[16:17], v121, v207, v[196:197]
                                        ; kill: def $vgpr121 killed $sgpr0 killed $exec
	v_dot4c_i32_i8_e32 v212, v205, v3
	v_dot4c_i32_i8_e32 v213, v205, v11
	v_mad_u64_u32 v[120:121], s[16:17], v193, v204, v[120:121]
	v_cvt_f32_i32_e32 v121, v120
	v_cvt_f32_i32_e32 v120, v210
	;; [unrolled: 1-line block ×4, first 2 shown]
	v_bfe_u32 v193, v192, 4, 4
	v_mul_lo_u32 v196, v193, s9
	v_pk_mul_f32 v[210:211], v[118:119], v[210:211] op_sel_hi:[0,1]
	v_pk_fma_f32 v[120:121], v[116:117], v[120:121], v[210:211] op_sel_hi:[0,1,1] neg_lo:[0,0,1] neg_hi:[0,0,1]
	v_mov_b32_e32 v210, 0
	v_dot4c_i32_i8_e32 v210, v196, v4
	v_lshrrev_b32_sdwa v4, v157, v192 dst_sel:DWORD dst_unused:UNUSED_PAD src0_sel:DWORD src1_sel:BYTE_1
	v_mul_lo_u32 v193, v4, s9
	v_mov_b32_e32 v4, 0
	v_dot4c_i32_i8_e32 v210, v196, v5
	v_dot4c_i32_i8_e32 v4, v196, v12
	v_pk_fma_f32 v[98:99], v[122:123], v[120:121], v[98:99]
	v_mov_b32_e32 v121, 0
	v_dot4c_i32_i8_e32 v210, v196, v6
	v_dot4c_i32_i8_e32 v4, v196, v13
	v_mov_b32_e32 v120, 0
	v_dot4c_i32_i8_e32 v121, v160, v8
	v_dot4c_i32_i8_e32 v210, v196, v7
	;; [unrolled: 1-line block ×10, first 2 shown]
	v_and_b32_e32 v0, 15, v192
	v_and_b32_sdwa v1, v192, v158 dst_sel:DWORD dst_unused:UNUSED_PAD src0_sel:BYTE_1 src1_sel:DWORD
	v_dot4c_i32_i8_e32 v4, v193, v8
	v_dot4c_i32_i8_e32 v120, v165, v14
	;; [unrolled: 1-line block ×3, first 2 shown]
	v_and_b32_e32 v192, 0xffff, v1
	v_and_b32_e32 v198, 0xffff, v0
	v_dot4c_i32_i8_e32 v4, v193, v9
	v_dot4c_i32_i8_e32 v120, v166, v15
	;; [unrolled: 1-line block ×4, first 2 shown]
	v_mul_lo_u32 v0, v209, v198
	v_mul_lo_u32 v2, v121, v192
                                        ; kill: def $vgpr1 killed $sgpr0 killed $exec
	v_dot4c_i32_i8_e32 v210, v193, v3
	v_dot4c_i32_i8_e32 v4, v193, v11
	v_mad_u64_u32 v[2:3], s[16:17], v120, v198, v[2:3]
	v_mad_u64_u32 v[0:1], s[16:17], v208, v192, v[0:1]
	v_cvt_f32_i32_e32 v1, v0
	v_cvt_f32_i32_e32 v0, v2
	;; [unrolled: 1-line block ×4, first 2 shown]
	v_mov_b32_e32 v8, 0
	v_mov_b32_e32 v9, 0
	;; [unrolled: 1-line block ×3, first 2 shown]
	v_pk_mul_f32 v[2:3], v[106:107], v[2:3] op_sel_hi:[0,1]
	v_pk_fma_f32 v[0:1], v[104:105], v[0:1], v[2:3] op_sel_hi:[0,1,1] neg_lo:[0,0,1] neg_hi:[0,0,1]
	v_pk_fma_f32 v[102:103], v[122:123], v[0:1], v[102:103]
	ds_read2_b32 v[10:11], v115 offset0:64 offset1:96
	ds_read_b128 v[4:7], v113 offset:2048
	ds_read_b128 v[0:3], v113 offset:2064
	v_mov_b32_e32 v209, 0
	v_mov_b32_e32 v210, 0
	s_waitcnt lgkmcnt(1)
	v_dot4c_i32_i8_e32 v8, v178, v4
	v_dot4c_i32_i8_e32 v8, v175, v5
	s_waitcnt lgkmcnt(0)
	v_dot4c_i32_i8_e32 v9, v167, v0
	v_dot4c_i32_i8_e32 v8, v176, v6
	;; [unrolled: 1-line block ×7, first 2 shown]
	v_mul_lo_u32 v8, v8, v199
	v_dot4c_i32_i8_e32 v209, v202, v4
	v_mad_u64_u32 v[120:121], s[16:17], v9, v194, v[8:9]
	v_mov_b32_e32 v8, 0
	v_dot4c_i32_i8_e32 v8, v182, v4
	v_mov_b32_e32 v9, 0
	v_dot4c_i32_i8_e32 v8, v179, v5
	v_dot4c_i32_i8_e32 v9, v171, v0
	;; [unrolled: 1-line block ×8, first 2 shown]
	v_mul_lo_u32 v8, v8, v203
	v_dot4c_i32_i8_e32 v209, v202, v5
	v_mad_u64_u32 v[14:15], s[16:17], v9, v200, v[8:9]
	v_mov_b32_e32 v8, 0
	v_dot4c_i32_i8_e32 v8, v190, v4
	v_mov_b32_e32 v9, 0
	v_dot4c_i32_i8_e32 v8, v187, v5
	v_dot4c_i32_i8_e32 v9, v183, v0
	;; [unrolled: 1-line block ×7, first 2 shown]
	v_mov_b32_e32 v15, 0
	v_mul_lo_u32 v8, v8, v207
	v_dot4c_i32_i8_e32 v15, v206, v4
	v_mad_u64_u32 v[12:13], s[16:17], v9, v204, v[8:9]
	v_mov_b32_e32 v13, 0
	v_mov_b32_e32 v8, 0
	v_dot4c_i32_i8_e32 v13, v196, v4
	v_dot4c_i32_i8_e32 v15, v206, v5
	;; [unrolled: 1-line block ×9, first 2 shown]
	v_mov_b32_e32 v5, 0
	v_dot4c_i32_i8_e32 v208, v197, v7
	v_dot4c_i32_i8_e32 v209, v202, v7
	;; [unrolled: 1-line block ×20, first 2 shown]
	v_mul_lo_u32 v4, v8, v198
	v_dot4c_i32_i8_e32 v13, v193, v2
	v_dot4c_i32_i8_e32 v5, v163, v3
	;; [unrolled: 1-line block ×6, first 2 shown]
	v_mad_u64_u32 v[8:9], s[16:17], v5, v192, v[4:5]
	ds_read_b128 v[4:7], v113 offset:3072
	ds_read_b128 v[0:3], v113 offset:3088
	v_mov_b32_e32 v9, 0
	v_cvt_f32_i32_e32 v121, v120
	v_cvt_f32_i32_e32 v15, v15
	s_waitcnt lgkmcnt(1)
	v_dot4c_i32_i8_e32 v9, v178, v4
	v_dot4c_i32_i8_e32 v9, v175, v5
	;; [unrolled: 1-line block ×8, first 2 shown]
	s_waitcnt lgkmcnt(0)
	v_dot4c_i32_i8_e32 v210, v195, v0
	v_mul_lo_u32 v122, v9, v199
	v_mov_b32_e32 v9, 0
	v_dot4c_i32_i8_e32 v9, v167, v0
	v_dot4c_i32_i8_e32 v9, v168, v1
	;; [unrolled: 1-line block ×7, first 2 shown]
	s_nop 1
	v_mad_u64_u32 v[122:123], s[16:17], v9, v194, v[122:123]
	v_cvt_f32_i32_e32 v120, v122
	v_cvt_f32_i32_e32 v123, v208
	;; [unrolled: 1-line block ×3, first 2 shown]
	v_mov_b32_e32 v9, 0
	v_dot4c_i32_i8_e32 v9, v182, v4
	v_dot4c_i32_i8_e32 v9, v179, v5
	v_pk_mul_f32 v[122:123], v[110:111], v[122:123] op_sel_hi:[0,1]
	v_pk_fma_f32 v[122:123], v[108:109], v[120:121], v[122:123] op_sel_hi:[0,1,1] neg_lo:[0,0,1] neg_hi:[0,0,1]
	v_mov_b32_e32 v120, v11
	v_mov_b32_e32 v121, v10
	v_pk_fma_f32 v[74:75], v[120:121], v[122:123], v[74:75]
	v_mov_b32_e32 v122, 0
	v_dot4c_i32_i8_e32 v122, v202, v4
	v_dot4c_i32_i8_e32 v122, v202, v5
	;; [unrolled: 1-line block ×8, first 2 shown]
	v_mul_lo_u32 v10, v9, v203
	v_mov_b32_e32 v9, 0
	v_dot4c_i32_i8_e32 v9, v171, v0
	v_dot4c_i32_i8_e32 v9, v172, v1
	;; [unrolled: 1-line block ×6, first 2 shown]
                                        ; kill: def $vgpr11 killed $sgpr0 killed $exec
	v_cvt_f32_i32_e32 v123, v209
	v_mov_b32_e32 v208, 0
	v_mad_u64_u32 v[10:11], s[16:17], v9, v200, v[10:11]
	v_cvt_f32_i32_e32 v122, v122
	v_cvt_f32_i32_e32 v11, v14
	;; [unrolled: 1-line block ×3, first 2 shown]
	v_mov_b32_e32 v9, 0
	v_dot4c_i32_i8_e32 v9, v190, v4
	v_mov_b32_e32 v14, 0
	v_dot4c_i32_i8_e32 v14, v206, v4
	v_dot4c_i32_i8_e32 v9, v187, v5
	v_pk_mul_f32 v[122:123], v[114:115], v[122:123] op_sel_hi:[0,1]
	v_dot4c_i32_i8_e32 v14, v206, v5
	v_dot4c_i32_i8_e32 v9, v188, v6
	v_pk_fma_f32 v[10:11], v[112:113], v[10:11], v[122:123] op_sel_hi:[0,1,1] neg_lo:[0,0,1] neg_hi:[0,0,1]
	v_dot4c_i32_i8_e32 v14, v206, v6
	v_dot4c_i32_i8_e32 v9, v189, v7
	v_pk_fma_f32 v[86:87], v[120:121], v[10:11], v[86:87]
	v_dot4c_i32_i8_e32 v14, v206, v7
	v_dot4c_i32_i8_e32 v14, v205, v0
	v_mul_lo_u32 v10, v9, v207
	v_mov_b32_e32 v9, 0
	v_dot4c_i32_i8_e32 v9, v183, v0
	v_dot4c_i32_i8_e32 v9, v184, v1
	;; [unrolled: 1-line block ×7, first 2 shown]
                                        ; kill: def $vgpr11 killed $sgpr0 killed $exec
	v_mov_b32_e32 v209, 0
	v_mov_b32_e32 v210, 0
	v_mad_u64_u32 v[10:11], s[16:17], v9, v204, v[10:11]
	v_cvt_f32_i32_e32 v14, v14
	v_cvt_f32_i32_e32 v11, v12
	;; [unrolled: 1-line block ×3, first 2 shown]
	v_mov_b32_e32 v9, 0
	v_pk_mul_f32 v[14:15], v[118:119], v[14:15] op_sel_hi:[0,1]
	v_dot4c_i32_i8_e32 v9, v191, v4
	v_pk_fma_f32 v[10:11], v[116:117], v[10:11], v[14:15] op_sel_hi:[0,1,1] neg_lo:[0,0,1] neg_hi:[0,0,1]
	v_pk_fma_f32 v[94:95], v[120:121], v[10:11], v[94:95]
	v_mov_b32_e32 v10, 0
	v_dot4c_i32_i8_e32 v10, v196, v4
	v_dot4c_i32_i8_e32 v10, v196, v5
	;; [unrolled: 1-line block ×5, first 2 shown]
	v_mov_b32_e32 v5, 0
	v_dot4c_i32_i8_e32 v5, v160, v0
	v_dot4c_i32_i8_e32 v10, v193, v0
	;; [unrolled: 1-line block ×9, first 2 shown]
	v_mul_lo_u32 v4, v9, v198
	v_dot4c_i32_i8_e32 v10, v193, v3
	v_cvt_f32_i32_e32 v3, v13
	v_mad_u64_u32 v[0:1], s[16:17], v5, v192, v[4:5]
	s_nop 0
	v_cvt_f32_i32_e32 v2, v10
	v_cvt_f32_i32_e32 v1, v8
	v_cvt_f32_i32_e32 v0, v0
	v_mov_b32_e32 v8, 0
	v_pk_mul_f32 v[2:3], v[106:107], v[2:3] op_sel_hi:[0,1]
	v_mov_b32_e32 v9, 0
	v_pk_fma_f32 v[0:1], v[104:105], v[0:1], v[2:3] op_sel_hi:[0,1,1] neg_lo:[0,0,1] neg_hi:[0,0,1]
	v_pk_fma_f32 v[100:101], v[120:121], v[0:1], v[100:101]
	ds_read2_b32 v[10:11], v115 offset0:128 offset1:160
	ds_read_b128 v[4:7], v113 offset:4096
	ds_read_b128 v[0:3], v113 offset:4112
	s_waitcnt lgkmcnt(1)
	v_dot4c_i32_i8_e32 v8, v178, v4
	v_dot4c_i32_i8_e32 v8, v175, v5
	s_waitcnt lgkmcnt(0)
	v_dot4c_i32_i8_e32 v9, v167, v0
	v_dot4c_i32_i8_e32 v8, v176, v6
	;; [unrolled: 1-line block ×7, first 2 shown]
	v_mul_lo_u32 v8, v8, v199
	v_dot4c_i32_i8_e32 v209, v202, v4
	v_mad_u64_u32 v[120:121], s[16:17], v9, v194, v[8:9]
	v_mov_b32_e32 v8, 0
	v_dot4c_i32_i8_e32 v8, v182, v4
	v_mov_b32_e32 v9, 0
	v_dot4c_i32_i8_e32 v8, v179, v5
	v_dot4c_i32_i8_e32 v9, v171, v0
	v_dot4c_i32_i8_e32 v8, v180, v6
	v_dot4c_i32_i8_e32 v9, v172, v1
	v_dot4c_i32_i8_e32 v8, v181, v7
	v_dot4c_i32_i8_e32 v9, v173, v2
	v_dot4c_i32_i8_e32 v9, v174, v3
	v_dot4c_i32_i8_e32 v208, v197, v5
	v_mul_lo_u32 v8, v8, v203
	v_dot4c_i32_i8_e32 v209, v202, v5
	v_mad_u64_u32 v[14:15], s[16:17], v9, v200, v[8:9]
	v_mov_b32_e32 v8, 0
	v_dot4c_i32_i8_e32 v8, v190, v4
	v_mov_b32_e32 v9, 0
	v_dot4c_i32_i8_e32 v8, v187, v5
	v_dot4c_i32_i8_e32 v9, v183, v0
	;; [unrolled: 1-line block ×7, first 2 shown]
	v_mov_b32_e32 v15, 0
	v_mul_lo_u32 v8, v8, v207
	v_dot4c_i32_i8_e32 v15, v206, v4
	v_mad_u64_u32 v[12:13], s[16:17], v9, v204, v[8:9]
	v_mov_b32_e32 v13, 0
	v_mov_b32_e32 v8, 0
	v_dot4c_i32_i8_e32 v13, v196, v4
	v_dot4c_i32_i8_e32 v15, v206, v5
	;; [unrolled: 1-line block ×9, first 2 shown]
	v_mov_b32_e32 v5, 0
	v_dot4c_i32_i8_e32 v208, v197, v7
	v_dot4c_i32_i8_e32 v209, v202, v7
	;; [unrolled: 1-line block ×20, first 2 shown]
	v_mul_lo_u32 v4, v8, v198
	v_dot4c_i32_i8_e32 v13, v193, v2
	v_dot4c_i32_i8_e32 v5, v163, v3
	;; [unrolled: 1-line block ×6, first 2 shown]
	v_mad_u64_u32 v[8:9], s[16:17], v5, v192, v[4:5]
	ds_read_b128 v[4:7], v113 offset:5120
	ds_read_b128 v[0:3], v113 offset:5136
	v_mov_b32_e32 v9, 0
	v_cvt_f32_i32_e32 v121, v120
	v_cvt_f32_i32_e32 v15, v15
	s_waitcnt lgkmcnt(1)
	v_dot4c_i32_i8_e32 v9, v178, v4
	v_dot4c_i32_i8_e32 v9, v175, v5
	;; [unrolled: 1-line block ×8, first 2 shown]
	s_waitcnt lgkmcnt(0)
	v_dot4c_i32_i8_e32 v210, v195, v0
	v_mul_lo_u32 v122, v9, v199
	v_mov_b32_e32 v9, 0
	v_dot4c_i32_i8_e32 v9, v167, v0
	v_dot4c_i32_i8_e32 v9, v168, v1
	v_dot4c_i32_i8_e32 v210, v195, v1
	v_dot4c_i32_i8_e32 v9, v169, v2
	v_dot4c_i32_i8_e32 v210, v195, v2
	v_dot4c_i32_i8_e32 v9, v170, v3
	v_dot4c_i32_i8_e32 v210, v195, v3
	s_nop 1
	v_mad_u64_u32 v[122:123], s[16:17], v9, v194, v[122:123]
	v_cvt_f32_i32_e32 v120, v122
	v_cvt_f32_i32_e32 v123, v208
	v_cvt_f32_i32_e32 v122, v210
	v_mov_b32_e32 v9, 0
	v_dot4c_i32_i8_e32 v9, v182, v4
	v_dot4c_i32_i8_e32 v9, v179, v5
	v_pk_mul_f32 v[122:123], v[110:111], v[122:123] op_sel_hi:[0,1]
	v_pk_fma_f32 v[122:123], v[108:109], v[120:121], v[122:123] op_sel_hi:[0,1,1] neg_lo:[0,0,1] neg_hi:[0,0,1]
	v_mov_b32_e32 v120, v11
	v_mov_b32_e32 v121, v10
	v_pk_fma_f32 v[66:67], v[120:121], v[122:123], v[66:67]
	v_mov_b32_e32 v122, 0
	v_dot4c_i32_i8_e32 v122, v202, v4
	v_dot4c_i32_i8_e32 v122, v202, v5
	;; [unrolled: 1-line block ×8, first 2 shown]
	v_mul_lo_u32 v10, v9, v203
	v_mov_b32_e32 v9, 0
	v_dot4c_i32_i8_e32 v9, v171, v0
	v_dot4c_i32_i8_e32 v9, v172, v1
	;; [unrolled: 1-line block ×6, first 2 shown]
                                        ; kill: def $vgpr11 killed $sgpr0 killed $exec
	v_cvt_f32_i32_e32 v123, v209
	v_mov_b32_e32 v208, 0
	v_mad_u64_u32 v[10:11], s[16:17], v9, v200, v[10:11]
	v_cvt_f32_i32_e32 v122, v122
	v_cvt_f32_i32_e32 v11, v14
	;; [unrolled: 1-line block ×3, first 2 shown]
	v_mov_b32_e32 v9, 0
	v_dot4c_i32_i8_e32 v9, v190, v4
	v_mov_b32_e32 v14, 0
	v_dot4c_i32_i8_e32 v14, v206, v4
	v_dot4c_i32_i8_e32 v9, v187, v5
	v_pk_mul_f32 v[122:123], v[114:115], v[122:123] op_sel_hi:[0,1]
	v_dot4c_i32_i8_e32 v14, v206, v5
	v_dot4c_i32_i8_e32 v9, v188, v6
	v_pk_fma_f32 v[10:11], v[112:113], v[10:11], v[122:123] op_sel_hi:[0,1,1] neg_lo:[0,0,1] neg_hi:[0,0,1]
	v_dot4c_i32_i8_e32 v14, v206, v6
	v_dot4c_i32_i8_e32 v9, v189, v7
	v_pk_fma_f32 v[76:77], v[120:121], v[10:11], v[76:77]
	v_dot4c_i32_i8_e32 v14, v206, v7
	v_dot4c_i32_i8_e32 v14, v205, v0
	v_mul_lo_u32 v10, v9, v207
	v_mov_b32_e32 v9, 0
	v_dot4c_i32_i8_e32 v9, v183, v0
	v_dot4c_i32_i8_e32 v9, v184, v1
	;; [unrolled: 1-line block ×7, first 2 shown]
                                        ; kill: def $vgpr11 killed $sgpr0 killed $exec
	v_mov_b32_e32 v209, 0
	s_nop 0
	v_mad_u64_u32 v[10:11], s[16:17], v9, v204, v[10:11]
	v_cvt_f32_i32_e32 v14, v14
	v_cvt_f32_i32_e32 v11, v12
	;; [unrolled: 1-line block ×3, first 2 shown]
	v_mov_b32_e32 v9, 0
	v_pk_mul_f32 v[14:15], v[118:119], v[14:15] op_sel_hi:[0,1]
	v_dot4c_i32_i8_e32 v9, v191, v4
	v_pk_fma_f32 v[10:11], v[116:117], v[10:11], v[14:15] op_sel_hi:[0,1,1] neg_lo:[0,0,1] neg_hi:[0,0,1]
	v_pk_fma_f32 v[88:89], v[120:121], v[10:11], v[88:89]
	v_mov_b32_e32 v10, 0
	v_dot4c_i32_i8_e32 v10, v196, v4
	v_dot4c_i32_i8_e32 v10, v196, v5
	;; [unrolled: 1-line block ×5, first 2 shown]
	v_mov_b32_e32 v5, 0
	v_dot4c_i32_i8_e32 v5, v160, v0
	v_dot4c_i32_i8_e32 v10, v193, v0
	v_dot4c_i32_i8_e32 v9, v165, v6
	v_dot4c_i32_i8_e32 v5, v161, v1
	v_dot4c_i32_i8_e32 v10, v193, v1
	v_dot4c_i32_i8_e32 v9, v166, v7
	v_dot4c_i32_i8_e32 v5, v162, v2
	v_dot4c_i32_i8_e32 v10, v193, v2
	v_dot4c_i32_i8_e32 v5, v163, v3
	v_mul_lo_u32 v4, v9, v198
	v_dot4c_i32_i8_e32 v10, v193, v3
	v_cvt_f32_i32_e32 v3, v13
	v_mad_u64_u32 v[0:1], s[16:17], v5, v192, v[4:5]
	s_nop 0
	v_cvt_f32_i32_e32 v2, v10
	v_cvt_f32_i32_e32 v1, v8
	;; [unrolled: 1-line block ×3, first 2 shown]
	v_mov_b32_e32 v8, 0
	v_pk_mul_f32 v[2:3], v[106:107], v[2:3] op_sel_hi:[0,1]
	v_mov_b32_e32 v9, 0
	v_pk_fma_f32 v[0:1], v[104:105], v[0:1], v[2:3] op_sel_hi:[0,1,1] neg_lo:[0,0,1] neg_hi:[0,0,1]
	v_pk_fma_f32 v[96:97], v[120:121], v[0:1], v[96:97]
	ds_read2_b32 v[12:13], v115 offset0:192 offset1:224
	ds_read_b128 v[4:7], v113 offset:6144
	ds_read_b128 v[0:3], v113 offset:6160
	s_waitcnt lgkmcnt(1)
	v_dot4c_i32_i8_e32 v8, v178, v4
	v_dot4c_i32_i8_e32 v8, v175, v5
	s_waitcnt lgkmcnt(0)
	v_dot4c_i32_i8_e32 v9, v167, v0
	v_dot4c_i32_i8_e32 v8, v176, v6
	v_dot4c_i32_i8_e32 v9, v168, v1
	v_dot4c_i32_i8_e32 v8, v177, v7
	v_dot4c_i32_i8_e32 v9, v169, v2
	v_dot4c_i32_i8_e32 v9, v170, v3
	v_dot4c_i32_i8_e32 v208, v197, v4
	v_mul_lo_u32 v8, v8, v199
	v_dot4c_i32_i8_e32 v209, v202, v4
	v_mad_u64_u32 v[10:11], s[16:17], v9, v194, v[8:9]
	v_mov_b32_e32 v8, 0
	v_dot4c_i32_i8_e32 v8, v182, v4
	v_mov_b32_e32 v9, 0
	v_dot4c_i32_i8_e32 v8, v179, v5
	v_dot4c_i32_i8_e32 v9, v171, v0
	;; [unrolled: 1-line block ×8, first 2 shown]
	v_mul_lo_u32 v8, v8, v203
	v_dot4c_i32_i8_e32 v209, v202, v5
	v_mad_u64_u32 v[120:121], s[16:17], v9, v200, v[8:9]
	v_mov_b32_e32 v8, 0
	v_dot4c_i32_i8_e32 v8, v190, v4
	v_mov_b32_e32 v9, 0
	v_dot4c_i32_i8_e32 v8, v187, v5
	v_dot4c_i32_i8_e32 v9, v183, v0
	;; [unrolled: 1-line block ×7, first 2 shown]
	v_mov_b32_e32 v121, 0
	v_mul_lo_u32 v8, v8, v207
	v_dot4c_i32_i8_e32 v121, v206, v4
	v_mad_u64_u32 v[14:15], s[16:17], v9, v204, v[8:9]
	v_mov_b32_e32 v15, 0
	v_mov_b32_e32 v8, 0
	v_dot4c_i32_i8_e32 v15, v196, v4
	v_dot4c_i32_i8_e32 v121, v206, v5
	;; [unrolled: 1-line block ×9, first 2 shown]
	v_mov_b32_e32 v5, 0
	v_dot4c_i32_i8_e32 v208, v197, v7
	v_dot4c_i32_i8_e32 v209, v202, v7
	;; [unrolled: 1-line block ×20, first 2 shown]
	v_mul_lo_u32 v4, v8, v198
	v_dot4c_i32_i8_e32 v15, v193, v2
	v_dot4c_i32_i8_e32 v5, v163, v3
	;; [unrolled: 1-line block ×6, first 2 shown]
	v_mad_u64_u32 v[8:9], s[16:17], v5, v192, v[4:5]
	ds_read_b128 v[4:7], v113 offset:7168
	ds_read_b128 v[0:3], v113 offset:7184
	v_mov_b32_e32 v9, 0
	v_cvt_f32_i32_e32 v11, v10
	v_cvt_f32_i32_e32 v121, v121
	s_waitcnt lgkmcnt(1)
	v_dot4c_i32_i8_e32 v9, v178, v4
	v_mov_b32_e32 v178, 0
	v_dot4c_i32_i8_e32 v9, v175, v5
	v_dot4c_i32_i8_e32 v178, v197, v4
	;; [unrolled: 1-line block ×7, first 2 shown]
	s_waitcnt lgkmcnt(0)
	v_dot4c_i32_i8_e32 v178, v195, v0
	v_mul_lo_u32 v122, v9, v199
	v_mov_b32_e32 v9, 0
	v_dot4c_i32_i8_e32 v9, v167, v0
	v_dot4c_i32_i8_e32 v9, v168, v1
	;; [unrolled: 1-line block ×7, first 2 shown]
	s_nop 1
	v_mad_u64_u32 v[122:123], s[16:17], v9, v194, v[122:123]
	v_cvt_f32_i32_e32 v10, v122
	v_cvt_f32_i32_e32 v123, v208
	v_cvt_f32_i32_e32 v122, v178
	v_mov_b32_e32 v9, 0
	v_dot4c_i32_i8_e32 v9, v182, v4
	v_dot4c_i32_i8_e32 v9, v179, v5
	v_pk_mul_f32 v[122:123], v[110:111], v[122:123] op_sel_hi:[0,1]
	v_pk_fma_f32 v[122:123], v[108:109], v[10:11], v[122:123] op_sel_hi:[0,1,1] neg_lo:[0,0,1] neg_hi:[0,0,1]
	v_mov_b32_e32 v108, 0
	v_dot4c_i32_i8_e32 v108, v202, v4
	v_dot4c_i32_i8_e32 v108, v202, v5
	;; [unrolled: 1-line block ×5, first 2 shown]
	v_mov_b32_e32 v11, v12
	v_dot4c_i32_i8_e32 v108, v202, v7
	v_dot4c_i32_i8_e32 v108, v201, v0
	v_mul_lo_u32 v12, v9, v203
	v_mov_b32_e32 v9, 0
	v_dot4c_i32_i8_e32 v9, v171, v0
	v_dot4c_i32_i8_e32 v9, v172, v1
	;; [unrolled: 1-line block ×5, first 2 shown]
	v_mov_b32_e32 v10, v13
	v_dot4c_i32_i8_e32 v9, v174, v3
	v_dot4c_i32_i8_e32 v108, v201, v3
                                        ; kill: def $vgpr13 killed $sgpr0 killed $exec
	v_pk_fma_f32 v[58:59], v[10:11], v[122:123], v[58:59]
	v_cvt_f32_i32_e32 v123, v209
	v_mad_u64_u32 v[12:13], s[16:17], v9, v200, v[12:13]
	v_cvt_f32_i32_e32 v122, v108
	v_cvt_f32_i32_e32 v13, v120
	;; [unrolled: 1-line block ×3, first 2 shown]
	v_mov_b32_e32 v9, 0
	v_dot4c_i32_i8_e32 v9, v190, v4
	v_mov_b32_e32 v108, 0
	v_dot4c_i32_i8_e32 v108, v206, v4
	v_dot4c_i32_i8_e32 v9, v187, v5
	v_pk_mul_f32 v[122:123], v[114:115], v[122:123] op_sel_hi:[0,1]
	v_dot4c_i32_i8_e32 v108, v206, v5
	v_dot4c_i32_i8_e32 v9, v188, v6
	v_pk_fma_f32 v[12:13], v[112:113], v[12:13], v[122:123] op_sel_hi:[0,1,1] neg_lo:[0,0,1] neg_hi:[0,0,1]
	v_dot4c_i32_i8_e32 v108, v206, v6
	v_dot4c_i32_i8_e32 v9, v189, v7
	v_pk_fma_f32 v[68:69], v[10:11], v[12:13], v[68:69]
	v_dot4c_i32_i8_e32 v108, v206, v7
	v_dot4c_i32_i8_e32 v108, v205, v0
	v_mul_lo_u32 v12, v9, v207
	v_mov_b32_e32 v9, 0
	v_dot4c_i32_i8_e32 v9, v183, v0
	v_dot4c_i32_i8_e32 v9, v184, v1
	;; [unrolled: 1-line block ×7, first 2 shown]
                                        ; kill: def $vgpr13 killed $sgpr0 killed $exec
	v_add_u32_e32 v115, 4, v115
	v_add_u32_e32 v113, 32, v113
	v_mad_u64_u32 v[12:13], s[16:17], v9, v204, v[12:13]
	v_cvt_f32_i32_e32 v120, v108
	v_cvt_f32_i32_e32 v13, v14
	v_cvt_f32_i32_e32 v12, v12
	v_mov_b32_e32 v9, 0
	v_pk_mul_f32 v[120:121], v[118:119], v[120:121] op_sel_hi:[0,1]
	v_dot4c_i32_i8_e32 v9, v191, v4
	v_pk_fma_f32 v[12:13], v[116:117], v[12:13], v[120:121] op_sel_hi:[0,1,1] neg_lo:[0,0,1] neg_hi:[0,0,1]
	v_pk_fma_f32 v[78:79], v[10:11], v[12:13], v[78:79]
	v_mov_b32_e32 v12, 0
	v_dot4c_i32_i8_e32 v12, v196, v4
	v_dot4c_i32_i8_e32 v12, v196, v5
	v_dot4c_i32_i8_e32 v12, v196, v6
	v_dot4c_i32_i8_e32 v9, v164, v5
	v_dot4c_i32_i8_e32 v12, v196, v7
	v_mov_b32_e32 v5, 0
	v_dot4c_i32_i8_e32 v5, v160, v0
	v_dot4c_i32_i8_e32 v12, v193, v0
	;; [unrolled: 1-line block ×9, first 2 shown]
	v_mul_lo_u32 v4, v9, v198
	v_dot4c_i32_i8_e32 v12, v193, v3
	v_cvt_f32_i32_e32 v3, v15
	v_mad_u64_u32 v[0:1], s[16:17], v5, v192, v[4:5]
	s_nop 0
	v_cvt_f32_i32_e32 v2, v12
	v_cvt_f32_i32_e32 v1, v8
	;; [unrolled: 1-line block ×3, first 2 shown]
	s_add_i32 s16, s15, 2
	v_pk_mul_f32 v[2:3], v[106:107], v[2:3] op_sel_hi:[0,1]
	s_cmp_lt_u32 s15, 14
	v_pk_fma_f32 v[0:1], v[104:105], v[0:1], v[2:3] op_sel_hi:[0,1,1] neg_lo:[0,0,1] neg_hi:[0,0,1]
	v_pk_fma_f32 v[90:91], v[10:11], v[0:1], v[90:91]
	s_mov_b32 s15, s16
	s_cbranch_scc1 .LBB147_9
; %bb.10:                               ;   in Loop: Header=BB147_6 Depth=1
	s_or_b32 s15, s7, 1
	s_cmp_ge_i32 s15, s4
	s_barrier
	s_cbranch_scc1 .LBB147_5
; %bb.11:                               ;   in Loop: Header=BB147_6 Depth=1
	v_add_u32_e32 v14, s14, v124
	v_add_u32_e32 v0, v14, v81
	;; [unrolled: 1-line block ×6, first 2 shown]
	v_mad_i64_i32 v[0:1], s[16:17], v0, 36, v[38:39]
	v_mad_i64_i32 v[2:3], s[16:17], v2, 36, v[38:39]
	;; [unrolled: 1-line block ×4, first 2 shown]
	v_add_u32_e32 v8, v14, v107
	v_add_u32_e32 v10, v14, v109
	;; [unrolled: 1-line block ×4, first 2 shown]
	v_mad_u64_u32 v[112:113], s[16:17], v104, 36, s[2:3]
	v_mad_i64_i32 v[8:9], s[16:17], v8, 36, v[38:39]
	v_mad_i64_i32 v[10:11], s[16:17], v10, 36, v[38:39]
	;; [unrolled: 1-line block ×4, first 2 shown]
	global_load_dword v104, v[112:113], off
	s_nop 0
	global_load_dword v0, v[0:1], off offset:4
	s_nop 0
	global_load_dword v1, v[2:3], off offset:4
	;; [unrolled: 2-line block ×3, first 2 shown]
	global_load_dword v3, v[6:7], off offset:4
	s_nop 0
	global_load_dword v4, v[8:9], off offset:4
	global_load_dword v5, v[10:11], off offset:4
	;; [unrolled: 1-line block ×4, first 2 shown]
	s_mov_b32 s15, 16
	v_mov_b32_e32 v11, v128
	v_mov_b32_e32 v13, v127
	s_waitcnt vmcnt(8)
	v_cvt_f32_f16_e32 v8, v104
	s_waitcnt vmcnt(7)
	ds_write_b32 v141, v0
	s_waitcnt vmcnt(6)
	ds_write_b32 v142, v1
	;; [unrolled: 2-line block ×8, first 2 shown]
	ds_write_b32 v37, v8
	s_waitcnt lgkmcnt(0)
	s_barrier
.LBB147_12:                             ;   Parent Loop BB147_6 Depth=1
                                        ; =>  This Inner Loop Header: Depth=2
	s_and_b32 s18, s15, 0x3ffffff8
	v_lshl_add_u32 v12, s18, 2, v126
	ds_read2_b32 v[112:113], v13 offset1:32
	ds_read_b128 v[4:7], v11
	ds_read_b128 v[0:3], v11 offset:16
	ds_read2_b32 v[8:9], v12 offset1:1
	ds_read2_b32 v[14:15], v12 offset0:4 offset1:5
	s_add_i32 s16, s15, -16
	s_lshr_b32 s18, s15, 2
	s_and_b32 s17, s15, -16
	s_waitcnt lgkmcnt(1)
	v_ashrrev_i32_e32 v8, s16, v8
	v_and_b32_e32 v123, 0x3030303, v8
	v_ashrrev_i32_e32 v8, s16, v9
	v_and_b32_e32 v120, 0x3030303, v8
	ds_read2_b32 v[8:9], v12 offset0:2 offset1:3
	ds_read2_b32 v[114:115], v12 offset0:6 offset1:7
	s_and_b32 s18, s18, 0x3ffffffc
	s_add_i32 s17, s15, s17
	s_addk_i32 s18, 0x7280
	s_waitcnt lgkmcnt(1)
	v_ashrrev_i32_e32 v8, s16, v8
	v_and_b32_e32 v121, 0x3030303, v8
	v_ashrrev_i32_e32 v8, s16, v9
	v_and_b32_e32 v122, 0x3030303, v8
	;; [unrolled: 2-line block ×4, first 2 shown]
	s_waitcnt lgkmcnt(0)
	v_ashrrev_i32_e32 v8, s16, v114
	v_and_b32_e32 v116, 0x3030303, v8
	v_ashrrev_i32_e32 v8, s16, v115
	v_and_b32_e32 v118, 0x3030303, v8
	v_add_u32_e32 v8, s17, v129
	v_add3_u32 v10, s18, v149, v150
	ds_read_b32 v10, v10
	ds_read_u16 v8, v8 offset:25072
	v_add3_u32 v104, s18, v151, v152
	v_add3_u32 v108, s18, v153, v154
	v_mov_b32_e32 v115, 0
	v_mov_b32_e32 v201, 0
	s_waitcnt lgkmcnt(0)
	v_bfe_u32 v14, v8, 4, 4
	v_mul_lo_u32 v174, v14, s9
	v_lshrrev_b32_sdwa v14, v157, v8 dst_sel:DWORD dst_unused:UNUSED_PAD src0_sel:DWORD src1_sel:BYTE_1
	v_mul_lo_u32 v175, v14, s9
	v_add_u32_e32 v14, 0x1080, v12
	ds_read2_b32 v[160:161], v14 offset1:1
	v_mov_b32_e32 v204, 0
	v_mov_b32_e32 v207, 0
	v_dot4c_i32_i8_e32 v115, v174, v4
	v_mov_b32_e32 v114, 0
	s_waitcnt lgkmcnt(0)
	v_ashrrev_i32_e32 v14, s16, v160
	v_and_b32_e32 v172, 0x3030303, v14
	v_ashrrev_i32_e32 v14, s16, v161
	v_and_b32_e32 v169, 0x3030303, v14
	v_add_u32_e32 v14, 0x1088, v12
	ds_read2_b32 v[160:161], v14 offset1:1
	v_dot4c_i32_i8_e32 v115, v174, v5
	v_mov_b32_e32 v200, 0
	v_mov_b32_e32 v203, 0
	v_mov_b32_e32 v206, 0
	s_waitcnt lgkmcnt(0)
	v_ashrrev_i32_e32 v14, s16, v160
	v_and_b32_e32 v170, 0x3030303, v14
	v_ashrrev_i32_e32 v14, s16, v161
	v_and_b32_e32 v171, 0x3030303, v14
	v_add_u32_e32 v14, 0x1090, v12
	ds_read2_b32 v[160:161], v14 offset1:1
	v_dot4c_i32_i8_e32 v114, v123, v4
	v_dot4c_i32_i8_e32 v115, v174, v6
	;; [unrolled: 1-line block ×4, first 2 shown]
	s_waitcnt lgkmcnt(0)
	v_ashrrev_i32_e32 v14, s16, v160
	v_and_b32_e32 v164, 0x3030303, v14
	v_ashrrev_i32_e32 v14, s16, v161
	v_and_b32_e32 v165, 0x3030303, v14
	v_add_u32_e32 v14, 0x1098, v12
	ds_read2_b32 v[160:161], v14 offset1:1
	v_mov_b32_e32 v202, 0
	v_mov_b32_e32 v205, 0
	;; [unrolled: 1-line block ×4, first 2 shown]
	s_waitcnt lgkmcnt(0)
	v_ashrrev_i32_e32 v14, s16, v160
	v_and_b32_e32 v166, 0x3030303, v14
	v_ashrrev_i32_e32 v14, s16, v161
	v_and_b32_e32 v167, 0x3030303, v14
	v_add_u32_e32 v14, s17, v131
	ds_read_b32 v106, v104
	ds_read_u16 v14, v14 offset:26096
	v_dot4c_i32_i8_e32 v202, v9, v0
	v_dot4c_i32_i8_e32 v115, v175, v0
	;; [unrolled: 1-line block ×4, first 2 shown]
	s_waitcnt lgkmcnt(0)
	v_bfe_u32 v104, v14, 4, 4
	v_mul_lo_u32 v173, v104, s9
	v_and_b32_e32 v182, 15, v14
	v_lshrrev_b32_sdwa v104, v157, v14 dst_sel:DWORD dst_unused:UNUSED_PAD src0_sel:DWORD src1_sel:BYTE_1
	v_and_b32_sdwa v191, v14, v158 dst_sel:DWORD dst_unused:UNUSED_PAD src0_sel:BYTE_1 src1_sel:DWORD
	v_add_u32_e32 v14, 0x2100, v12
	ds_read2_b32 v[160:161], v14 offset1:1
	v_dot4c_i32_i8_e32 v201, v173, v4
	v_dot4c_i32_i8_e32 v201, v173, v5
	;; [unrolled: 1-line block ×4, first 2 shown]
	s_waitcnt lgkmcnt(0)
	v_ashrrev_i32_e32 v14, s16, v160
	v_and_b32_e32 v186, 0x3030303, v14
	v_ashrrev_i32_e32 v14, s16, v161
	v_and_b32_e32 v183, 0x3030303, v14
	v_add_u32_e32 v14, 0x2108, v12
	ds_read2_b32 v[160:161], v14 offset1:1
	v_dot4c_i32_i8_e32 v203, v186, v4
	v_mul_lo_u32 v190, v104, s9
	v_dot4c_i32_i8_e32 v201, v190, v0
	v_dot4c_i32_i8_e32 v202, v15, v1
	s_waitcnt lgkmcnt(0)
	v_ashrrev_i32_e32 v14, s16, v160
	v_and_b32_e32 v184, 0x3030303, v14
	v_ashrrev_i32_e32 v14, s16, v161
	v_and_b32_e32 v185, 0x3030303, v14
	v_add_u32_e32 v14, 0x2110, v12
	ds_read2_b32 v[160:161], v14 offset1:1
	v_dot4c_i32_i8_e32 v115, v175, v1
	v_dot4c_i32_i8_e32 v200, v169, v5
	;; [unrolled: 1-line block ×4, first 2 shown]
	s_waitcnt lgkmcnt(0)
	v_ashrrev_i32_e32 v14, s16, v160
	v_and_b32_e32 v178, 0x3030303, v14
	v_ashrrev_i32_e32 v14, s16, v161
	v_and_b32_e32 v179, 0x3030303, v14
	v_add_u32_e32 v14, 0x2118, v12
	ds_read2_b32 v[160:161], v14 offset1:1
	v_dot4c_i32_i8_e32 v208, v178, v0
	v_dot4c_i32_i8_e32 v203, v183, v5
	;; [unrolled: 1-line block ×4, first 2 shown]
	s_waitcnt lgkmcnt(0)
	v_ashrrev_i32_e32 v14, s16, v160
	v_and_b32_e32 v180, 0x3030303, v14
	v_ashrrev_i32_e32 v14, s16, v161
	v_and_b32_e32 v181, 0x3030303, v14
	v_add_u32_e32 v14, s17, v133
	ds_read_b32 v110, v108
	ds_read_u16 v14, v14 offset:27120
	v_dot4c_i32_i8_e32 v202, v116, v2
	v_dot4c_i32_i8_e32 v115, v175, v2
	;; [unrolled: 1-line block ×4, first 2 shown]
	s_waitcnt lgkmcnt(0)
	v_bfe_u32 v108, v14, 4, 4
	v_mul_lo_u32 v187, v108, s9
	v_and_b32_e32 v192, 15, v14
	v_lshrrev_b32_sdwa v108, v157, v14 dst_sel:DWORD dst_unused:UNUSED_PAD src0_sel:DWORD src1_sel:BYTE_1
	v_and_b32_sdwa v199, v14, v158 dst_sel:DWORD dst_unused:UNUSED_PAD src0_sel:BYTE_1 src1_sel:DWORD
	v_add_u32_e32 v14, 0x3180, v12
	ds_read2_b32 v[160:161], v14 offset1:1
	v_dot4c_i32_i8_e32 v204, v187, v4
	v_dot4c_i32_i8_e32 v204, v187, v5
	;; [unrolled: 1-line block ×4, first 2 shown]
	s_waitcnt lgkmcnt(0)
	v_ashrrev_i32_e32 v14, s16, v160
	v_and_b32_e32 v196, 0x3030303, v14
	v_ashrrev_i32_e32 v14, s16, v161
	v_and_b32_e32 v193, 0x3030303, v14
	v_add_u32_e32 v14, 0x3188, v12
	ds_read2_b32 v[160:161], v14 offset1:1
	v_dot4c_i32_i8_e32 v206, v196, v4
	v_mul_lo_u32 v198, v108, s9
	v_dot4c_i32_i8_e32 v204, v198, v0
	v_dot4c_i32_i8_e32 v204, v198, v1
	s_waitcnt lgkmcnt(0)
	v_ashrrev_i32_e32 v14, s16, v160
	v_and_b32_e32 v194, 0x3030303, v14
	v_ashrrev_i32_e32 v14, s16, v161
	v_and_b32_e32 v195, 0x3030303, v14
	v_add_u32_e32 v14, 0x3190, v12
	v_add_u32_e32 v12, 0x3198, v12
	ds_read2_b32 v[160:161], v14 offset1:1
	ds_read2_b32 v[162:163], v12 offset1:1
	v_dot4c_i32_i8_e32 v206, v193, v5
	v_dot4c_i32_i8_e32 v201, v190, v2
	;; [unrolled: 1-line block ×3, first 2 shown]
	s_waitcnt lgkmcnt(1)
	v_ashrrev_i32_e32 v14, s16, v160
	s_waitcnt lgkmcnt(0)
	v_ashrrev_i32_e32 v12, s16, v162
	v_and_b32_e32 v160, 0x3030303, v14
	v_ashrrev_i32_e32 v14, s16, v161
	v_and_b32_e32 v162, 0x3030303, v12
	;; [unrolled: 2-line block ×3, first 2 shown]
	v_and_b32_e32 v163, 0x3030303, v12
	v_add_u32_e32 v12, s17, v135
	v_add3_u32 v14, s18, v155, v156
	ds_read_b32 v14, v14
	ds_read_u16 v12, v12 offset:28144
	v_dot4c_i32_i8_e32 v209, v160, v0
	v_dot4c_i32_i8_e32 v209, v161, v1
	;; [unrolled: 1-line block ×4, first 2 shown]
	s_waitcnt lgkmcnt(0)
	v_bfe_u32 v177, v12, 4, 4
	v_mul_lo_u32 v197, v177, s9
	v_dot4c_i32_i8_e32 v207, v197, v4
	v_dot4c_i32_i8_e32 v207, v197, v5
	;; [unrolled: 1-line block ×3, first 2 shown]
	v_lshrrev_b32_sdwa v4, v157, v12 dst_sel:DWORD dst_unused:UNUSED_PAD src0_sel:DWORD src1_sel:BYTE_1
	v_dot4c_i32_i8_e32 v207, v197, v7
	v_mul_lo_u32 v188, v4, s9
	v_dot4c_i32_i8_e32 v207, v188, v0
	v_dot4c_i32_i8_e32 v207, v188, v1
	;; [unrolled: 1-line block ×17, first 2 shown]
	ds_read_b128 v[4:7], v11 offset:1024
	ds_read_b128 v[0:3], v11 offset:1040
	v_mov_b32_e32 v214, 0
	v_mov_b32_e32 v210, 0
	;; [unrolled: 1-line block ×3, first 2 shown]
	s_waitcnt lgkmcnt(1)
	v_dot4c_i32_i8_e32 v214, v174, v4
	v_dot4c_i32_i8_e32 v214, v174, v5
	v_dot4c_i32_i8_e32 v214, v174, v6
	v_dot4c_i32_i8_e32 v210, v123, v4
	v_dot4c_i32_i8_e32 v214, v174, v7
	v_dot4c_i32_i8_e32 v210, v120, v5
	s_waitcnt lgkmcnt(0)
	v_dot4c_i32_i8_e32 v211, v9, v0
	v_dot4c_i32_i8_e32 v214, v175, v0
	;; [unrolled: 1-line block ×5, first 2 shown]
	v_and_b32_e32 v168, 15, v8
	v_and_b32_sdwa v176, v8, v158 dst_sel:DWORD dst_unused:UNUSED_PAD src0_sel:BYTE_1 src1_sel:DWORD
	v_dot4c_i32_i8_e32 v210, v122, v7
	v_dot4c_i32_i8_e32 v211, v116, v2
	;; [unrolled: 1-line block ×5, first 2 shown]
	v_mul_lo_u32 v202, v176, v202
	v_mul_lo_u32 v210, v168, v210
	v_cvt_f32_f16_e32 v8, v10
	v_cvt_f32_f16_sdwa v10, v10 dst_sel:DWORD dst_unused:UNUSED_PAD src0_sel:WORD_1
	v_mad_u64_u32 v[210:211], s[16:17], v176, v211, v[210:211]
	v_mad_u64_u32 v[212:213], s[16:17], v168, v114, v[202:203]
	v_cvt_f32_i32_e32 v115, v115
	v_cvt_f32_i32_e32 v114, v214
	;; [unrolled: 1-line block ×4, first 2 shown]
	v_mov_b32_e32 v212, 0
	v_dot4c_i32_i8_e32 v212, v173, v4
	v_pk_mul_f32 v[114:115], v[10:11], v[114:115] op_sel_hi:[0,1]
	v_dot4c_i32_i8_e32 v212, v173, v5
	v_pk_fma_f32 v[210:211], v[8:9], v[210:211], v[114:115] op_sel_hi:[0,1,1] neg_lo:[0,0,1] neg_hi:[0,0,1]
	v_mov_b32_e32 v114, v113
	v_mov_b32_e32 v115, v112
	;; [unrolled: 1-line block ×3, first 2 shown]
	v_dot4c_i32_i8_e32 v212, v173, v6
	v_pk_fma_f32 v[40:41], v[114:115], v[210:211], v[40:41]
	v_dot4c_i32_i8_e32 v113, v172, v4
	v_dot4c_i32_i8_e32 v212, v173, v7
	v_mov_b32_e32 v210, 0
	v_dot4c_i32_i8_e32 v113, v169, v5
	v_dot4c_i32_i8_e32 v210, v164, v0
	v_dot4c_i32_i8_e32 v212, v190, v0
	v_dot4c_i32_i8_e32 v113, v170, v6
	v_dot4c_i32_i8_e32 v210, v165, v1
	v_dot4c_i32_i8_e32 v212, v190, v1
	v_dot4c_i32_i8_e32 v113, v171, v7
	v_dot4c_i32_i8_e32 v210, v166, v2
	v_dot4c_i32_i8_e32 v212, v190, v2
	v_dot4c_i32_i8_e32 v210, v167, v3
	v_dot4c_i32_i8_e32 v212, v190, v3
	v_mul_lo_u32 v112, v191, v205
	v_mul_lo_u32 v202, v182, v113
                                        ; kill: def $vgpr113 killed $sgpr0 killed $exec
	v_cvt_f32_f16_e32 v104, v106
	v_cvt_f32_f16_sdwa v106, v106 dst_sel:DWORD dst_unused:UNUSED_PAD src0_sel:WORD_1
	v_mad_u64_u32 v[210:211], s[16:17], v191, v210, v[202:203]
	v_mad_u64_u32 v[112:113], s[16:17], v182, v200, v[112:113]
	v_cvt_f32_i32_e32 v201, v201
	v_cvt_f32_i32_e32 v200, v212
	v_cvt_f32_i32_e32 v113, v112
	v_cvt_f32_i32_e32 v112, v210
	v_mov_b32_e32 v202, 0
	v_pk_mul_f32 v[200:201], v[106:107], v[200:201] op_sel_hi:[0,1]
	v_dot4c_i32_i8_e32 v202, v187, v4
	v_pk_fma_f32 v[112:113], v[104:105], v[112:113], v[200:201] op_sel_hi:[0,1,1] neg_lo:[0,0,1] neg_hi:[0,0,1]
	v_pk_fma_f32 v[92:93], v[114:115], v[112:113], v[92:93]
	v_mov_b32_e32 v113, 0
	v_dot4c_i32_i8_e32 v202, v187, v5
	v_dot4c_i32_i8_e32 v113, v186, v4
	;; [unrolled: 1-line block ×3, first 2 shown]
	v_mov_b32_e32 v201, 0
	v_dot4c_i32_i8_e32 v113, v183, v5
	v_dot4c_i32_i8_e32 v202, v187, v7
	;; [unrolled: 1-line block ×11, first 2 shown]
	v_mul_lo_u32 v112, v199, v208
	v_mul_lo_u32 v200, v192, v113
                                        ; kill: def $vgpr113 killed $sgpr0 killed $exec
	v_dot4c_i32_i8_e32 v202, v198, v3
	v_mad_u64_u32 v[200:201], s[16:17], v199, v201, v[200:201]
	v_mad_u64_u32 v[112:113], s[16:17], v192, v203, v[112:113]
	v_cvt_f32_f16_e32 v108, v110
	v_cvt_f32_f16_sdwa v110, v110 dst_sel:DWORD dst_unused:UNUSED_PAD src0_sel:WORD_1
	v_cvt_f32_i32_e32 v113, v112
	v_cvt_f32_i32_e32 v112, v200
	;; [unrolled: 1-line block ×4, first 2 shown]
	v_and_b32_e32 v177, 15, v12
	v_and_b32_sdwa v189, v12, v158 dst_sel:DWORD dst_unused:UNUSED_PAD src0_sel:BYTE_1 src1_sel:DWORD
	v_cvt_f32_f16_e32 v12, v14
	v_pk_mul_f32 v[200:201], v[110:111], v[200:201] op_sel_hi:[0,1]
	v_pk_fma_f32 v[112:113], v[108:109], v[112:113], v[200:201] op_sel_hi:[0,1,1] neg_lo:[0,0,1] neg_hi:[0,0,1]
	v_pk_fma_f32 v[98:99], v[114:115], v[112:113], v[98:99]
	v_mov_b32_e32 v113, 0
	v_dot4c_i32_i8_e32 v113, v197, v4
	v_mov_b32_e32 v112, 0
	v_dot4c_i32_i8_e32 v113, v197, v5
	v_dot4c_i32_i8_e32 v112, v196, v4
	;; [unrolled: 1-line block ×3, first 2 shown]
	v_mov_b32_e32 v4, 0
	v_dot4c_i32_i8_e32 v112, v193, v5
	v_dot4c_i32_i8_e32 v113, v197, v7
	;; [unrolled: 1-line block ×11, first 2 shown]
	v_mul_lo_u32 v0, v189, v209
	v_mul_lo_u32 v2, v177, v112
                                        ; kill: def $vgpr1 killed $sgpr0 killed $exec
	v_dot4c_i32_i8_e32 v113, v188, v3
	v_mad_u64_u32 v[2:3], s[16:17], v189, v4, v[2:3]
	v_mad_u64_u32 v[0:1], s[16:17], v177, v206, v[0:1]
	v_cvt_f32_f16_sdwa v14, v14 dst_sel:DWORD dst_unused:UNUSED_PAD src0_sel:WORD_1
	v_cvt_f32_i32_e32 v1, v0
	v_cvt_f32_i32_e32 v0, v2
	v_cvt_f32_i32_e32 v3, v207
	v_cvt_f32_i32_e32 v2, v113
	v_mov_b32_e32 v206, 0
	v_mov_b32_e32 v208, 0
	;; [unrolled: 1-line block ×3, first 2 shown]
	v_pk_mul_f32 v[2:3], v[14:15], v[2:3] op_sel_hi:[0,1]
	v_pk_fma_f32 v[0:1], v[12:13], v[0:1], v[2:3] op_sel_hi:[0,1,1] neg_lo:[0,0,1] neg_hi:[0,0,1]
	v_pk_fma_f32 v[102:103], v[114:115], v[0:1], v[102:103]
	ds_read2_b32 v[112:113], v13 offset0:64 offset1:96
	ds_read_b128 v[4:7], v11 offset:2048
	ds_read_b128 v[0:3], v11 offset:2064
	v_mov_b32_e32 v201, 0
	v_mov_b32_e32 v115, 0
	;; [unrolled: 1-line block ×3, first 2 shown]
	s_waitcnt lgkmcnt(1)
	v_dot4c_i32_i8_e32 v206, v174, v4
	v_dot4c_i32_i8_e32 v208, v173, v4
	;; [unrolled: 1-line block ×13, first 2 shown]
	v_mov_b32_e32 v207, 0
	v_dot4c_i32_i8_e32 v208, v173, v7
	v_mov_b32_e32 v209, 0
	v_mov_b32_e32 v202, 0
	v_dot4c_i32_i8_e32 v203, v187, v7
	v_mov_b32_e32 v210, 0
	;; [unrolled: 3-line block ×3, first 2 shown]
	v_dot4c_i32_i8_e32 v115, v123, v4
	s_waitcnt lgkmcnt(0)
	v_dot4c_i32_i8_e32 v114, v9, v0
	v_dot4c_i32_i8_e32 v206, v175, v0
	;; [unrolled: 1-line block ×47, first 2 shown]
	ds_read_b128 v[4:7], v11 offset:3072
	ds_read_b128 v[0:3], v11 offset:3088
	v_mov_b32_e32 v212, 0
	v_mov_b32_e32 v204, 0
	;; [unrolled: 1-line block ×3, first 2 shown]
	s_waitcnt lgkmcnt(1)
	v_dot4c_i32_i8_e32 v212, v174, v4
	v_dot4c_i32_i8_e32 v212, v174, v5
	;; [unrolled: 1-line block ×6, first 2 shown]
	s_waitcnt lgkmcnt(0)
	v_dot4c_i32_i8_e32 v205, v9, v0
	v_dot4c_i32_i8_e32 v204, v121, v6
	v_dot4c_i32_i8_e32 v212, v175, v0
	v_dot4c_i32_i8_e32 v205, v15, v1
	v_dot4c_i32_i8_e32 v204, v122, v7
	v_dot4c_i32_i8_e32 v212, v175, v1
	v_dot4c_i32_i8_e32 v205, v116, v2
	v_dot4c_i32_i8_e32 v212, v175, v2
	v_dot4c_i32_i8_e32 v205, v118, v3
	v_mul_lo_u32 v114, v114, v176
	v_mul_lo_u32 v204, v204, v168
	v_dot4c_i32_i8_e32 v212, v175, v3
	v_mad_u64_u32 v[204:205], s[16:17], v205, v176, v[204:205]
	v_mad_u64_u32 v[114:115], s[16:17], v115, v168, v[114:115]
	v_cvt_f32_i32_e32 v115, v114
	v_cvt_f32_i32_e32 v114, v204
	v_cvt_f32_i32_e32 v205, v206
	v_cvt_f32_i32_e32 v204, v212
	v_mov_b32_e32 v206, 0
	v_dot4c_i32_i8_e32 v206, v173, v4
	v_dot4c_i32_i8_e32 v206, v173, v5
	v_pk_mul_f32 v[204:205], v[10:11], v[204:205] op_sel_hi:[0,1]
	v_pk_fma_f32 v[204:205], v[8:9], v[114:115], v[204:205] op_sel_hi:[0,1,1] neg_lo:[0,0,1] neg_hi:[0,0,1]
	v_mov_b32_e32 v114, v113
	v_mov_b32_e32 v115, v112
	;; [unrolled: 1-line block ×3, first 2 shown]
	v_pk_fma_f32 v[74:75], v[114:115], v[204:205], v[74:75]
	v_dot4c_i32_i8_e32 v113, v172, v4
	v_dot4c_i32_i8_e32 v206, v173, v6
	v_mov_b32_e32 v205, 0
	v_dot4c_i32_i8_e32 v113, v169, v5
	v_dot4c_i32_i8_e32 v206, v173, v7
	;; [unrolled: 1-line block ×11, first 2 shown]
	v_mul_lo_u32 v112, v209, v191
	v_mul_lo_u32 v204, v113, v182
                                        ; kill: def $vgpr113 killed $sgpr0 killed $exec
	v_dot4c_i32_i8_e32 v206, v190, v3
	v_mad_u64_u32 v[204:205], s[16:17], v205, v191, v[204:205]
	v_mad_u64_u32 v[112:113], s[16:17], v207, v182, v[112:113]
	v_cvt_f32_i32_e32 v113, v112
	v_cvt_f32_i32_e32 v112, v204
	;; [unrolled: 1-line block ×4, first 2 shown]
	v_mov_b32_e32 v206, 0
	v_dot4c_i32_i8_e32 v206, v187, v4
	v_dot4c_i32_i8_e32 v206, v187, v5
	v_pk_mul_f32 v[204:205], v[106:107], v[204:205] op_sel_hi:[0,1]
	v_pk_fma_f32 v[112:113], v[104:105], v[112:113], v[204:205] op_sel_hi:[0,1,1] neg_lo:[0,0,1] neg_hi:[0,0,1]
	v_pk_fma_f32 v[86:87], v[114:115], v[112:113], v[86:87]
	v_mov_b32_e32 v113, 0
	v_dot4c_i32_i8_e32 v206, v187, v6
	v_dot4c_i32_i8_e32 v113, v186, v4
	;; [unrolled: 1-line block ×3, first 2 shown]
	v_mov_b32_e32 v205, 0
	v_dot4c_i32_i8_e32 v113, v183, v5
	v_dot4c_i32_i8_e32 v205, v178, v0
	;; [unrolled: 1-line block ×11, first 2 shown]
	v_mul_lo_u32 v112, v210, v199
	v_mul_lo_u32 v204, v113, v192
                                        ; kill: def $vgpr113 killed $sgpr0 killed $exec
	v_mad_u64_u32 v[204:205], s[16:17], v205, v199, v[204:205]
	v_mad_u64_u32 v[112:113], s[16:17], v202, v192, v[112:113]
	v_cvt_f32_i32_e32 v203, v203
	v_cvt_f32_i32_e32 v202, v206
	;; [unrolled: 1-line block ×4, first 2 shown]
	v_mov_b32_e32 v206, 0
	v_pk_mul_f32 v[202:203], v[110:111], v[202:203] op_sel_hi:[0,1]
	v_mov_b32_e32 v208, 0
	v_pk_fma_f32 v[112:113], v[108:109], v[112:113], v[202:203] op_sel_hi:[0,1,1] neg_lo:[0,0,1] neg_hi:[0,0,1]
	v_pk_fma_f32 v[94:95], v[114:115], v[112:113], v[94:95]
	v_mov_b32_e32 v113, 0
	v_dot4c_i32_i8_e32 v113, v197, v4
	v_mov_b32_e32 v112, 0
	v_dot4c_i32_i8_e32 v113, v197, v5
	v_dot4c_i32_i8_e32 v112, v196, v4
	;; [unrolled: 1-line block ×3, first 2 shown]
	v_mov_b32_e32 v4, 0
	v_dot4c_i32_i8_e32 v112, v193, v5
	v_dot4c_i32_i8_e32 v113, v197, v7
	;; [unrolled: 1-line block ×11, first 2 shown]
	v_mul_lo_u32 v0, v211, v189
	v_mul_lo_u32 v2, v112, v177
                                        ; kill: def $vgpr1 killed $sgpr0 killed $exec
	v_dot4c_i32_i8_e32 v113, v188, v3
	v_mad_u64_u32 v[2:3], s[16:17], v4, v189, v[2:3]
	v_mad_u64_u32 v[0:1], s[16:17], v200, v177, v[0:1]
	v_cvt_f32_i32_e32 v1, v0
	v_cvt_f32_i32_e32 v0, v2
	v_cvt_f32_i32_e32 v3, v201
	v_cvt_f32_i32_e32 v2, v113
	v_mov_b32_e32 v203, 0
	v_mov_b32_e32 v201, 0
	;; [unrolled: 1-line block ×3, first 2 shown]
	v_pk_mul_f32 v[2:3], v[14:15], v[2:3] op_sel_hi:[0,1]
	v_pk_fma_f32 v[0:1], v[12:13], v[0:1], v[2:3] op_sel_hi:[0,1,1] neg_lo:[0,0,1] neg_hi:[0,0,1]
	v_pk_fma_f32 v[100:101], v[114:115], v[0:1], v[100:101]
	ds_read2_b32 v[112:113], v13 offset0:128 offset1:160
	ds_read_b128 v[4:7], v11 offset:4096
	ds_read_b128 v[0:3], v11 offset:4112
	v_mov_b32_e32 v115, 0
	v_mov_b32_e32 v114, 0
	;; [unrolled: 1-line block ×3, first 2 shown]
	s_waitcnt lgkmcnt(1)
	v_dot4c_i32_i8_e32 v206, v174, v4
	v_dot4c_i32_i8_e32 v208, v173, v4
	v_dot4c_i32_i8_e32 v203, v187, v4
	v_dot4c_i32_i8_e32 v201, v197, v4
	v_dot4c_i32_i8_e32 v206, v174, v5
	v_dot4c_i32_i8_e32 v208, v173, v5
	v_dot4c_i32_i8_e32 v203, v187, v5
	v_dot4c_i32_i8_e32 v201, v197, v5
	v_dot4c_i32_i8_e32 v206, v174, v6
	v_dot4c_i32_i8_e32 v208, v173, v6
	v_dot4c_i32_i8_e32 v203, v187, v6
	v_dot4c_i32_i8_e32 v201, v197, v6
	v_dot4c_i32_i8_e32 v206, v174, v7
	v_dot4c_i32_i8_e32 v208, v173, v7
	v_mov_b32_e32 v202, 0
	v_dot4c_i32_i8_e32 v203, v187, v7
	v_mov_b32_e32 v210, 0
	v_mov_b32_e32 v200, 0
	v_dot4c_i32_i8_e32 v201, v197, v7
	v_mov_b32_e32 v211, 0
	v_dot4c_i32_i8_e32 v115, v123, v4
	s_waitcnt lgkmcnt(0)
	v_dot4c_i32_i8_e32 v114, v9, v0
	v_dot4c_i32_i8_e32 v206, v175, v0
	;; [unrolled: 1-line block ×47, first 2 shown]
	ds_read_b128 v[4:7], v11 offset:5120
	ds_read_b128 v[0:3], v11 offset:5136
	v_mov_b32_e32 v212, 0
	v_mov_b32_e32 v204, 0
	;; [unrolled: 1-line block ×3, first 2 shown]
	s_waitcnt lgkmcnt(1)
	v_dot4c_i32_i8_e32 v212, v174, v4
	v_dot4c_i32_i8_e32 v212, v174, v5
	;; [unrolled: 1-line block ×6, first 2 shown]
	s_waitcnt lgkmcnt(0)
	v_dot4c_i32_i8_e32 v205, v9, v0
	v_dot4c_i32_i8_e32 v204, v121, v6
	;; [unrolled: 1-line block ×9, first 2 shown]
	v_mul_lo_u32 v114, v114, v176
	v_mul_lo_u32 v204, v204, v168
	v_dot4c_i32_i8_e32 v212, v175, v3
	v_mad_u64_u32 v[204:205], s[16:17], v205, v176, v[204:205]
	v_mad_u64_u32 v[114:115], s[16:17], v115, v168, v[114:115]
	v_cvt_f32_i32_e32 v115, v114
	v_cvt_f32_i32_e32 v114, v204
	;; [unrolled: 1-line block ×4, first 2 shown]
	v_mov_b32_e32 v206, 0
	v_dot4c_i32_i8_e32 v206, v173, v4
	v_dot4c_i32_i8_e32 v206, v173, v5
	v_pk_mul_f32 v[204:205], v[10:11], v[204:205] op_sel_hi:[0,1]
	v_pk_fma_f32 v[204:205], v[8:9], v[114:115], v[204:205] op_sel_hi:[0,1,1] neg_lo:[0,0,1] neg_hi:[0,0,1]
	v_mov_b32_e32 v114, v113
	v_mov_b32_e32 v115, v112
	;; [unrolled: 1-line block ×3, first 2 shown]
	v_pk_fma_f32 v[66:67], v[114:115], v[204:205], v[66:67]
	v_dot4c_i32_i8_e32 v113, v172, v4
	v_dot4c_i32_i8_e32 v206, v173, v6
	v_mov_b32_e32 v205, 0
	v_dot4c_i32_i8_e32 v113, v169, v5
	v_dot4c_i32_i8_e32 v206, v173, v7
	;; [unrolled: 1-line block ×11, first 2 shown]
	v_mul_lo_u32 v112, v209, v191
	v_mul_lo_u32 v204, v113, v182
                                        ; kill: def $vgpr113 killed $sgpr0 killed $exec
	v_dot4c_i32_i8_e32 v206, v190, v3
	v_mad_u64_u32 v[204:205], s[16:17], v205, v191, v[204:205]
	v_mad_u64_u32 v[112:113], s[16:17], v207, v182, v[112:113]
	v_cvt_f32_i32_e32 v113, v112
	v_cvt_f32_i32_e32 v112, v204
	v_cvt_f32_i32_e32 v205, v208
	v_cvt_f32_i32_e32 v204, v206
	v_mov_b32_e32 v206, 0
	v_dot4c_i32_i8_e32 v206, v187, v4
	v_dot4c_i32_i8_e32 v206, v187, v5
	v_pk_mul_f32 v[204:205], v[106:107], v[204:205] op_sel_hi:[0,1]
	v_pk_fma_f32 v[112:113], v[104:105], v[112:113], v[204:205] op_sel_hi:[0,1,1] neg_lo:[0,0,1] neg_hi:[0,0,1]
	v_pk_fma_f32 v[76:77], v[114:115], v[112:113], v[76:77]
	v_mov_b32_e32 v113, 0
	v_dot4c_i32_i8_e32 v206, v187, v6
	v_dot4c_i32_i8_e32 v113, v186, v4
	v_dot4c_i32_i8_e32 v206, v187, v7
	v_mov_b32_e32 v205, 0
	v_dot4c_i32_i8_e32 v113, v183, v5
	v_dot4c_i32_i8_e32 v205, v178, v0
	;; [unrolled: 1-line block ×11, first 2 shown]
	v_mul_lo_u32 v112, v210, v199
	v_mul_lo_u32 v204, v113, v192
                                        ; kill: def $vgpr113 killed $sgpr0 killed $exec
	v_mad_u64_u32 v[204:205], s[16:17], v205, v199, v[204:205]
	v_mad_u64_u32 v[112:113], s[16:17], v202, v192, v[112:113]
	v_cvt_f32_i32_e32 v203, v203
	v_cvt_f32_i32_e32 v202, v206
	;; [unrolled: 1-line block ×4, first 2 shown]
	v_mov_b32_e32 v204, 0
	v_pk_mul_f32 v[202:203], v[110:111], v[202:203] op_sel_hi:[0,1]
	v_mov_b32_e32 v207, 0
	v_pk_fma_f32 v[112:113], v[108:109], v[112:113], v[202:203] op_sel_hi:[0,1,1] neg_lo:[0,0,1] neg_hi:[0,0,1]
	v_pk_fma_f32 v[88:89], v[114:115], v[112:113], v[88:89]
	v_mov_b32_e32 v113, 0
	v_dot4c_i32_i8_e32 v113, v197, v4
	v_mov_b32_e32 v112, 0
	v_dot4c_i32_i8_e32 v113, v197, v5
	v_dot4c_i32_i8_e32 v112, v196, v4
	;; [unrolled: 1-line block ×3, first 2 shown]
	v_mov_b32_e32 v4, 0
	v_dot4c_i32_i8_e32 v112, v193, v5
	v_dot4c_i32_i8_e32 v113, v197, v7
	;; [unrolled: 1-line block ×11, first 2 shown]
	v_mul_lo_u32 v0, v211, v189
	v_mul_lo_u32 v2, v112, v177
                                        ; kill: def $vgpr1 killed $sgpr0 killed $exec
	v_dot4c_i32_i8_e32 v113, v188, v3
	v_mad_u64_u32 v[2:3], s[16:17], v4, v189, v[2:3]
	v_mad_u64_u32 v[0:1], s[16:17], v200, v177, v[0:1]
	v_cvt_f32_i32_e32 v1, v0
	v_cvt_f32_i32_e32 v0, v2
	;; [unrolled: 1-line block ×4, first 2 shown]
	v_mov_b32_e32 v202, 0
	v_mov_b32_e32 v203, 0
	;; [unrolled: 1-line block ×3, first 2 shown]
	v_pk_mul_f32 v[2:3], v[14:15], v[2:3] op_sel_hi:[0,1]
	v_pk_fma_f32 v[0:1], v[12:13], v[0:1], v[2:3] op_sel_hi:[0,1,1] neg_lo:[0,0,1] neg_hi:[0,0,1]
	v_pk_fma_f32 v[96:97], v[114:115], v[0:1], v[96:97]
	ds_read2_b32 v[112:113], v13 offset0:192 offset1:224
	ds_read_b128 v[4:7], v11 offset:6144
	ds_read_b128 v[0:3], v11 offset:6160
	v_mov_b32_e32 v115, 0
	v_mov_b32_e32 v206, 0
	;; [unrolled: 1-line block ×3, first 2 shown]
	s_waitcnt lgkmcnt(1)
	v_dot4c_i32_i8_e32 v204, v174, v4
	v_dot4c_i32_i8_e32 v207, v173, v4
	;; [unrolled: 1-line block ×14, first 2 shown]
	v_mov_b32_e32 v201, 0
	v_dot4c_i32_i8_e32 v202, v187, v7
	v_mov_b32_e32 v209, 0
	v_mov_b32_e32 v114, 0
	v_dot4c_i32_i8_e32 v115, v197, v7
	v_mov_b32_e32 v200, 0
	v_dot4c_i32_i8_e32 v203, v123, v4
	s_waitcnt lgkmcnt(0)
	v_dot4c_i32_i8_e32 v205, v9, v0
	v_dot4c_i32_i8_e32 v204, v175, v0
	v_dot4c_i32_i8_e32 v206, v172, v4
	v_dot4c_i32_i8_e32 v208, v164, v0
	v_dot4c_i32_i8_e32 v207, v190, v0
	v_dot4c_i32_i8_e32 v201, v186, v4
	v_dot4c_i32_i8_e32 v209, v178, v0
	v_dot4c_i32_i8_e32 v202, v198, v0
	v_dot4c_i32_i8_e32 v114, v196, v4
	v_dot4c_i32_i8_e32 v200, v160, v0
	v_dot4c_i32_i8_e32 v115, v188, v0
	v_dot4c_i32_i8_e32 v203, v120, v5
	v_dot4c_i32_i8_e32 v205, v15, v1
	v_dot4c_i32_i8_e32 v204, v175, v1
	v_dot4c_i32_i8_e32 v206, v169, v5
	v_dot4c_i32_i8_e32 v208, v165, v1
	v_dot4c_i32_i8_e32 v207, v190, v1
	v_dot4c_i32_i8_e32 v201, v183, v5
	v_dot4c_i32_i8_e32 v209, v179, v1
	v_dot4c_i32_i8_e32 v202, v198, v1
	v_dot4c_i32_i8_e32 v114, v193, v5
	v_dot4c_i32_i8_e32 v200, v161, v1
	v_dot4c_i32_i8_e32 v115, v188, v1
	v_dot4c_i32_i8_e32 v203, v121, v6
	v_dot4c_i32_i8_e32 v205, v116, v2
	v_dot4c_i32_i8_e32 v204, v175, v2
	v_dot4c_i32_i8_e32 v206, v170, v6
	v_dot4c_i32_i8_e32 v208, v166, v2
	v_dot4c_i32_i8_e32 v207, v190, v2
	v_dot4c_i32_i8_e32 v201, v184, v6
	v_dot4c_i32_i8_e32 v209, v180, v2
	v_dot4c_i32_i8_e32 v202, v198, v2
	v_dot4c_i32_i8_e32 v114, v194, v6
	v_dot4c_i32_i8_e32 v200, v162, v2
	v_dot4c_i32_i8_e32 v115, v188, v2
	v_dot4c_i32_i8_e32 v203, v122, v7
	v_dot4c_i32_i8_e32 v205, v118, v3
	v_dot4c_i32_i8_e32 v204, v175, v3
	v_dot4c_i32_i8_e32 v206, v171, v7
	v_dot4c_i32_i8_e32 v208, v167, v3
	v_dot4c_i32_i8_e32 v207, v190, v3
	v_dot4c_i32_i8_e32 v201, v185, v7
	v_dot4c_i32_i8_e32 v209, v181, v3
	v_dot4c_i32_i8_e32 v202, v198, v3
	v_dot4c_i32_i8_e32 v114, v195, v7
	v_dot4c_i32_i8_e32 v200, v163, v3
	v_dot4c_i32_i8_e32 v115, v188, v3
	ds_read_b128 v[4:7], v11 offset:7168
	ds_read_b128 v[0:3], v11 offset:7184
	v_mov_b32_e32 v211, 0
	v_mov_b32_e32 v210, 0
	s_waitcnt lgkmcnt(1)
	v_dot4c_i32_i8_e32 v211, v174, v4
	v_dot4c_i32_i8_e32 v210, v123, v4
	;; [unrolled: 1-line block ×5, first 2 shown]
	v_mov_b32_e32 v120, 0
	v_dot4c_i32_i8_e32 v211, v174, v7
	s_waitcnt lgkmcnt(0)
	v_dot4c_i32_i8_e32 v120, v9, v0
	v_dot4c_i32_i8_e32 v210, v121, v6
	v_dot4c_i32_i8_e32 v211, v175, v0
	v_dot4c_i32_i8_e32 v120, v15, v1
	v_dot4c_i32_i8_e32 v210, v122, v7
	v_dot4c_i32_i8_e32 v211, v175, v1
	v_dot4c_i32_i8_e32 v120, v116, v2
	v_dot4c_i32_i8_e32 v211, v175, v2
	v_dot4c_i32_i8_e32 v120, v118, v3
	v_mul_lo_u32 v116, v205, v176
	v_mul_lo_u32 v118, v210, v168
	v_dot4c_i32_i8_e32 v211, v175, v3
	v_mad_u64_u32 v[120:121], s[16:17], v120, v176, v[118:119]
	v_mad_u64_u32 v[122:123], s[16:17], v203, v168, v[116:117]
	v_cvt_f32_i32_e32 v121, v122
	v_cvt_f32_i32_e32 v123, v204
	;; [unrolled: 1-line block ×4, first 2 shown]
	v_mov_b32_e32 v116, 0
	v_dot4c_i32_i8_e32 v116, v173, v4
	v_pk_mul_f32 v[122:123], v[10:11], v[122:123] op_sel_hi:[0,1]
	v_mov_b32_e32 v15, 0
	v_dot4c_i32_i8_e32 v116, v173, v5
                                        ; kill: def $vgpr9 killed $sgpr0 killed $exec
	v_pk_fma_f32 v[120:121], v[8:9], v[120:121], v[122:123] op_sel_hi:[0,1,1] neg_lo:[0,0,1] neg_hi:[0,0,1]
	v_mov_b32_e32 v8, v113
	v_dot4c_i32_i8_e32 v15, v172, v4
	v_dot4c_i32_i8_e32 v116, v173, v6
	v_mov_b32_e32 v113, 0
	v_dot4c_i32_i8_e32 v15, v169, v5
	v_dot4c_i32_i8_e32 v116, v173, v7
	;; [unrolled: 1-line block ×9, first 2 shown]
	v_mov_b32_e32 v9, v112
	v_dot4c_i32_i8_e32 v116, v190, v2
	v_dot4c_i32_i8_e32 v113, v167, v3
	v_mul_lo_u32 v10, v208, v191
	v_mul_lo_u32 v112, v15, v182
	v_pk_fma_f32 v[58:59], v[8:9], v[120:121], v[58:59]
	v_dot4c_i32_i8_e32 v116, v190, v3
	v_mad_u64_u32 v[112:113], s[16:17], v113, v191, v[112:113]
	v_mad_u64_u32 v[120:121], s[16:17], v206, v182, v[10:11]
	v_cvt_f32_i32_e32 v113, v120
	v_cvt_f32_i32_e32 v121, v207
	;; [unrolled: 1-line block ×3, first 2 shown]
	v_mov_b32_e32 v15, 0
	v_cvt_f32_i32_e32 v112, v112
	v_dot4c_i32_i8_e32 v15, v186, v4
	v_dot4c_i32_i8_e32 v15, v183, v5
	;; [unrolled: 1-line block ×3, first 2 shown]
	v_pk_mul_f32 v[120:121], v[106:107], v[120:121] op_sel_hi:[0,1]
	v_dot4c_i32_i8_e32 v15, v185, v7
	v_pk_fma_f32 v[112:113], v[104:105], v[112:113], v[120:121] op_sel_hi:[0,1,1] neg_lo:[0,0,1] neg_hi:[0,0,1]
	v_mov_b32_e32 v106, 0
	v_dot4c_i32_i8_e32 v106, v187, v4
	v_mul_lo_u32 v104, v15, v192
	v_mov_b32_e32 v15, 0
	v_mul_lo_u32 v10, v209, v199
	v_dot4c_i32_i8_e32 v15, v197, v4
	v_dot4c_i32_i8_e32 v106, v187, v5
	v_mad_u64_u32 v[120:121], s[16:17], v201, v192, v[10:11]
	v_mov_b32_e32 v10, 0
	v_dot4c_i32_i8_e32 v15, v197, v5
	v_pk_fma_f32 v[68:69], v[8:9], v[112:113], v[68:69]
	v_dot4c_i32_i8_e32 v106, v187, v6
	v_mov_b32_e32 v112, 0
	v_dot4c_i32_i8_e32 v10, v196, v4
	v_dot4c_i32_i8_e32 v15, v197, v6
	v_mov_b32_e32 v4, 0
	v_dot4c_i32_i8_e32 v106, v187, v7
	v_dot4c_i32_i8_e32 v112, v178, v0
	;; [unrolled: 1-line block ×19, first 2 shown]
	v_mul_lo_u32 v0, v200, v189
	v_mul_lo_u32 v2, v10, v177
                                        ; kill: def $vgpr1 killed $sgpr0 killed $exec
	v_dot4c_i32_i8_e32 v106, v198, v3
	v_mad_u64_u32 v[112:113], s[16:17], v112, v199, v[104:105]
	v_dot4c_i32_i8_e32 v15, v188, v3
	v_mad_u64_u32 v[2:3], s[16:17], v4, v189, v[2:3]
	v_mad_u64_u32 v[0:1], s[16:17], v114, v177, v[0:1]
	v_cvt_f32_i32_e32 v113, v120
	v_cvt_f32_i32_e32 v121, v202
	;; [unrolled: 1-line block ×8, first 2 shown]
	v_pk_mul_f32 v[120:121], v[110:111], v[120:121] op_sel_hi:[0,1]
	s_add_i32 s16, s15, 2
	v_pk_mul_f32 v[2:3], v[14:15], v[2:3] op_sel_hi:[0,1]
	v_pk_fma_f32 v[112:113], v[108:109], v[112:113], v[120:121] op_sel_hi:[0,1,1] neg_lo:[0,0,1] neg_hi:[0,0,1]
	v_pk_fma_f32 v[0:1], v[12:13], v[0:1], v[2:3] op_sel_hi:[0,1,1] neg_lo:[0,0,1] neg_hi:[0,0,1]
	v_pk_fma_f32 v[78:79], v[8:9], v[112:113], v[78:79]
	v_pk_fma_f32 v[90:91], v[8:9], v[0:1], v[90:91]
	v_add_u32_e32 v13, 4, v13
	v_add_u32_e32 v11, 32, v11
	s_cmp_lt_u32 s15, 22
	s_mov_b32 s15, s16
	s_cbranch_scc1 .LBB147_12
; %bb.13:                               ;   in Loop: Header=BB147_6 Depth=1
	v_add_u32_e32 v14, s14, v125
	v_add_u32_e32 v0, v14, v81
	;; [unrolled: 1-line block ×6, first 2 shown]
	v_mad_i64_i32 v[0:1], s[14:15], v0, 36, v[38:39]
	v_mad_i64_i32 v[2:3], s[14:15], v2, 36, v[38:39]
	;; [unrolled: 1-line block ×4, first 2 shown]
	v_add_u32_e32 v8, v14, v107
	v_add_u32_e32 v10, v14, v109
	v_add_u32_e32 v12, v14, v111
	v_add_u32_e32 v14, v14, v117
	v_mad_u64_u32 v[112:113], s[14:15], v104, 36, s[2:3]
	s_barrier
	v_mad_i64_i32 v[8:9], s[14:15], v8, 36, v[38:39]
	v_mad_i64_i32 v[10:11], s[14:15], v10, 36, v[38:39]
	;; [unrolled: 1-line block ×4, first 2 shown]
	global_load_dword v104, v[112:113], off
	s_nop 0
	global_load_dword v0, v[0:1], off offset:4
	s_nop 0
	global_load_dword v1, v[2:3], off offset:4
	;; [unrolled: 2-line block ×3, first 2 shown]
	global_load_dword v3, v[6:7], off offset:4
	s_nop 0
	global_load_dword v4, v[8:9], off offset:4
	global_load_dword v5, v[10:11], off offset:4
	;; [unrolled: 1-line block ×4, first 2 shown]
	s_mov_b32 s14, 24
	v_mov_b32_e32 v113, v128
	v_mov_b32_e32 v115, v127
	s_waitcnt vmcnt(8)
	v_cvt_f32_f16_e32 v8, v104
	s_waitcnt vmcnt(7)
	ds_write_b32 v141, v0
	s_waitcnt vmcnt(6)
	ds_write_b32 v142, v1
	;; [unrolled: 2-line block ×8, first 2 shown]
	ds_write_b32 v37, v8
	s_waitcnt lgkmcnt(0)
	s_barrier
.LBB147_14:                             ;   Parent Loop BB147_6 Depth=1
                                        ; =>  This Inner Loop Header: Depth=2
	s_and_b32 s17, s14, 0x3ffffff8
	v_lshl_add_u32 v10, s17, 2, v126
	ds_read2_b32 v[120:121], v115 offset1:32
	ds_read_b128 v[4:7], v113
	ds_read_b128 v[0:3], v113 offset:16
	ds_read2_b32 v[8:9], v10 offset1:1
	s_sub_i32 s15, s14, 24
	s_lshr_b32 s17, s14, 2
	s_and_b32 s17, s17, 0x3ffffffc
	s_addk_i32 s17, 0x7280
	s_waitcnt lgkmcnt(0)
	v_ashrrev_i32_e32 v8, s15, v8
	v_and_b32_e32 v182, 0x3030303, v8
	v_ashrrev_i32_e32 v8, s15, v9
	v_and_b32_e32 v178, 0x3030303, v8
	ds_read2_b32 v[8:9], v10 offset0:2 offset1:3
	s_and_b32 s16, s14, -16
	s_add_i32 s16, s14, s16
	v_add_u32_e32 v123, s16, v129
	v_mov_b32_e32 v210, 0
	s_waitcnt lgkmcnt(0)
	v_ashrrev_i32_e32 v8, s15, v8
	v_and_b32_e32 v180, 0x3030303, v8
	v_ashrrev_i32_e32 v8, s15, v9
	v_and_b32_e32 v181, 0x3030303, v8
	ds_read2_b32 v[8:9], v10 offset0:4 offset1:5
	v_mov_b32_e32 v211, 0
	v_mov_b32_e32 v197, 0
	;; [unrolled: 1-line block ×4, first 2 shown]
	s_waitcnt lgkmcnt(0)
	v_ashrrev_i32_e32 v8, s15, v8
	v_and_b32_e32 v165, 0x3030303, v8
	v_ashrrev_i32_e32 v8, s15, v9
	v_and_b32_e32 v166, 0x3030303, v8
	ds_read2_b32 v[8:9], v10 offset0:6 offset1:7
	v_dot4c_i32_i8_e32 v197, v165, v0
	v_mov_b32_e32 v203, 0
	v_dot4c_i32_i8_e32 v122, v182, v4
	v_dot4c_i32_i8_e32 v197, v166, v1
	s_waitcnt lgkmcnt(0)
	v_ashrrev_i32_e32 v8, s15, v8
	v_and_b32_e32 v169, 0x3030303, v8
	v_ashrrev_i32_e32 v8, s15, v9
	v_and_b32_e32 v170, 0x3030303, v8
	v_add3_u32 v8, s17, v149, v150
	ds_read_b32 v8, v8
	v_dot4c_i32_i8_e32 v122, v178, v5
	v_dot4c_i32_i8_e32 v197, v169, v2
	v_dot4c_i32_i8_e32 v122, v180, v6
	v_dot4c_i32_i8_e32 v197, v170, v3
	s_waitcnt lgkmcnt(0)
	v_cvt_f32_f16_e32 v108, v8
	v_cvt_f32_f16_sdwa v110, v8 dst_sel:DWORD dst_unused:UNUSED_PAD src0_sel:WORD_1
	v_add_u32_e32 v8, 0x1080, v10
	ds_read2_b32 v[8:9], v8 offset1:1
	v_dot4c_i32_i8_e32 v122, v181, v7
	v_add_u32_e32 v196, s16, v131
	v_add_u32_e32 v200, s16, v133
	;; [unrolled: 1-line block ×3, first 2 shown]
	s_waitcnt lgkmcnt(0)
	v_ashrrev_i32_e32 v8, s15, v8
	v_and_b32_e32 v179, 0x3030303, v8
	v_ashrrev_i32_e32 v8, s15, v9
	v_and_b32_e32 v171, 0x3030303, v8
	v_add_u32_e32 v8, 0x1088, v10
	ds_read2_b32 v[8:9], v8 offset1:1
	v_mov_b32_e32 v202, 0
	v_mov_b32_e32 v201, 0
	v_dot4c_i32_i8_e32 v201, v179, v4
	v_dot4c_i32_i8_e32 v201, v171, v5
	s_waitcnt lgkmcnt(0)
	v_ashrrev_i32_e32 v8, s15, v8
	v_and_b32_e32 v174, 0x3030303, v8
	v_ashrrev_i32_e32 v8, s15, v9
	v_and_b32_e32 v175, 0x3030303, v8
	v_add_u32_e32 v8, 0x1090, v10
	ds_read2_b32 v[8:9], v8 offset1:1
	v_dot4c_i32_i8_e32 v201, v174, v6
	v_dot4c_i32_i8_e32 v201, v175, v7
	v_mov_b32_e32 v207, 0
	v_mov_b32_e32 v204, 0
	s_waitcnt lgkmcnt(0)
	v_ashrrev_i32_e32 v8, s15, v8
	v_and_b32_e32 v163, 0x3030303, v8
	v_ashrrev_i32_e32 v8, s15, v9
	v_and_b32_e32 v164, 0x3030303, v8
	v_add_u32_e32 v8, 0x1098, v10
	ds_read2_b32 v[8:9], v8 offset1:1
	v_dot4c_i32_i8_e32 v202, v163, v0
	v_dot4c_i32_i8_e32 v202, v164, v1
	v_mov_b32_e32 v205, 0
	v_mov_b32_e32 v206, 0
	s_waitcnt lgkmcnt(0)
	v_ashrrev_i32_e32 v8, s15, v8
	v_and_b32_e32 v167, 0x3030303, v8
	v_ashrrev_i32_e32 v8, s15, v9
	v_and_b32_e32 v168, 0x3030303, v8
	v_add3_u32 v8, s17, v151, v152
	ds_read_b32 v8, v8
	v_dot4c_i32_i8_e32 v202, v167, v2
	v_dot4c_i32_i8_e32 v202, v168, v3
	s_waitcnt lgkmcnt(0)
	v_cvt_f32_f16_e32 v112, v8
	v_cvt_f32_f16_sdwa v114, v8 dst_sel:DWORD dst_unused:UNUSED_PAD src0_sel:WORD_1
	v_add_u32_e32 v8, 0x2100, v10
	ds_read2_b32 v[8:9], v8 offset1:1
	s_waitcnt lgkmcnt(0)
	v_ashrrev_i32_e32 v8, s15, v8
	v_and_b32_e32 v186, 0x3030303, v8
	v_ashrrev_i32_e32 v8, s15, v9
	v_and_b32_e32 v183, 0x3030303, v8
	v_add_u32_e32 v8, 0x2108, v10
	ds_read2_b32 v[8:9], v8 offset1:1
	v_dot4c_i32_i8_e32 v204, v186, v4
	v_dot4c_i32_i8_e32 v204, v183, v5
	s_waitcnt lgkmcnt(0)
	v_ashrrev_i32_e32 v8, s15, v8
	v_and_b32_e32 v184, 0x3030303, v8
	v_ashrrev_i32_e32 v8, s15, v9
	v_and_b32_e32 v185, 0x3030303, v8
	v_add_u32_e32 v8, 0x2110, v10
	ds_read2_b32 v[8:9], v8 offset1:1
	v_dot4c_i32_i8_e32 v204, v184, v6
	v_dot4c_i32_i8_e32 v204, v185, v7
	;; [unrolled: 9-line block ×3, first 2 shown]
	s_waitcnt lgkmcnt(0)
	v_ashrrev_i32_e32 v8, s15, v8
	v_and_b32_e32 v176, 0x3030303, v8
	v_ashrrev_i32_e32 v8, s15, v9
	v_and_b32_e32 v177, 0x3030303, v8
	v_add3_u32 v8, s17, v153, v154
	ds_read_b32 v8, v8
	v_dot4c_i32_i8_e32 v207, v176, v2
	v_dot4c_i32_i8_e32 v207, v177, v3
	s_waitcnt lgkmcnt(0)
	v_cvt_f32_f16_e32 v116, v8
	v_cvt_f32_f16_sdwa v118, v8 dst_sel:DWORD dst_unused:UNUSED_PAD src0_sel:WORD_1
	v_add_u32_e32 v8, 0x3180, v10
	ds_read2_b32 v[8:9], v8 offset1:1
	s_waitcnt lgkmcnt(0)
	v_ashrrev_i32_e32 v8, s15, v8
	v_and_b32_e32 v190, 0x3030303, v8
	v_ashrrev_i32_e32 v8, s15, v9
	v_and_b32_e32 v187, 0x3030303, v8
	v_add_u32_e32 v8, 0x3188, v10
	ds_read2_b32 v[8:9], v8 offset1:1
	v_dot4c_i32_i8_e32 v205, v190, v4
	v_dot4c_i32_i8_e32 v205, v187, v5
	s_waitcnt lgkmcnt(0)
	v_ashrrev_i32_e32 v8, s15, v8
	v_and_b32_e32 v188, 0x3030303, v8
	v_ashrrev_i32_e32 v8, s15, v9
	v_and_b32_e32 v189, 0x3030303, v8
	v_add_u32_e32 v8, 0x3190, v10
	ds_read2_b32 v[8:9], v8 offset1:1
	v_dot4c_i32_i8_e32 v205, v188, v6
	v_dot4c_i32_i8_e32 v205, v189, v7
	;; [unrolled: 9-line block ×3, first 2 shown]
	s_waitcnt lgkmcnt(0)
	v_ashrrev_i32_e32 v8, s15, v8
	v_and_b32_e32 v161, 0x3030303, v8
	v_ashrrev_i32_e32 v8, s15, v9
	v_and_b32_e32 v162, 0x3030303, v8
	v_add3_u32 v8, s17, v155, v156
	ds_read_b32 v8, v8
	v_dot4c_i32_i8_e32 v206, v161, v2
	v_dot4c_i32_i8_e32 v206, v162, v3
	s_add_i32 s15, s14, 2
	s_cmp_lt_u32 s14, 30
	s_waitcnt lgkmcnt(0)
	v_cvt_f32_f16_e32 v104, v8
	v_cvt_f32_f16_sdwa v106, v8 dst_sel:DWORD dst_unused:UNUSED_PAD src0_sel:WORD_1
	ds_read_b128 v[12:15], v113 offset:1024
	ds_read_b128 v[8:11], v113 offset:1040
	ds_read_u16 v123, v123 offset:25072
	s_mov_b32 s14, s15
	s_waitcnt lgkmcnt(2)
	v_dot4c_i32_i8_e32 v199, v182, v12
	v_dot4c_i32_i8_e32 v199, v178, v13
	s_waitcnt lgkmcnt(0)
	v_bfe_u32 v191, v123, 4, 4
	v_mul_lo_u32 v194, v191, s9
	v_dot4c_i32_i8_e32 v210, v194, v4
	v_dot4c_i32_i8_e32 v211, v194, v12
	;; [unrolled: 1-line block ×5, first 2 shown]
	v_lshrrev_b32_sdwa v191, v157, v123 dst_sel:DWORD dst_unused:UNUSED_PAD src0_sel:DWORD src1_sel:BYTE_1
	v_dot4c_i32_i8_e32 v211, v194, v14
	v_dot4c_i32_i8_e32 v210, v194, v7
	v_mul_lo_u32 v193, v191, s9
	v_dot4c_i32_i8_e32 v211, v194, v15
	v_dot4c_i32_i8_e32 v203, v165, v8
	;; [unrolled: 1-line block ×7, first 2 shown]
	v_and_b32_sdwa v192, v123, v158 dst_sel:DWORD dst_unused:UNUSED_PAD src0_sel:BYTE_1 src1_sel:DWORD
	v_and_b32_e32 v123, 15, v123
	v_dot4c_i32_i8_e32 v211, v193, v9
	v_dot4c_i32_i8_e32 v199, v181, v15
	;; [unrolled: 1-line block ×4, first 2 shown]
	v_and_b32_e32 v191, 0xffff, v123
	v_and_b32_e32 v192, 0xffff, v192
	v_dot4c_i32_i8_e32 v211, v193, v10
	v_dot4c_i32_i8_e32 v203, v170, v11
	;; [unrolled: 1-line block ×3, first 2 shown]
	v_mul_lo_u32 v198, v197, v192
	v_mul_lo_u32 v208, v199, v191
	v_dot4c_i32_i8_e32 v211, v193, v11
	v_mad_u64_u32 v[208:209], s[16:17], v203, v192, v[208:209]
	v_mad_u64_u32 v[122:123], s[16:17], v122, v191, v[198:199]
	v_cvt_f32_i32_e32 v199, v210
	v_cvt_f32_i32_e32 v198, v211
	;; [unrolled: 1-line block ×4, first 2 shown]
	v_mov_b32_e32 v208, 0
	v_pk_mul_f32 v[198:199], v[110:111], v[198:199] op_sel_hi:[0,1]
	v_mov_b32_e32 v209, 0
	v_pk_fma_f32 v[198:199], v[108:109], v[122:123], v[198:199] op_sel_hi:[0,1,1] neg_lo:[0,0,1] neg_hi:[0,0,1]
	v_mov_b32_e32 v123, v120
	ds_read_u16 v120, v196 offset:26096
	v_mov_b32_e32 v122, v121
	v_pk_fma_f32 v[40:41], v[122:123], v[198:199], v[40:41]
	v_mov_b32_e32 v121, 0
	v_dot4c_i32_i8_e32 v121, v179, v12
	s_waitcnt lgkmcnt(0)
	v_bfe_u32 v196, v120, 4, 4
	v_mul_lo_u32 v199, v196, s9
	v_dot4c_i32_i8_e32 v208, v199, v4
	v_dot4c_i32_i8_e32 v209, v199, v12
	;; [unrolled: 1-line block ×4, first 2 shown]
	v_mov_b32_e32 v203, 0
	v_dot4c_i32_i8_e32 v208, v199, v6
	v_lshrrev_b32_sdwa v196, v157, v120 dst_sel:DWORD dst_unused:UNUSED_PAD src0_sel:DWORD src1_sel:BYTE_1
	v_dot4c_i32_i8_e32 v209, v199, v14
	v_dot4c_i32_i8_e32 v121, v171, v13
	v_dot4c_i32_i8_e32 v203, v163, v8
	v_dot4c_i32_i8_e32 v208, v199, v7
	v_mul_lo_u32 v198, v196, s9
	v_dot4c_i32_i8_e32 v209, v199, v15
	v_dot4c_i32_i8_e32 v121, v174, v14
	;; [unrolled: 1-line block ×4, first 2 shown]
	v_and_b32_sdwa v197, v120, v158 dst_sel:DWORD dst_unused:UNUSED_PAD src0_sel:BYTE_1 src1_sel:DWORD
	v_and_b32_e32 v120, 15, v120
	v_dot4c_i32_i8_e32 v209, v198, v8
	v_dot4c_i32_i8_e32 v121, v175, v15
	;; [unrolled: 1-line block ×4, first 2 shown]
	v_and_b32_e32 v196, 0xffff, v120
	v_and_b32_e32 v197, 0xffff, v197
	v_dot4c_i32_i8_e32 v209, v198, v9
	v_dot4c_i32_i8_e32 v203, v168, v11
	;; [unrolled: 1-line block ×3, first 2 shown]
	v_mul_lo_u32 v120, v202, v197
	v_mul_lo_u32 v202, v121, v196
	v_dot4c_i32_i8_e32 v209, v198, v10
                                        ; kill: def $vgpr121 killed $sgpr0 killed $exec
	v_dot4c_i32_i8_e32 v208, v198, v3
	v_dot4c_i32_i8_e32 v209, v198, v11
	v_mad_u64_u32 v[202:203], s[16:17], v203, v197, v[202:203]
	v_mad_u64_u32 v[120:121], s[16:17], v201, v196, v[120:121]
	v_cvt_f32_i32_e32 v121, v120
	v_cvt_f32_i32_e32 v120, v202
	v_cvt_f32_i32_e32 v203, v208
	v_cvt_f32_i32_e32 v202, v209
	v_mov_b32_e32 v210, 0
	v_mov_b32_e32 v211, 0
	;; [unrolled: 1-line block ×3, first 2 shown]
	v_pk_mul_f32 v[202:203], v[114:115], v[202:203] op_sel_hi:[0,1]
	v_pk_fma_f32 v[120:121], v[112:113], v[120:121], v[202:203] op_sel_hi:[0,1,1] neg_lo:[0,0,1] neg_hi:[0,0,1]
	v_pk_fma_f32 v[92:93], v[122:123], v[120:121], v[92:93]
	ds_read_u16 v120, v200 offset:27120
	v_mov_b32_e32 v121, 0
	v_dot4c_i32_i8_e32 v121, v186, v12
	v_dot4c_i32_i8_e32 v121, v183, v13
	;; [unrolled: 1-line block ×3, first 2 shown]
	s_waitcnt lgkmcnt(0)
	v_bfe_u32 v200, v120, 4, 4
	v_mul_lo_u32 v203, v200, s9
	v_dot4c_i32_i8_e32 v210, v203, v4
	v_dot4c_i32_i8_e32 v211, v203, v12
	;; [unrolled: 1-line block ×5, first 2 shown]
	v_lshrrev_b32_sdwa v200, v157, v120 dst_sel:DWORD dst_unused:UNUSED_PAD src0_sel:DWORD src1_sel:BYTE_1
	v_dot4c_i32_i8_e32 v211, v203, v14
	v_dot4c_i32_i8_e32 v210, v203, v7
	v_mul_lo_u32 v202, v200, s9
	v_dot4c_i32_i8_e32 v211, v203, v15
	v_dot4c_i32_i8_e32 v121, v184, v14
	;; [unrolled: 1-line block ×4, first 2 shown]
	v_and_b32_sdwa v201, v120, v158 dst_sel:DWORD dst_unused:UNUSED_PAD src0_sel:BYTE_1 src1_sel:DWORD
	v_and_b32_e32 v120, 15, v120
	v_dot4c_i32_i8_e32 v211, v202, v8
	v_dot4c_i32_i8_e32 v121, v185, v15
	;; [unrolled: 1-line block ×4, first 2 shown]
	v_and_b32_e32 v200, 0xffff, v120
	v_and_b32_e32 v201, 0xffff, v201
	v_dot4c_i32_i8_e32 v211, v202, v9
	v_dot4c_i32_i8_e32 v209, v177, v11
	;; [unrolled: 1-line block ×3, first 2 shown]
	v_mul_lo_u32 v120, v207, v201
	v_mul_lo_u32 v208, v121, v200
	v_dot4c_i32_i8_e32 v211, v202, v10
                                        ; kill: def $vgpr121 killed $sgpr0 killed $exec
	v_dot4c_i32_i8_e32 v210, v202, v3
	v_dot4c_i32_i8_e32 v211, v202, v11
	v_mad_u64_u32 v[208:209], s[16:17], v209, v201, v[208:209]
	v_mad_u64_u32 v[120:121], s[16:17], v204, v200, v[120:121]
	v_cvt_f32_i32_e32 v121, v120
	v_cvt_f32_i32_e32 v120, v208
	;; [unrolled: 1-line block ×4, first 2 shown]
	v_mov_b32_e32 v207, 0
	v_dot4c_i32_i8_e32 v207, v190, v12
	v_dot4c_i32_i8_e32 v207, v187, v13
	v_pk_mul_f32 v[208:209], v[118:119], v[208:209] op_sel_hi:[0,1]
	v_pk_fma_f32 v[120:121], v[116:117], v[120:121], v[208:209] op_sel_hi:[0,1,1] neg_lo:[0,0,1] neg_hi:[0,0,1]
	v_pk_fma_f32 v[98:99], v[122:123], v[120:121], v[98:99]
	ds_read_u16 v120, v195 offset:28144
	v_mov_b32_e32 v209, 0
	v_mov_b32_e32 v208, 0
	v_dot4c_i32_i8_e32 v208, v159, v8
	v_dot4c_i32_i8_e32 v207, v188, v14
	s_waitcnt lgkmcnt(0)
	v_bfe_u32 v121, v120, 4, 4
	v_mul_lo_u32 v204, v121, s9
	v_dot4c_i32_i8_e32 v209, v204, v4
	v_lshrrev_b32_sdwa v4, v157, v120 dst_sel:DWORD dst_unused:UNUSED_PAD src0_sel:DWORD src1_sel:BYTE_1
	v_mul_lo_u32 v195, v4, s9
	v_mov_b32_e32 v4, 0
	v_dot4c_i32_i8_e32 v209, v204, v5
	v_dot4c_i32_i8_e32 v4, v204, v12
	v_dot4c_i32_i8_e32 v209, v204, v6
	v_dot4c_i32_i8_e32 v4, v204, v13
	v_dot4c_i32_i8_e32 v209, v204, v7
	v_dot4c_i32_i8_e32 v4, v204, v14
	v_dot4c_i32_i8_e32 v209, v195, v0
	v_dot4c_i32_i8_e32 v4, v204, v15
	v_dot4c_i32_i8_e32 v208, v160, v9
	v_dot4c_i32_i8_e32 v209, v195, v1
	v_and_b32_sdwa v0, v120, v158 dst_sel:DWORD dst_unused:UNUSED_PAD src0_sel:BYTE_1 src1_sel:DWORD
	v_and_b32_e32 v1, 15, v120
	v_dot4c_i32_i8_e32 v4, v195, v8
	v_dot4c_i32_i8_e32 v207, v189, v15
	;; [unrolled: 1-line block ×3, first 2 shown]
	v_and_b32_e32 v120, 0xffff, v1
	v_and_b32_e32 v121, 0xffff, v0
	v_dot4c_i32_i8_e32 v4, v195, v9
	v_dot4c_i32_i8_e32 v208, v162, v11
	;; [unrolled: 1-line block ×3, first 2 shown]
	v_mul_lo_u32 v0, v206, v121
	v_mul_lo_u32 v2, v207, v120
	v_dot4c_i32_i8_e32 v4, v195, v10
                                        ; kill: def $vgpr1 killed $sgpr0 killed $exec
	v_dot4c_i32_i8_e32 v209, v195, v3
	v_dot4c_i32_i8_e32 v4, v195, v11
	v_mad_u64_u32 v[2:3], s[16:17], v208, v121, v[2:3]
	v_mad_u64_u32 v[0:1], s[16:17], v205, v120, v[0:1]
	v_cvt_f32_i32_e32 v1, v0
	v_cvt_f32_i32_e32 v0, v2
	;; [unrolled: 1-line block ×4, first 2 shown]
	v_mov_b32_e32 v205, 0
	v_mov_b32_e32 v207, 0
	;; [unrolled: 1-line block ×3, first 2 shown]
	v_pk_mul_f32 v[2:3], v[106:107], v[2:3] op_sel_hi:[0,1]
	v_pk_fma_f32 v[0:1], v[104:105], v[0:1], v[2:3] op_sel_hi:[0,1,1] neg_lo:[0,0,1] neg_hi:[0,0,1]
	v_pk_fma_f32 v[102:103], v[122:123], v[0:1], v[102:103]
	ds_read2_b32 v[8:9], v115 offset0:64 offset1:96
	ds_read_b128 v[4:7], v113 offset:2048
	ds_read_b128 v[0:3], v113 offset:2064
	v_mov_b32_e32 v13, 0
	v_mov_b32_e32 v11, 0
	;; [unrolled: 1-line block ×3, first 2 shown]
	s_waitcnt lgkmcnt(1)
	v_dot4c_i32_i8_e32 v205, v194, v4
	v_dot4c_i32_i8_e32 v207, v199, v4
	;; [unrolled: 1-line block ×13, first 2 shown]
	v_mov_b32_e32 v206, 0
	v_dot4c_i32_i8_e32 v207, v199, v7
	v_mov_b32_e32 v208, 0
	v_mov_b32_e32 v14, 0
	v_dot4c_i32_i8_e32 v15, v203, v7
	v_mov_b32_e32 v209, 0
	;; [unrolled: 3-line block ×3, first 2 shown]
	v_dot4c_i32_i8_e32 v11, v182, v4
	s_waitcnt lgkmcnt(0)
	v_dot4c_i32_i8_e32 v10, v165, v0
	v_dot4c_i32_i8_e32 v205, v193, v0
	;; [unrolled: 1-line block ×47, first 2 shown]
	ds_read_b128 v[4:7], v113 offset:3072
	ds_read_b128 v[0:3], v113 offset:3088
	v_mov_b32_e32 v211, 0
	v_mov_b32_e32 v122, 0
	;; [unrolled: 1-line block ×3, first 2 shown]
	s_waitcnt lgkmcnt(1)
	v_dot4c_i32_i8_e32 v211, v194, v4
	v_dot4c_i32_i8_e32 v211, v194, v5
	;; [unrolled: 1-line block ×6, first 2 shown]
	s_waitcnt lgkmcnt(0)
	v_dot4c_i32_i8_e32 v123, v165, v0
	v_dot4c_i32_i8_e32 v122, v180, v6
	;; [unrolled: 1-line block ×9, first 2 shown]
	v_mul_lo_u32 v10, v10, v192
	v_mul_lo_u32 v122, v122, v191
	v_dot4c_i32_i8_e32 v211, v193, v3
	v_mad_u64_u32 v[122:123], s[16:17], v123, v192, v[122:123]
	v_mad_u64_u32 v[10:11], s[16:17], v11, v191, v[10:11]
	v_cvt_f32_i32_e32 v11, v10
	v_cvt_f32_i32_e32 v10, v122
	;; [unrolled: 1-line block ×4, first 2 shown]
	v_mov_b32_e32 v205, 0
	v_dot4c_i32_i8_e32 v205, v199, v4
	v_dot4c_i32_i8_e32 v205, v199, v5
	v_pk_mul_f32 v[122:123], v[110:111], v[122:123] op_sel_hi:[0,1]
	v_pk_fma_f32 v[122:123], v[108:109], v[10:11], v[122:123] op_sel_hi:[0,1,1] neg_lo:[0,0,1] neg_hi:[0,0,1]
	v_mov_b32_e32 v10, v9
	v_mov_b32_e32 v11, v8
	v_mov_b32_e32 v9, 0
	v_pk_fma_f32 v[74:75], v[10:11], v[122:123], v[74:75]
	v_dot4c_i32_i8_e32 v9, v179, v4
	v_dot4c_i32_i8_e32 v205, v199, v6
	v_mov_b32_e32 v123, 0
	v_dot4c_i32_i8_e32 v9, v171, v5
	v_dot4c_i32_i8_e32 v205, v199, v7
	;; [unrolled: 1-line block ×11, first 2 shown]
	v_mul_lo_u32 v8, v208, v197
	v_mul_lo_u32 v122, v9, v196
                                        ; kill: def $vgpr9 killed $sgpr0 killed $exec
	v_dot4c_i32_i8_e32 v205, v198, v3
	v_mad_u64_u32 v[122:123], s[16:17], v123, v197, v[122:123]
	v_mad_u64_u32 v[8:9], s[16:17], v206, v196, v[8:9]
	v_cvt_f32_i32_e32 v9, v8
	v_cvt_f32_i32_e32 v8, v122
	;; [unrolled: 1-line block ×4, first 2 shown]
	v_mov_b32_e32 v205, 0
	v_dot4c_i32_i8_e32 v205, v203, v4
	v_dot4c_i32_i8_e32 v205, v203, v5
	v_pk_mul_f32 v[122:123], v[114:115], v[122:123] op_sel_hi:[0,1]
	v_pk_fma_f32 v[8:9], v[112:113], v[8:9], v[122:123] op_sel_hi:[0,1,1] neg_lo:[0,0,1] neg_hi:[0,0,1]
	v_pk_fma_f32 v[86:87], v[10:11], v[8:9], v[86:87]
	v_mov_b32_e32 v9, 0
	v_dot4c_i32_i8_e32 v205, v203, v6
	v_dot4c_i32_i8_e32 v9, v186, v4
	;; [unrolled: 1-line block ×3, first 2 shown]
	v_mov_b32_e32 v123, 0
	v_dot4c_i32_i8_e32 v9, v183, v5
	v_dot4c_i32_i8_e32 v123, v172, v0
	;; [unrolled: 1-line block ×11, first 2 shown]
	v_mul_lo_u32 v8, v209, v201
	v_mul_lo_u32 v122, v9, v200
                                        ; kill: def $vgpr9 killed $sgpr0 killed $exec
	v_mad_u64_u32 v[122:123], s[16:17], v123, v201, v[122:123]
	v_mad_u64_u32 v[8:9], s[16:17], v14, v200, v[8:9]
	v_cvt_f32_i32_e32 v15, v15
	v_cvt_f32_i32_e32 v14, v205
	;; [unrolled: 1-line block ×4, first 2 shown]
	v_mov_b32_e32 v205, 0
	v_pk_mul_f32 v[14:15], v[118:119], v[14:15] op_sel_hi:[0,1]
	v_mov_b32_e32 v207, 0
	v_pk_fma_f32 v[8:9], v[116:117], v[8:9], v[14:15] op_sel_hi:[0,1,1] neg_lo:[0,0,1] neg_hi:[0,0,1]
	v_pk_fma_f32 v[94:95], v[10:11], v[8:9], v[94:95]
	v_mov_b32_e32 v9, 0
	v_dot4c_i32_i8_e32 v9, v204, v4
	v_mov_b32_e32 v8, 0
	v_dot4c_i32_i8_e32 v9, v204, v5
	v_dot4c_i32_i8_e32 v8, v190, v4
	;; [unrolled: 1-line block ×3, first 2 shown]
	v_mov_b32_e32 v4, 0
	v_dot4c_i32_i8_e32 v8, v187, v5
	v_dot4c_i32_i8_e32 v9, v204, v7
	;; [unrolled: 1-line block ×11, first 2 shown]
	v_mul_lo_u32 v0, v210, v121
	v_mul_lo_u32 v2, v8, v120
                                        ; kill: def $vgpr1 killed $sgpr0 killed $exec
	v_dot4c_i32_i8_e32 v9, v195, v3
	v_mad_u64_u32 v[2:3], s[16:17], v4, v121, v[2:3]
	v_mad_u64_u32 v[0:1], s[16:17], v12, v120, v[0:1]
	v_cvt_f32_i32_e32 v1, v0
	v_cvt_f32_i32_e32 v0, v2
	;; [unrolled: 1-line block ×4, first 2 shown]
	v_mov_b32_e32 v15, 0
	v_mov_b32_e32 v13, 0
	;; [unrolled: 1-line block ×3, first 2 shown]
	v_pk_mul_f32 v[2:3], v[106:107], v[2:3] op_sel_hi:[0,1]
	v_pk_fma_f32 v[0:1], v[104:105], v[0:1], v[2:3] op_sel_hi:[0,1,1] neg_lo:[0,0,1] neg_hi:[0,0,1]
	v_pk_fma_f32 v[100:101], v[10:11], v[0:1], v[100:101]
	ds_read2_b32 v[8:9], v115 offset0:128 offset1:160
	ds_read_b128 v[4:7], v113 offset:4096
	ds_read_b128 v[0:3], v113 offset:4112
	v_mov_b32_e32 v11, 0
	v_mov_b32_e32 v10, 0
	;; [unrolled: 1-line block ×3, first 2 shown]
	s_waitcnt lgkmcnt(1)
	v_dot4c_i32_i8_e32 v205, v194, v4
	v_dot4c_i32_i8_e32 v207, v199, v4
	v_dot4c_i32_i8_e32 v15, v203, v4
	v_dot4c_i32_i8_e32 v13, v204, v4
	v_dot4c_i32_i8_e32 v205, v194, v5
	v_dot4c_i32_i8_e32 v207, v199, v5
	v_dot4c_i32_i8_e32 v15, v203, v5
	v_dot4c_i32_i8_e32 v13, v204, v5
	v_dot4c_i32_i8_e32 v205, v194, v6
	v_dot4c_i32_i8_e32 v207, v199, v6
	v_dot4c_i32_i8_e32 v15, v203, v6
	v_dot4c_i32_i8_e32 v13, v204, v6
	v_dot4c_i32_i8_e32 v205, v194, v7
	v_dot4c_i32_i8_e32 v207, v199, v7
	v_mov_b32_e32 v14, 0
	v_dot4c_i32_i8_e32 v15, v203, v7
	v_mov_b32_e32 v209, 0
	v_mov_b32_e32 v12, 0
	v_dot4c_i32_i8_e32 v13, v204, v7
	v_mov_b32_e32 v210, 0
	v_dot4c_i32_i8_e32 v11, v182, v4
	s_waitcnt lgkmcnt(0)
	v_dot4c_i32_i8_e32 v10, v165, v0
	v_dot4c_i32_i8_e32 v205, v193, v0
	;; [unrolled: 1-line block ×47, first 2 shown]
	ds_read_b128 v[4:7], v113 offset:5120
	ds_read_b128 v[0:3], v113 offset:5136
	v_mov_b32_e32 v211, 0
	v_mov_b32_e32 v122, 0
	;; [unrolled: 1-line block ×3, first 2 shown]
	s_waitcnt lgkmcnt(1)
	v_dot4c_i32_i8_e32 v211, v194, v4
	v_dot4c_i32_i8_e32 v211, v194, v5
	v_dot4c_i32_i8_e32 v122, v182, v4
	v_dot4c_i32_i8_e32 v211, v194, v6
	v_dot4c_i32_i8_e32 v122, v178, v5
	v_dot4c_i32_i8_e32 v211, v194, v7
	s_waitcnt lgkmcnt(0)
	v_dot4c_i32_i8_e32 v123, v165, v0
	v_dot4c_i32_i8_e32 v122, v180, v6
	;; [unrolled: 1-line block ×9, first 2 shown]
	v_mul_lo_u32 v10, v10, v192
	v_mul_lo_u32 v122, v122, v191
	v_dot4c_i32_i8_e32 v211, v193, v3
	v_mad_u64_u32 v[122:123], s[16:17], v123, v192, v[122:123]
	v_mad_u64_u32 v[10:11], s[16:17], v11, v191, v[10:11]
	v_cvt_f32_i32_e32 v11, v10
	v_cvt_f32_i32_e32 v10, v122
	v_cvt_f32_i32_e32 v123, v205
	v_cvt_f32_i32_e32 v122, v211
	v_mov_b32_e32 v205, 0
	v_dot4c_i32_i8_e32 v205, v199, v4
	v_dot4c_i32_i8_e32 v205, v199, v5
	v_pk_mul_f32 v[122:123], v[110:111], v[122:123] op_sel_hi:[0,1]
	v_pk_fma_f32 v[122:123], v[108:109], v[10:11], v[122:123] op_sel_hi:[0,1,1] neg_lo:[0,0,1] neg_hi:[0,0,1]
	v_mov_b32_e32 v10, v9
	v_mov_b32_e32 v11, v8
	;; [unrolled: 1-line block ×3, first 2 shown]
	v_pk_fma_f32 v[66:67], v[10:11], v[122:123], v[66:67]
	v_dot4c_i32_i8_e32 v9, v179, v4
	v_dot4c_i32_i8_e32 v205, v199, v6
	v_mov_b32_e32 v123, 0
	v_dot4c_i32_i8_e32 v9, v171, v5
	v_dot4c_i32_i8_e32 v205, v199, v7
	;; [unrolled: 1-line block ×11, first 2 shown]
	v_mul_lo_u32 v8, v208, v197
	v_mul_lo_u32 v122, v9, v196
                                        ; kill: def $vgpr9 killed $sgpr0 killed $exec
	v_dot4c_i32_i8_e32 v205, v198, v3
	v_mad_u64_u32 v[122:123], s[16:17], v123, v197, v[122:123]
	v_mad_u64_u32 v[8:9], s[16:17], v206, v196, v[8:9]
	v_cvt_f32_i32_e32 v9, v8
	v_cvt_f32_i32_e32 v8, v122
	;; [unrolled: 1-line block ×4, first 2 shown]
	v_mov_b32_e32 v205, 0
	v_dot4c_i32_i8_e32 v205, v203, v4
	v_dot4c_i32_i8_e32 v205, v203, v5
	v_pk_mul_f32 v[122:123], v[114:115], v[122:123] op_sel_hi:[0,1]
	v_pk_fma_f32 v[8:9], v[112:113], v[8:9], v[122:123] op_sel_hi:[0,1,1] neg_lo:[0,0,1] neg_hi:[0,0,1]
	v_pk_fma_f32 v[76:77], v[10:11], v[8:9], v[76:77]
	v_mov_b32_e32 v9, 0
	v_dot4c_i32_i8_e32 v205, v203, v6
	v_dot4c_i32_i8_e32 v9, v186, v4
	;; [unrolled: 1-line block ×3, first 2 shown]
	v_mov_b32_e32 v123, 0
	v_dot4c_i32_i8_e32 v9, v183, v5
	v_dot4c_i32_i8_e32 v123, v172, v0
	;; [unrolled: 1-line block ×11, first 2 shown]
	v_mul_lo_u32 v8, v209, v201
	v_mul_lo_u32 v122, v9, v200
                                        ; kill: def $vgpr9 killed $sgpr0 killed $exec
	v_mad_u64_u32 v[122:123], s[16:17], v123, v201, v[122:123]
	v_mad_u64_u32 v[8:9], s[16:17], v14, v200, v[8:9]
	v_cvt_f32_i32_e32 v15, v15
	v_cvt_f32_i32_e32 v14, v205
	;; [unrolled: 1-line block ×4, first 2 shown]
	v_mov_b32_e32 v123, 0
	v_pk_mul_f32 v[14:15], v[118:119], v[14:15] op_sel_hi:[0,1]
	v_mov_b32_e32 v206, 0
	v_pk_fma_f32 v[8:9], v[116:117], v[8:9], v[14:15] op_sel_hi:[0,1,1] neg_lo:[0,0,1] neg_hi:[0,0,1]
	v_pk_fma_f32 v[88:89], v[10:11], v[8:9], v[88:89]
	v_mov_b32_e32 v9, 0
	v_dot4c_i32_i8_e32 v9, v204, v4
	v_mov_b32_e32 v8, 0
	v_dot4c_i32_i8_e32 v9, v204, v5
	v_dot4c_i32_i8_e32 v8, v190, v4
	;; [unrolled: 1-line block ×3, first 2 shown]
	v_mov_b32_e32 v4, 0
	v_dot4c_i32_i8_e32 v8, v187, v5
	v_dot4c_i32_i8_e32 v9, v204, v7
	v_dot4c_i32_i8_e32 v4, v159, v0
	v_dot4c_i32_i8_e32 v8, v188, v6
	v_dot4c_i32_i8_e32 v9, v195, v0
	v_dot4c_i32_i8_e32 v4, v160, v1
	v_dot4c_i32_i8_e32 v8, v189, v7
	v_dot4c_i32_i8_e32 v9, v195, v1
	v_dot4c_i32_i8_e32 v4, v161, v2
	v_dot4c_i32_i8_e32 v9, v195, v2
	v_dot4c_i32_i8_e32 v4, v162, v3
	v_mul_lo_u32 v0, v210, v121
	v_mul_lo_u32 v2, v8, v120
                                        ; kill: def $vgpr1 killed $sgpr0 killed $exec
	v_dot4c_i32_i8_e32 v9, v195, v3
	v_mad_u64_u32 v[2:3], s[16:17], v4, v121, v[2:3]
	v_mad_u64_u32 v[0:1], s[16:17], v12, v120, v[0:1]
	v_cvt_f32_i32_e32 v1, v0
	v_cvt_f32_i32_e32 v0, v2
	;; [unrolled: 1-line block ×4, first 2 shown]
	v_mov_b32_e32 v122, 0
	v_mov_b32_e32 v13, 0
	;; [unrolled: 1-line block ×3, first 2 shown]
	v_pk_mul_f32 v[2:3], v[106:107], v[2:3] op_sel_hi:[0,1]
	v_pk_fma_f32 v[0:1], v[104:105], v[0:1], v[2:3] op_sel_hi:[0,1,1] neg_lo:[0,0,1] neg_hi:[0,0,1]
	v_pk_fma_f32 v[96:97], v[10:11], v[0:1], v[96:97]
	ds_read2_b32 v[10:11], v115 offset0:192 offset1:224
	ds_read_b128 v[4:7], v113 offset:6144
	ds_read_b128 v[0:3], v113 offset:6160
	v_mov_b32_e32 v8, 0
	v_mov_b32_e32 v205, 0
	;; [unrolled: 1-line block ×3, first 2 shown]
	s_waitcnt lgkmcnt(1)
	v_dot4c_i32_i8_e32 v123, v194, v4
	v_dot4c_i32_i8_e32 v206, v199, v4
	;; [unrolled: 1-line block ×14, first 2 shown]
	v_mov_b32_e32 v15, 0
	v_dot4c_i32_i8_e32 v122, v203, v7
	v_mov_b32_e32 v208, 0
	v_mov_b32_e32 v12, 0
	v_dot4c_i32_i8_e32 v13, v204, v7
	v_mov_b32_e32 v14, 0
	v_dot4c_i32_i8_e32 v9, v182, v4
	s_waitcnt lgkmcnt(0)
	v_dot4c_i32_i8_e32 v8, v165, v0
	v_dot4c_i32_i8_e32 v123, v193, v0
	;; [unrolled: 1-line block ×47, first 2 shown]
	ds_read_b128 v[4:7], v113 offset:7168
	ds_read_b128 v[0:3], v113 offset:7184
	v_mov_b32_e32 v209, 0
	v_mul_lo_u32 v8, v8, v192
	v_mad_u64_u32 v[8:9], s[16:17], v9, v191, v[8:9]
	s_waitcnt lgkmcnt(1)
	v_dot4c_i32_i8_e32 v209, v182, v4
	v_mov_b32_e32 v182, 0
	v_dot4c_i32_i8_e32 v182, v194, v4
	v_dot4c_i32_i8_e32 v182, v194, v5
	;; [unrolled: 1-line block ×4, first 2 shown]
	v_mov_b32_e32 v178, 0
	v_dot4c_i32_i8_e32 v182, v194, v7
	s_waitcnt lgkmcnt(0)
	v_dot4c_i32_i8_e32 v178, v165, v0
	v_dot4c_i32_i8_e32 v209, v180, v6
	;; [unrolled: 1-line block ×9, first 2 shown]
	v_mul_lo_u32 v166, v209, v191
	v_dot4c_i32_i8_e32 v182, v193, v3
	v_cvt_f32_i32_e32 v9, v8
	v_mad_u64_u32 v[180:181], s[16:17], v178, v192, v[166:167]
	v_cvt_f32_i32_e32 v8, v180
	v_cvt_f32_i32_e32 v181, v123
	;; [unrolled: 1-line block ×3, first 2 shown]
	v_mov_b32_e32 v123, 0
	v_dot4c_i32_i8_e32 v123, v163, v0
	v_dot4c_i32_i8_e32 v123, v164, v1
	v_pk_mul_f32 v[180:181], v[110:111], v[180:181] op_sel_hi:[0,1]
	v_mov_b32_e32 v110, 0
	v_dot4c_i32_i8_e32 v110, v199, v4
	v_pk_fma_f32 v[180:181], v[108:109], v[8:9], v[180:181] op_sel_hi:[0,1,1] neg_lo:[0,0,1] neg_hi:[0,0,1]
	v_mov_b32_e32 v8, v11
	v_mov_b32_e32 v11, 0
	v_dot4c_i32_i8_e32 v110, v199, v5
	v_dot4c_i32_i8_e32 v11, v179, v4
	v_dot4c_i32_i8_e32 v110, v199, v6
	v_dot4c_i32_i8_e32 v11, v171, v5
	v_dot4c_i32_i8_e32 v110, v199, v7
	v_dot4c_i32_i8_e32 v11, v174, v6
	v_dot4c_i32_i8_e32 v110, v198, v0
	v_dot4c_i32_i8_e32 v11, v175, v7
	v_dot4c_i32_i8_e32 v110, v198, v1
	v_dot4c_i32_i8_e32 v123, v167, v2
	v_mov_b32_e32 v9, v10
	v_dot4c_i32_i8_e32 v110, v198, v2
	v_dot4c_i32_i8_e32 v123, v168, v3
	v_mul_lo_u32 v10, v207, v197
	v_mul_lo_u32 v108, v11, v196
                                        ; kill: def $vgpr11 killed $sgpr0 killed $exec
	v_dot4c_i32_i8_e32 v110, v198, v3
	v_mad_u64_u32 v[164:165], s[16:17], v123, v197, v[108:109]
	v_mad_u64_u32 v[10:11], s[16:17], v205, v196, v[10:11]
	v_cvt_f32_i32_e32 v11, v10
	v_cvt_f32_i32_e32 v10, v164
	;; [unrolled: 1-line block ×4, first 2 shown]
	v_mov_b32_e32 v110, 0
	v_dot4c_i32_i8_e32 v110, v203, v4
	v_dot4c_i32_i8_e32 v110, v203, v5
	v_pk_mul_f32 v[164:165], v[114:115], v[164:165] op_sel_hi:[0,1]
	v_pk_fma_f32 v[10:11], v[112:113], v[10:11], v[164:165] op_sel_hi:[0,1,1] neg_lo:[0,0,1] neg_hi:[0,0,1]
	v_pk_fma_f32 v[68:69], v[8:9], v[10:11], v[68:69]
	v_mov_b32_e32 v11, 0
	v_dot4c_i32_i8_e32 v110, v203, v6
	v_dot4c_i32_i8_e32 v11, v186, v4
	;; [unrolled: 1-line block ×3, first 2 shown]
	v_mov_b32_e32 v112, 0
	v_dot4c_i32_i8_e32 v11, v183, v5
	v_dot4c_i32_i8_e32 v112, v172, v0
	;; [unrolled: 1-line block ×11, first 2 shown]
	v_mul_lo_u32 v10, v208, v201
	v_mul_lo_u32 v108, v11, v200
                                        ; kill: def $vgpr11 killed $sgpr0 killed $exec
	v_mad_u64_u32 v[164:165], s[16:17], v112, v201, v[108:109]
	v_mad_u64_u32 v[10:11], s[16:17], v15, v200, v[10:11]
	v_cvt_f32_i32_e32 v123, v122
	v_cvt_f32_i32_e32 v122, v110
	;; [unrolled: 1-line block ×4, first 2 shown]
	v_pk_fma_f32 v[58:59], v[8:9], v[180:181], v[58:59]
	v_pk_mul_f32 v[122:123], v[118:119], v[122:123] op_sel_hi:[0,1]
	v_add_u32_e32 v115, 4, v115
	v_pk_fma_f32 v[10:11], v[116:117], v[10:11], v[122:123] op_sel_hi:[0,1,1] neg_lo:[0,0,1] neg_hi:[0,0,1]
	v_pk_fma_f32 v[78:79], v[8:9], v[10:11], v[78:79]
	v_mov_b32_e32 v11, 0
	v_dot4c_i32_i8_e32 v11, v204, v4
	v_mov_b32_e32 v10, 0
	v_dot4c_i32_i8_e32 v11, v204, v5
	v_dot4c_i32_i8_e32 v10, v190, v4
	;; [unrolled: 1-line block ×3, first 2 shown]
	v_mov_b32_e32 v4, 0
	v_dot4c_i32_i8_e32 v10, v187, v5
	v_dot4c_i32_i8_e32 v11, v204, v7
	;; [unrolled: 1-line block ×11, first 2 shown]
	v_mul_lo_u32 v0, v14, v121
	v_mul_lo_u32 v2, v10, v120
                                        ; kill: def $vgpr1 killed $sgpr0 killed $exec
	v_dot4c_i32_i8_e32 v11, v195, v3
	v_mad_u64_u32 v[2:3], s[16:17], v4, v121, v[2:3]
	v_mad_u64_u32 v[0:1], s[16:17], v12, v120, v[0:1]
	v_cvt_f32_i32_e32 v1, v0
	v_cvt_f32_i32_e32 v0, v2
	;; [unrolled: 1-line block ×4, first 2 shown]
	v_add_u32_e32 v113, 32, v113
	v_pk_mul_f32 v[2:3], v[106:107], v[2:3] op_sel_hi:[0,1]
	v_pk_fma_f32 v[0:1], v[104:105], v[0:1], v[2:3] op_sel_hi:[0,1,1] neg_lo:[0,0,1] neg_hi:[0,0,1]
	v_pk_fma_f32 v[90:91], v[8:9], v[0:1], v[90:91]
	s_cbranch_scc1 .LBB147_14
; %bb.15:                               ;   in Loop: Header=BB147_6 Depth=1
	s_barrier
	s_branch .LBB147_5
.LBB147_16:
	v_cvt_pk_f16_f32 v22, v40, v41
	v_cvt_pk_f16_f32 v20, v92, v93
	;; [unrolled: 1-line block ×16, first 2 shown]
	v_mov_b32_e32 v5, v21
.LBB147_17:
	v_cmp_gt_u32_e32 vcc, s8, v23
	s_and_saveexec_b64 s[0:1], vcc
	s_cbranch_execz .LBB147_68
; %bb.18:
	v_add_u32_e32 v0, s6, v17
	v_mul_lo_u32 v17, v23, s10
	v_cmp_gt_u32_e32 vcc, s10, v0
	s_and_saveexec_b64 s[0:1], vcc
	s_cbranch_execz .LBB147_20
; %bb.19:
	v_add_u32_e32 v6, v0, v17
	v_mov_b32_e32 v7, 0
	s_waitcnt lgkmcnt(0)
	v_lshl_add_u64 v[6:7], v[6:7], 1, s[12:13]
	global_store_short_d16_hi v[6:7], v22, off
.LBB147_20:
	s_or_b64 exec, exec, s[0:1]
	v_add_u32_e32 v6, 32, v0
	v_cmp_gt_u32_e64 s[0:1], s10, v6
	s_and_saveexec_b64 s[2:3], s[0:1]
	s_cbranch_execz .LBB147_22
; %bb.21:
	v_add_u32_e32 v24, v6, v17
	v_mov_b32_e32 v25, 0
	s_waitcnt lgkmcnt(0)
	v_lshl_add_u64 v[24:25], v[24:25], 1, s[12:13]
	global_store_short_d16_hi v[24:25], v20, off
.LBB147_22:
	s_or_b64 exec, exec, s[2:3]
	v_add_u32_e32 v7, 64, v0
	v_cmp_gt_u32_e64 s[2:3], s10, v7
	s_and_saveexec_b64 s[4:5], s[2:3]
	;; [unrolled: 12-line block ×3, first 2 shown]
	s_cbranch_execz .LBB147_26
; %bb.25:
	v_add_u32_e32 v24, v8, v17
	v_mov_b32_e32 v25, 0
	s_waitcnt lgkmcnt(0)
	v_lshl_add_u64 v[24:25], v[24:25], 1, s[12:13]
	global_store_short_d16_hi v[24:25], v18, off
.LBB147_26:
	s_or_b64 exec, exec, s[6:7]
	v_add3_u32 v17, v5, s11, 8
	v_cmp_gt_u32_e64 s[6:7], s8, v17
	s_and_b64 exec, exec, s[6:7]
	s_cbranch_execz .LBB147_68
; %bb.27:
	v_mul_lo_u32 v17, v17, s10
	s_and_saveexec_b64 s[6:7], vcc
	s_cbranch_execnz .LBB147_69
; %bb.28:
	s_or_b64 exec, exec, s[6:7]
	s_and_saveexec_b64 s[6:7], s[0:1]
	s_cbranch_execnz .LBB147_70
.LBB147_29:
	s_or_b64 exec, exec, s[6:7]
	s_and_saveexec_b64 s[6:7], s[2:3]
	s_cbranch_execnz .LBB147_71
.LBB147_30:
	s_or_b64 exec, exec, s[6:7]
	s_and_saveexec_b64 s[6:7], s[4:5]
	s_cbranch_execz .LBB147_32
.LBB147_31:
	v_add_u32_e32 v20, v17, v8
	v_mov_b32_e32 v21, 0
	s_waitcnt lgkmcnt(0)
	v_lshl_add_u64 v[20:21], v[20:21], 1, s[12:13]
	global_store_short v[20:21], v18, off
.LBB147_32:
	s_or_b64 exec, exec, s[6:7]
	v_add3_u32 v17, v5, s11, 16
	v_cmp_gt_u32_e64 s[6:7], s8, v17
	s_and_b64 exec, exec, s[6:7]
	s_cbranch_execz .LBB147_68
; %bb.33:
	v_mul_lo_u32 v17, v17, s10
	s_and_saveexec_b64 s[6:7], vcc
	s_cbranch_execnz .LBB147_72
; %bb.34:
	s_or_b64 exec, exec, s[6:7]
	s_and_saveexec_b64 s[6:7], s[0:1]
	s_cbranch_execnz .LBB147_73
.LBB147_35:
	s_or_b64 exec, exec, s[6:7]
	s_and_saveexec_b64 s[6:7], s[2:3]
	s_cbranch_execnz .LBB147_74
.LBB147_36:
	s_or_b64 exec, exec, s[6:7]
	s_and_saveexec_b64 s[6:7], s[4:5]
	s_cbranch_execz .LBB147_38
.LBB147_37:
	v_add_u32_e32 v18, v17, v8
	v_mov_b32_e32 v19, 0
	s_waitcnt lgkmcnt(0)
	v_lshl_add_u64 v[18:19], v[18:19], 1, s[12:13]
	global_store_short_d16_hi v[18:19], v13, off
.LBB147_38:
	s_or_b64 exec, exec, s[6:7]
	v_add3_u32 v17, v5, s11, 24
	v_cmp_gt_u32_e64 s[6:7], s8, v17
	s_and_b64 exec, exec, s[6:7]
	s_cbranch_execz .LBB147_68
; %bb.39:
	v_mul_lo_u32 v17, v17, s10
	s_and_saveexec_b64 s[6:7], vcc
	s_cbranch_execnz .LBB147_75
; %bb.40:
	s_or_b64 exec, exec, s[6:7]
	s_and_saveexec_b64 s[6:7], s[0:1]
	s_cbranch_execnz .LBB147_76
.LBB147_41:
	s_or_b64 exec, exec, s[6:7]
	s_and_saveexec_b64 s[6:7], s[2:3]
	s_cbranch_execnz .LBB147_77
.LBB147_42:
	s_or_b64 exec, exec, s[6:7]
	s_and_saveexec_b64 s[6:7], s[4:5]
	s_cbranch_execz .LBB147_44
.LBB147_43:
	v_add_u32_e32 v14, v17, v8
	v_mov_b32_e32 v15, 0
	s_waitcnt lgkmcnt(0)
	v_lshl_add_u64 v[14:15], v[14:15], 1, s[12:13]
	global_store_short v[14:15], v13, off
.LBB147_44:
	s_or_b64 exec, exec, s[6:7]
	v_add3_u32 v13, v5, s11, 32
	v_cmp_gt_u32_e64 s[6:7], s8, v13
	s_and_b64 exec, exec, s[6:7]
	s_cbranch_execz .LBB147_68
; %bb.45:
	v_mul_lo_u32 v13, v13, s10
	s_and_saveexec_b64 s[6:7], vcc
	s_cbranch_execnz .LBB147_78
; %bb.46:
	s_or_b64 exec, exec, s[6:7]
	s_and_saveexec_b64 s[6:7], s[0:1]
	s_cbranch_execnz .LBB147_79
.LBB147_47:
	s_or_b64 exec, exec, s[6:7]
	s_and_saveexec_b64 s[6:7], s[2:3]
	s_cbranch_execnz .LBB147_80
.LBB147_48:
	s_or_b64 exec, exec, s[6:7]
	s_and_saveexec_b64 s[6:7], s[4:5]
	s_cbranch_execz .LBB147_50
.LBB147_49:
	v_add_u32_e32 v14, v13, v8
	v_mov_b32_e32 v15, 0
	s_waitcnt lgkmcnt(0)
	v_lshl_add_u64 v[14:15], v[14:15], 1, s[12:13]
	global_store_short_d16_hi v[14:15], v9, off
.LBB147_50:
	s_or_b64 exec, exec, s[6:7]
	v_add3_u32 v13, v5, s11, 40
	v_cmp_gt_u32_e64 s[6:7], s8, v13
	s_and_b64 exec, exec, s[6:7]
	s_cbranch_execz .LBB147_68
; %bb.51:
	v_mul_lo_u32 v13, v13, s10
	s_and_saveexec_b64 s[6:7], vcc
	s_cbranch_execnz .LBB147_81
; %bb.52:
	s_or_b64 exec, exec, s[6:7]
	s_and_saveexec_b64 s[6:7], s[0:1]
	s_cbranch_execnz .LBB147_82
.LBB147_53:
	s_or_b64 exec, exec, s[6:7]
	s_and_saveexec_b64 s[6:7], s[2:3]
	s_cbranch_execnz .LBB147_83
.LBB147_54:
	s_or_b64 exec, exec, s[6:7]
	s_and_saveexec_b64 s[6:7], s[4:5]
	s_cbranch_execz .LBB147_56
.LBB147_55:
	v_add_u32_e32 v10, v13, v8
	v_mov_b32_e32 v11, 0
	s_waitcnt lgkmcnt(0)
	v_lshl_add_u64 v[10:11], v[10:11], 1, s[12:13]
	global_store_short v[10:11], v9, off
.LBB147_56:
	s_or_b64 exec, exec, s[6:7]
	v_add3_u32 v9, v5, s11, 48
	v_cmp_gt_u32_e64 s[6:7], s8, v9
	s_and_b64 exec, exec, s[6:7]
	s_cbranch_execz .LBB147_68
; %bb.57:
	v_mul_lo_u32 v9, v9, s10
	s_and_saveexec_b64 s[6:7], vcc
	s_cbranch_execnz .LBB147_84
; %bb.58:
	s_or_b64 exec, exec, s[6:7]
	s_and_saveexec_b64 s[6:7], s[0:1]
	s_cbranch_execnz .LBB147_85
.LBB147_59:
	s_or_b64 exec, exec, s[6:7]
	s_and_saveexec_b64 s[6:7], s[2:3]
	s_cbranch_execnz .LBB147_86
.LBB147_60:
	s_or_b64 exec, exec, s[6:7]
	s_and_saveexec_b64 s[6:7], s[4:5]
	s_cbranch_execz .LBB147_62
.LBB147_61:
	v_add_u32_e32 v10, v9, v8
	v_mov_b32_e32 v11, 0
	s_waitcnt lgkmcnt(0)
	v_lshl_add_u64 v[10:11], v[10:11], 1, s[12:13]
	global_store_short_d16_hi v[10:11], v1, off
.LBB147_62:
	s_or_b64 exec, exec, s[6:7]
	v_add3_u32 v5, v5, s11, 56
	v_cmp_gt_u32_e64 s[6:7], s8, v5
	s_and_b64 exec, exec, s[6:7]
	s_cbranch_execz .LBB147_68
; %bb.63:
	v_mul_lo_u32 v5, v5, s10
	s_and_saveexec_b64 s[6:7], vcc
	s_cbranch_execnz .LBB147_87
; %bb.64:
	s_or_b64 exec, exec, s[6:7]
	s_and_saveexec_b64 s[6:7], s[0:1]
	s_cbranch_execnz .LBB147_88
.LBB147_65:
	s_or_b64 exec, exec, s[6:7]
	s_and_saveexec_b64 s[0:1], s[2:3]
	s_cbranch_execnz .LBB147_89
.LBB147_66:
	s_or_b64 exec, exec, s[0:1]
	s_and_b64 exec, exec, s[4:5]
	s_cbranch_execz .LBB147_68
.LBB147_67:
	v_add_u32_e32 v2, v5, v8
	v_mov_b32_e32 v3, 0
	s_waitcnt lgkmcnt(0)
	v_lshl_add_u64 v[2:3], v[2:3], 1, s[12:13]
	global_store_short v[2:3], v1, off
.LBB147_68:
	s_endpgm
.LBB147_69:
	v_add_u32_e32 v24, v17, v0
	v_mov_b32_e32 v25, 0
	s_waitcnt lgkmcnt(0)
	v_lshl_add_u64 v[24:25], v[24:25], 1, s[12:13]
	global_store_short v[24:25], v22, off
	s_or_b64 exec, exec, s[6:7]
	s_and_saveexec_b64 s[6:7], s[0:1]
	s_cbranch_execz .LBB147_29
.LBB147_70:
	v_add_u32_e32 v22, v17, v6
	v_mov_b32_e32 v23, 0
	s_waitcnt lgkmcnt(0)
	v_lshl_add_u64 v[22:23], v[22:23], 1, s[12:13]
	global_store_short v[22:23], v20, off
	s_or_b64 exec, exec, s[6:7]
	s_and_saveexec_b64 s[6:7], s[2:3]
	s_cbranch_execz .LBB147_30
.LBB147_71:
	v_add_u32_e32 v20, v17, v7
	v_mov_b32_e32 v21, 0
	s_waitcnt lgkmcnt(0)
	v_lshl_add_u64 v[20:21], v[20:21], 1, s[12:13]
	global_store_short v[20:21], v19, off
	s_or_b64 exec, exec, s[6:7]
	s_and_saveexec_b64 s[6:7], s[4:5]
	s_cbranch_execnz .LBB147_31
	s_branch .LBB147_32
.LBB147_72:
	v_add_u32_e32 v18, v17, v0
	v_mov_b32_e32 v19, 0
	s_waitcnt lgkmcnt(0)
	v_lshl_add_u64 v[18:19], v[18:19], 1, s[12:13]
	global_store_short_d16_hi v[18:19], v16, off
	s_or_b64 exec, exec, s[6:7]
	s_and_saveexec_b64 s[6:7], s[0:1]
	s_cbranch_execz .LBB147_35
.LBB147_73:
	v_add_u32_e32 v18, v17, v6
	v_mov_b32_e32 v19, 0
	s_waitcnt lgkmcnt(0)
	v_lshl_add_u64 v[18:19], v[18:19], 1, s[12:13]
	global_store_short_d16_hi v[18:19], v15, off
	s_or_b64 exec, exec, s[6:7]
	s_and_saveexec_b64 s[6:7], s[2:3]
	s_cbranch_execz .LBB147_36
.LBB147_74:
	v_add_u32_e32 v18, v17, v7
	v_mov_b32_e32 v19, 0
	s_waitcnt lgkmcnt(0)
	v_lshl_add_u64 v[18:19], v[18:19], 1, s[12:13]
	global_store_short_d16_hi v[18:19], v14, off
	s_or_b64 exec, exec, s[6:7]
	s_and_saveexec_b64 s[6:7], s[4:5]
	s_cbranch_execnz .LBB147_37
	s_branch .LBB147_38
.LBB147_75:
	v_add_u32_e32 v18, v17, v0
	v_mov_b32_e32 v19, 0
	s_waitcnt lgkmcnt(0)
	v_lshl_add_u64 v[18:19], v[18:19], 1, s[12:13]
	global_store_short v[18:19], v16, off
	s_or_b64 exec, exec, s[6:7]
	s_and_saveexec_b64 s[6:7], s[0:1]
	s_cbranch_execz .LBB147_41
.LBB147_76:
	v_add_u32_e32 v18, v17, v6
	v_mov_b32_e32 v19, 0
	s_waitcnt lgkmcnt(0)
	v_lshl_add_u64 v[18:19], v[18:19], 1, s[12:13]
	global_store_short v[18:19], v15, off
	s_or_b64 exec, exec, s[6:7]
	s_and_saveexec_b64 s[6:7], s[2:3]
	s_cbranch_execz .LBB147_42
.LBB147_77:
	v_add_u32_e32 v18, v17, v7
	v_mov_b32_e32 v19, 0
	s_waitcnt lgkmcnt(0)
	v_lshl_add_u64 v[18:19], v[18:19], 1, s[12:13]
	global_store_short v[18:19], v14, off
	s_or_b64 exec, exec, s[6:7]
	s_and_saveexec_b64 s[6:7], s[4:5]
	s_cbranch_execnz .LBB147_43
	s_branch .LBB147_44
.LBB147_78:
	v_add_u32_e32 v14, v13, v0
	v_mov_b32_e32 v15, 0
	s_waitcnt lgkmcnt(0)
	v_lshl_add_u64 v[14:15], v[14:15], 1, s[12:13]
	global_store_short_d16_hi v[14:15], v12, off
	s_or_b64 exec, exec, s[6:7]
	s_and_saveexec_b64 s[6:7], s[0:1]
	s_cbranch_execz .LBB147_47
.LBB147_79:
	v_add_u32_e32 v14, v13, v6
	v_mov_b32_e32 v15, 0
	s_waitcnt lgkmcnt(0)
	v_lshl_add_u64 v[14:15], v[14:15], 1, s[12:13]
	global_store_short_d16_hi v[14:15], v11, off
	s_or_b64 exec, exec, s[6:7]
	s_and_saveexec_b64 s[6:7], s[2:3]
	s_cbranch_execz .LBB147_48
.LBB147_80:
	v_add_u32_e32 v14, v13, v7
	v_mov_b32_e32 v15, 0
	s_waitcnt lgkmcnt(0)
	v_lshl_add_u64 v[14:15], v[14:15], 1, s[12:13]
	global_store_short_d16_hi v[14:15], v10, off
	s_or_b64 exec, exec, s[6:7]
	s_and_saveexec_b64 s[6:7], s[4:5]
	s_cbranch_execnz .LBB147_49
	s_branch .LBB147_50
.LBB147_81:
	v_add_u32_e32 v14, v13, v0
	v_mov_b32_e32 v15, 0
	s_waitcnt lgkmcnt(0)
	v_lshl_add_u64 v[14:15], v[14:15], 1, s[12:13]
	global_store_short v[14:15], v12, off
	s_or_b64 exec, exec, s[6:7]
	s_and_saveexec_b64 s[6:7], s[0:1]
	s_cbranch_execz .LBB147_53
.LBB147_82:
	v_add_u32_e32 v14, v13, v6
	v_mov_b32_e32 v15, 0
	s_waitcnt lgkmcnt(0)
	v_lshl_add_u64 v[14:15], v[14:15], 1, s[12:13]
	global_store_short v[14:15], v11, off
	s_or_b64 exec, exec, s[6:7]
	s_and_saveexec_b64 s[6:7], s[2:3]
	s_cbranch_execz .LBB147_54
.LBB147_83:
	v_add_u32_e32 v14, v13, v7
	v_mov_b32_e32 v15, 0
	s_waitcnt lgkmcnt(0)
	v_lshl_add_u64 v[14:15], v[14:15], 1, s[12:13]
	global_store_short v[14:15], v10, off
	s_or_b64 exec, exec, s[6:7]
	s_and_saveexec_b64 s[6:7], s[4:5]
	s_cbranch_execnz .LBB147_55
	s_branch .LBB147_56
.LBB147_84:
	v_add_u32_e32 v10, v9, v0
	v_mov_b32_e32 v11, 0
	s_waitcnt lgkmcnt(0)
	v_lshl_add_u64 v[10:11], v[10:11], 1, s[12:13]
	global_store_short_d16_hi v[10:11], v4, off
	s_or_b64 exec, exec, s[6:7]
	s_and_saveexec_b64 s[6:7], s[0:1]
	s_cbranch_execz .LBB147_59
.LBB147_85:
	v_add_u32_e32 v10, v9, v6
	v_mov_b32_e32 v11, 0
	s_waitcnt lgkmcnt(0)
	v_lshl_add_u64 v[10:11], v[10:11], 1, s[12:13]
	global_store_short_d16_hi v[10:11], v3, off
	s_or_b64 exec, exec, s[6:7]
	s_and_saveexec_b64 s[6:7], s[2:3]
	s_cbranch_execz .LBB147_60
.LBB147_86:
	v_add_u32_e32 v10, v9, v7
	v_mov_b32_e32 v11, 0
	s_waitcnt lgkmcnt(0)
	v_lshl_add_u64 v[10:11], v[10:11], 1, s[12:13]
	global_store_short_d16_hi v[10:11], v2, off
	s_or_b64 exec, exec, s[6:7]
	s_and_saveexec_b64 s[6:7], s[4:5]
	s_cbranch_execnz .LBB147_61
	s_branch .LBB147_62
.LBB147_87:
	v_add_u32_e32 v10, v5, v0
	v_mov_b32_e32 v11, 0
	s_waitcnt lgkmcnt(0)
	v_lshl_add_u64 v[10:11], v[10:11], 1, s[12:13]
	global_store_short v[10:11], v4, off
	s_or_b64 exec, exec, s[6:7]
	s_and_saveexec_b64 s[6:7], s[0:1]
	s_cbranch_execz .LBB147_65
.LBB147_88:
	v_add_u32_e32 v10, v5, v6
	v_mov_b32_e32 v11, 0
	s_waitcnt lgkmcnt(0)
	v_lshl_add_u64 v[10:11], v[10:11], 1, s[12:13]
	global_store_short v[10:11], v3, off
	s_or_b64 exec, exec, s[6:7]
	s_and_saveexec_b64 s[0:1], s[2:3]
	s_cbranch_execz .LBB147_66
.LBB147_89:
	v_add_u32_e32 v6, v5, v7
	v_mov_b32_e32 v7, 0
	s_waitcnt lgkmcnt(0)
	v_lshl_add_u64 v[6:7], v[6:7], 1, s[12:13]
	global_store_short v[6:7], v2, off
	s_or_b64 exec, exec, s[0:1]
	s_and_b64 exec, exec, s[4:5]
	s_cbranch_execnz .LBB147_67
	s_branch .LBB147_68
	.section	.rodata,"a",@progbits
	.p2align	6, 0x0
	.amdhsa_kernel _ZL12mul_mat_q2_KIN3c104HalfELb0EEvPKvS3_PT_iiiii
		.amdhsa_group_segment_fixed_size 31392
		.amdhsa_private_segment_fixed_size 0
		.amdhsa_kernarg_size 44
		.amdhsa_user_sgpr_count 2
		.amdhsa_user_sgpr_dispatch_ptr 0
		.amdhsa_user_sgpr_queue_ptr 0
		.amdhsa_user_sgpr_kernarg_segment_ptr 1
		.amdhsa_user_sgpr_dispatch_id 0
		.amdhsa_user_sgpr_kernarg_preload_length 0
		.amdhsa_user_sgpr_kernarg_preload_offset 0
		.amdhsa_user_sgpr_private_segment_size 0
		.amdhsa_uses_dynamic_stack 0
		.amdhsa_enable_private_segment 0
		.amdhsa_system_sgpr_workgroup_id_x 1
		.amdhsa_system_sgpr_workgroup_id_y 1
		.amdhsa_system_sgpr_workgroup_id_z 0
		.amdhsa_system_sgpr_workgroup_info 0
		.amdhsa_system_vgpr_workitem_id 1
		.amdhsa_next_free_vgpr 215
		.amdhsa_next_free_sgpr 96
		.amdhsa_accum_offset 216
		.amdhsa_reserve_vcc 1
		.amdhsa_float_round_mode_32 0
		.amdhsa_float_round_mode_16_64 0
		.amdhsa_float_denorm_mode_32 3
		.amdhsa_float_denorm_mode_16_64 3
		.amdhsa_dx10_clamp 1
		.amdhsa_ieee_mode 1
		.amdhsa_fp16_overflow 0
		.amdhsa_tg_split 0
		.amdhsa_exception_fp_ieee_invalid_op 0
		.amdhsa_exception_fp_denorm_src 0
		.amdhsa_exception_fp_ieee_div_zero 0
		.amdhsa_exception_fp_ieee_overflow 0
		.amdhsa_exception_fp_ieee_underflow 0
		.amdhsa_exception_fp_ieee_inexact 0
		.amdhsa_exception_int_div_zero 0
	.end_amdhsa_kernel
	.section	.text._ZL12mul_mat_q2_KIN3c104HalfELb0EEvPKvS3_PT_iiiii,"axG",@progbits,_ZL12mul_mat_q2_KIN3c104HalfELb0EEvPKvS3_PT_iiiii,comdat
.Lfunc_end147:
	.size	_ZL12mul_mat_q2_KIN3c104HalfELb0EEvPKvS3_PT_iiiii, .Lfunc_end147-_ZL12mul_mat_q2_KIN3c104HalfELb0EEvPKvS3_PT_iiiii
                                        ; -- End function
	.set _ZL12mul_mat_q2_KIN3c104HalfELb0EEvPKvS3_PT_iiiii.num_vgpr, 215
	.set _ZL12mul_mat_q2_KIN3c104HalfELb0EEvPKvS3_PT_iiiii.num_agpr, 0
	.set _ZL12mul_mat_q2_KIN3c104HalfELb0EEvPKvS3_PT_iiiii.numbered_sgpr, 19
	.set _ZL12mul_mat_q2_KIN3c104HalfELb0EEvPKvS3_PT_iiiii.num_named_barrier, 0
	.set _ZL12mul_mat_q2_KIN3c104HalfELb0EEvPKvS3_PT_iiiii.private_seg_size, 0
	.set _ZL12mul_mat_q2_KIN3c104HalfELb0EEvPKvS3_PT_iiiii.uses_vcc, 1
	.set _ZL12mul_mat_q2_KIN3c104HalfELb0EEvPKvS3_PT_iiiii.uses_flat_scratch, 0
	.set _ZL12mul_mat_q2_KIN3c104HalfELb0EEvPKvS3_PT_iiiii.has_dyn_sized_stack, 0
	.set _ZL12mul_mat_q2_KIN3c104HalfELb0EEvPKvS3_PT_iiiii.has_recursion, 0
	.set _ZL12mul_mat_q2_KIN3c104HalfELb0EEvPKvS3_PT_iiiii.has_indirect_call, 0
	.section	.AMDGPU.csdata,"",@progbits
; Kernel info:
; codeLenInByte = 25532
; TotalNumSgprs: 25
; NumVgprs: 215
; NumAgprs: 0
; TotalNumVgprs: 215
; ScratchSize: 0
; MemoryBound: 0
; FloatMode: 240
; IeeeMode: 1
; LDSByteSize: 31392 bytes/workgroup (compile time only)
; SGPRBlocks: 12
; VGPRBlocks: 26
; NumSGPRsForWavesPerEU: 102
; NumVGPRsForWavesPerEU: 215
; AccumOffset: 216
; Occupancy: 2
; WaveLimiterHint : 0
; COMPUTE_PGM_RSRC2:SCRATCH_EN: 0
; COMPUTE_PGM_RSRC2:USER_SGPR: 2
; COMPUTE_PGM_RSRC2:TRAP_HANDLER: 0
; COMPUTE_PGM_RSRC2:TGID_X_EN: 1
; COMPUTE_PGM_RSRC2:TGID_Y_EN: 1
; COMPUTE_PGM_RSRC2:TGID_Z_EN: 0
; COMPUTE_PGM_RSRC2:TIDIG_COMP_CNT: 1
; COMPUTE_PGM_RSRC3_GFX90A:ACCUM_OFFSET: 53
; COMPUTE_PGM_RSRC3_GFX90A:TG_SPLIT: 0
	.section	.text._ZL12mul_mat_q2_KIN3c104HalfELb1EEvPKvS3_PT_iiiii,"axG",@progbits,_ZL12mul_mat_q2_KIN3c104HalfELb1EEvPKvS3_PT_iiiii,comdat
	.globl	_ZL12mul_mat_q2_KIN3c104HalfELb1EEvPKvS3_PT_iiiii ; -- Begin function _ZL12mul_mat_q2_KIN3c104HalfELb1EEvPKvS3_PT_iiiii
	.p2align	8
	.type	_ZL12mul_mat_q2_KIN3c104HalfELb1EEvPKvS3_PT_iiiii,@function
_ZL12mul_mat_q2_KIN3c104HalfELb1EEvPKvS3_PT_iiiii: ; @_ZL12mul_mat_q2_KIN3c104HalfELb1EEvPKvS3_PT_iiiii
; %bb.0:
	s_load_dwordx4 s[8:11], s[0:1], 0x18
	s_load_dword s14, s[0:1], 0x28
	s_lshl_b32 s15, s3, 6
	v_bfe_u32 v61, v0, 10, 10
	s_waitcnt lgkmcnt(0)
	s_cmpk_gt_i32 s8, 0xff
	s_cbranch_scc1 .LBB148_2
; %bb.1:
	v_bfe_u32 v5, v0, 10, 10
	v_and_b32_e32 v45, 0x3ff, v0
	v_add_u32_e32 v19, s15, v5
	s_mov_b64 s[4:5], 0
	s_branch .LBB148_3
.LBB148_2:
	s_mov_b64 s[4:5], -1
                                        ; implicit-def: $vgpr5
                                        ; implicit-def: $vgpr45
                                        ; implicit-def: $vgpr19
.LBB148_3:
	s_load_dwordx2 s[12:13], s[0:1], 0x10
	s_lshl_b32 s6, s2, 7
	s_mov_b32 s7, 0
	v_mov_b32_e32 v1, 0
	s_andn2_b64 vcc, exec, s[4:5]
	v_mov_b32_e32 v9, 0
	v_mov_b32_e32 v13, 0
	;; [unrolled: 1-line block ×15, first 2 shown]
	s_cbranch_vccnz .LBB148_17
; %bb.4:
	s_ashr_i32 s4, s8, 31
	s_load_dwordx4 s[0:3], s[0:1], 0x0
	s_lshr_b32 s4, s4, 24
	s_add_i32 s4, s8, s4
	s_ashr_i32 s5, s11, 31
	s_ashr_i32 s4, s4, 8
	s_lshr_b32 s5, s5, 27
	s_add_i32 s5, s11, s5
	s_mul_i32 s11, s4, s6
	s_ashr_i32 s8, s5, 5
	s_mul_hi_i32 s16, s11, 0x54
	s_mulk_i32 s11, 0x54
	s_waitcnt lgkmcnt(0)
	s_add_u32 s0, s0, s11
	s_addc_u32 s1, s1, s16
	s_not_b32 s11, s6
	s_add_i32 s11, s9, s11
	v_and_b32_e32 v45, 0x3ff, v0
	v_add_u32_e32 v8, 8, v61
	v_add_u32_e32 v10, 16, v61
	;; [unrolled: 1-line block ×7, first 2 shown]
	v_lshlrev_b32_e32 v2, 2, v45
	v_min_i32_e32 v1, s11, v61
                                        ; kill: def $vgpr3 killed $sgpr0 killed $exec
	s_movk_i32 s9, 0x84
	v_min_i32_e32 v9, s11, v8
	v_min_i32_e32 v11, s11, v10
	;; [unrolled: 1-line block ×7, first 2 shown]
	v_mad_u64_u32 v[18:19], s[16:17], v1, s9, v[2:3]
	v_mad_u64_u32 v[20:21], s[16:17], v9, s9, v[2:3]
	;; [unrolled: 1-line block ×8, first 2 shown]
	v_add_u32_e32 v3, 64, v61
	v_min_i32_e32 v78, s11, v3
	v_mad_u64_u32 v[34:35], s[16:17], v78, s9, v[2:3]
	v_add_u32_e32 v3, 0x48, v61
	v_min_i32_e32 v80, s11, v3
	v_mad_u64_u32 v[36:37], s[16:17], v80, s9, v[2:3]
	;; [unrolled: 3-line block ×5, first 2 shown]
	v_add_u32_e32 v3, 0x68, v61
	v_min_i32_e32 v88, s11, v3
	v_add_u32_e32 v3, 0x70, v61
	v_min_i32_e32 v90, s11, v3
	;; [unrolled: 2-line block ×3, first 2 shown]
	v_lshlrev_b32_e32 v59, 4, v61
	v_bfe_u32 v3, v0, 1, 9
	v_add_u32_e32 v3, v3, v59
	v_and_b32_e32 v3, 0x7f, v3
	v_min_i32_e32 v94, s11, v3
	v_ashrrev_i32_e32 v3, 31, v94
	v_lshrrev_b32_e32 v3, 28, v3
	v_add_u32_e32 v3, v94, v3
	v_and_b32_e32 v44, 1, v0
	v_ashrrev_i32_e32 v3, 4, v3
	v_lshlrev_b32_e32 v3, 2, v3
	v_lshlrev_b32_e32 v4, 2, v44
	s_movk_i32 s16, 0x7280
	v_bfe_u32 v21, v0, 3, 7
	v_add3_u32 v3, v3, v4, s16
	v_lshl_add_u32 v4, v61, 2, v21
	v_min_i32_e32 v96, s11, v4
	v_ashrrev_i32_e32 v5, 31, v96
	v_lshrrev_b32_e32 v5, 30, v5
	v_and_b32_e32 v104, 7, v0
	v_add_u32_e32 v5, v96, v5
	v_and_b32_e32 v5, -4, v5
	v_lshlrev_b32_e32 v6, 2, v104
	s_movk_i32 s16, 0x6200
	v_add3_u32 v33, v5, v6, s16
	v_add_u32_e32 v5, 32, v4
	v_min_i32_e32 v98, s11, v5
	v_ashrrev_i32_e32 v5, 31, v98
	v_lshrrev_b32_e32 v5, 30, v5
	v_add_u32_e32 v5, v98, v5
	v_and_b32_e32 v5, -4, v5
	v_add3_u32 v35, v5, v6, s16
	v_add_u32_e32 v5, 64, v4
	v_add_u32_e32 v4, 0x60, v4
	v_min_i32_e32 v100, s11, v5
	v_min_i32_e32 v102, s11, v4
	v_ashrrev_i32_e32 v5, 31, v100
	v_ashrrev_i32_e32 v4, 31, v102
	v_lshrrev_b32_e32 v5, 30, v5
	v_lshrrev_b32_e32 v4, 30, v4
	v_add_u32_e32 v5, v100, v5
	v_add_u32_e32 v4, v102, v4
	v_and_b32_e32 v5, -4, v5
	v_and_b32_e32 v4, -4, v4
	v_add3_u32 v37, v5, v6, s16
	v_add3_u32 v39, v4, v6, s16
	v_and_b32_e32 v6, 31, v0
	v_mov_b32_e32 v7, 0x4200
	v_lshl_or_b32 v60, v6, 2, v7
	v_bfe_u32 v6, v0, 2, 8
	v_lshl_add_u32 v6, v61, 3, v6
	v_and_b32_e32 v7, 63, v6
	s_add_i32 s11, s10, -1
	v_or_b32_e32 v23, s15, v7
	v_and_b32_e32 v6, 3, v0
	v_min_i32_e32 v23, s11, v23
	v_add_u32_e32 v19, s15, v61
	v_mad_u64_u32 v[46:47], s[16:17], v23, s8, v[6:7]
	v_lshlrev_b32_e32 v6, 2, v6
	v_cvt_f64_i32_e32 v[4:5], s11
	v_lshl_or_b32 v41, v7, 4, v6
	v_cvt_f64_u32_e32 v[6:7], v19
	v_min_f64 v[6:7], v[6:7], v[4:5]
	v_cvt_i32_f64_e32 v43, v[6:7]
	v_add_u32_e32 v6, 8, v19
	v_cvt_f64_u32_e32 v[6:7], v6
	v_min_f64 v[6:7], v[6:7], v[4:5]
	v_cvt_i32_f64_e32 v47, v[6:7]
	v_add_u32_e32 v6, 16, v19
	;; [unrolled: 4-line block ×8, first 2 shown]
	v_add_u32_e32 v6, 64, v45
	v_add_u32_e32 v7, 0x60, v45
	v_lshlrev_b32_e32 v31, 3, v94
	v_lshlrev_b32_e32 v29, 5, v45
	v_and_b32_e32 v23, 0xfc, v0
	v_and_b32_e32 v25, 0x1fc, v5
	;; [unrolled: 1-line block ×4, first 2 shown]
	v_add_u32_e32 v23, v29, v23
	v_add_u32_e32 v25, v29, v25
	;; [unrolled: 1-line block ×4, first 2 shown]
	v_lshlrev_b32_e32 v48, 5, v96
	v_add_u32_e32 v31, v3, v31
	v_lshlrev_b32_e32 v3, 5, v98
	v_mov_b32_e32 v17, 0
	v_add_u32_e32 v33, v33, v48
	v_lshlrev_b32_e32 v48, 5, v100
	v_add_u32_e32 v35, v35, v3
	v_lshlrev_b32_e32 v3, 5, v102
	v_and_b32_e32 v16, 60, v2
	v_add_u32_e32 v37, v37, v48
	v_add_u32_e32 v39, v39, v3
	v_and_b32_e32 v48, 12, v2
	v_mad_u64_u32 v[50:51], s[16:17], v88, s9, v[2:3]
	v_mad_u64_u32 v[52:53], s[16:17], v90, s9, v[2:3]
	;; [unrolled: 1-line block ×3, first 2 shown]
	v_and_b32_e32 v2, 28, v2
	v_mov_b32_e32 v3, v17
	v_mul_lo_u32 v51, s8, v62
	v_mul_lo_u32 v55, s8, v64
	v_lshlrev_b32_e32 v62, 7, v56
	v_lshlrev_b32_e32 v64, 7, v57
	v_lshl_add_u64 v[56:57], s[2:3], 0, v[2:3]
	v_mul_u32_u24_e32 v2, 33, v45
	v_lshlrev_b32_e32 v8, 7, v8
	v_lshlrev_b32_e32 v10, 7, v10
	;; [unrolled: 1-line block ×4, first 2 shown]
	v_mul_lo_u32 v67, s8, v4
	v_lshlrev_b32_e32 v4, 7, v58
	v_lshlrev_b32_e32 v75, 2, v2
	;; [unrolled: 1-line block ×3, first 2 shown]
	v_mul_lo_u32 v53, s8, v63
	v_mul_lo_u32 v63, s8, v65
	;; [unrolled: 1-line block ×3, first 2 shown]
	v_lshlrev_b32_e32 v66, 1, v5
	v_lshrrev_b32_e32 v68, 4, v5
	v_lshrrev_b32_e32 v69, 3, v5
	v_lshlrev_b32_e32 v5, 1, v6
	v_lshrrev_b32_e32 v70, 4, v6
	v_lshrrev_b32_e32 v71, 3, v6
	v_lshlrev_b32_e32 v6, 1, v7
	v_lshrrev_b32_e32 v105, 4, v7
	v_add_u32_e32 v77, 0x76a0, v59
	v_add_u32_e32 v79, v60, v8
	;; [unrolled: 1-line block ×10, first 2 shown]
	v_mov_b32_e32 v58, v17
	v_mov_b32_e32 v59, v17
	v_lshlrev_b32_e32 v2, 1, v45
	v_bfe_u32 v60, v0, 4, 6
	v_cmp_lt_u32_e32 vcc, 3, v104
	s_movk_i32 s5, 0x54
	v_mov_b32_e32 v49, v17
	v_add_u32_e32 v41, 0x76a0, v41
	v_mul_lo_u32 v43, s8, v43
	v_mul_lo_u32 v47, s8, v47
	v_lshrrev_b32_e32 v73, 3, v7
	v_lshlrev_b32_e32 v97, 2, v2
	v_lshlrev_b32_e32 v99, 2, v68
	;; [unrolled: 1-line block ×7, first 2 shown]
	s_mov_b32 s8, 0x1010101
	v_mul_lo_u32 v62, v1, s4
	v_mul_lo_u32 v64, v9, s4
	;; [unrolled: 1-line block ×21, first 2 shown]
	v_add_u32_e32 v141, 0x6200, v23
	v_add_u32_e32 v143, 0x6600, v25
	;; [unrolled: 1-line block ×4, first 2 shown]
	v_lshlrev_b32_e32 v156, 2, v60
	v_mov_b32_e32 v157, 4
	v_mov_b32_e32 v158, 15
	v_cndmask_b32_e64 v116, 0, 1, vcc
	v_mov_b64_e32 v[110:111], v[58:59]
	v_mov_b64_e32 v[106:107], v[58:59]
	;; [unrolled: 1-line block ×15, first 2 shown]
	s_branch .LBB148_6
.LBB148_5:                              ;   in Loop: Header=BB148_6 Depth=1
	s_add_i32 s7, s7, 2
	s_cmp_ge_i32 s7, s4
	s_cbranch_scc1 .LBB148_16
.LBB148_6:                              ; =>This Loop Header: Depth=1
                                        ;     Child Loop BB148_7 Depth 2
                                        ;     Child Loop BB148_9 Depth 2
	;; [unrolled: 1-line block ×4, first 2 shown]
	s_mul_i32 s11, s7, 0x54
	s_mul_hi_u32 s9, s7, 0x54
	s_add_u32 s16, s0, s11
	s_addc_u32 s17, s1, s9
	v_mov_b64_e32 v[0:1], s[16:17]
	v_mad_u64_u32 v[2:3], s[16:17], v60, s5, v[0:1]
	v_mad_i64_i32 v[4:5], s[16:17], v62, s5, v[2:3]
	v_mad_i64_i32 v[6:7], s[16:17], v64, s5, v[2:3]
	;; [unrolled: 1-line block ×8, first 2 shown]
	v_lshl_add_u64 v[4:5], v[4:5], 0, v[16:17]
	v_lshl_add_u64 v[6:7], v[6:7], 0, v[16:17]
	;; [unrolled: 1-line block ×8, first 2 shown]
	global_load_dword v136, v[4:5], off offset:16
	global_load_dword v138, v[6:7], off offset:16
	;; [unrolled: 1-line block ×7, first 2 shown]
	s_nop 0
	global_load_dword v146, v[146:147], off offset:16
	v_mad_i64_i32 v[4:5], s[16:17], v78, s5, v[2:3]
	v_mad_i64_i32 v[6:7], s[16:17], v80, s5, v[2:3]
	;; [unrolled: 1-line block ×8, first 2 shown]
	v_lshl_add_u64 v[4:5], v[4:5], 0, v[16:17]
	v_lshl_add_u64 v[10:11], v[10:11], 0, v[16:17]
	;; [unrolled: 1-line block ×8, first 2 shown]
	global_load_dword v147, v[4:5], off offset:16
	global_load_dword v153, v[6:7], off offset:16
	;; [unrolled: 1-line block ×3, first 2 shown]
	s_nop 0
	global_load_dword v10, v[10:11], off offset:16
	s_nop 0
	global_load_dword v11, v[12:13], off offset:16
	;; [unrolled: 2-line block ×3, first 2 shown]
	global_load_dword v13, v[144:145], off offset:16
	s_nop 0
	global_load_dword v14, v[2:3], off offset:16
	v_mad_i64_i32 v[2:3], s[16:17], v94, s5, v[0:1]
	v_mad_u64_u32 v[0:1], s[16:17], v116, s5, v[0:1]
	v_lshl_add_u64 v[0:1], v[0:1], 0, v[48:49]
	s_lshl_b32 s9, s7, 3
	v_mad_u64_u32 v[2:3], s[16:17], v44, s5, v[2:3]
	v_mad_i64_i32 v[4:5], s[16:17], v96, s5, v[0:1]
	v_mad_i64_i32 v[6:7], s[16:17], v98, s5, v[0:1]
	v_mad_i64_i32 v[8:9], s[16:17], v100, s5, v[0:1]
	v_mad_i64_i32 v[0:1], s[16:17], v102, s5, v[0:1]
	v_add_u32_e32 v161, s9, v21
	global_load_dword v15, v[2:3], off offset:80
	global_load_dword v144, v[4:5], off
	global_load_dword v145, v[6:7], off
	;; [unrolled: 1-line block ×4, first 2 shown]
	v_add_u32_e32 v0, v161, v43
	v_add_u32_e32 v2, v161, v47
	;; [unrolled: 1-line block ×3, first 2 shown]
	v_mad_i64_i32 v[0:1], s[16:17], v0, 36, v[56:57]
	v_mad_i64_i32 v[2:3], s[16:17], v2, 36, v[56:57]
	v_add_u32_e32 v4, v161, v51
	v_add_u32_e32 v6, v161, v53
	v_mad_i64_i32 v[8:9], s[16:17], v8, 36, v[56:57]
	v_add_u32_e32 v159, s9, v46
	v_mad_i64_i32 v[4:5], s[16:17], v4, 36, v[56:57]
	v_mad_i64_i32 v[6:7], s[16:17], v6, 36, v[56:57]
	global_load_dword v162, v[0:1], off offset:4
	global_load_dword v163, v[2:3], off offset:4
	;; [unrolled: 1-line block ×4, first 2 shown]
	s_nop 0
	global_load_dword v8, v[8:9], off offset:4
	v_add_u32_e32 v0, v161, v63
	v_add_u32_e32 v2, v161, v65
	v_mad_i64_i32 v[0:1], s[16:17], v0, 36, v[56:57]
	v_mad_i64_i32 v[2:3], s[16:17], v2, 36, v[56:57]
	v_add_u32_e32 v4, v161, v67
	v_mad_u64_u32 v[6:7], s[16:17], v159, 36, s[2:3]
	v_mad_i64_i32 v[4:5], s[16:17], v4, 36, v[56:57]
	global_load_dword v6, v[6:7], off
	s_nop 0
	global_load_dword v0, v[0:1], off offset:4
	s_nop 0
	global_load_dword v1, v[2:3], off offset:4
	;; [unrolled: 2-line block ×3, first 2 shown]
	s_waitcnt vmcnt(29)
	ds_write_b32 v18, v136
	s_waitcnt vmcnt(28)
	ds_write_b32 v20, v138
	;; [unrolled: 2-line block ×26, first 2 shown]
	v_mov_b32_e32 v145, v95
	v_mov_b32_e32 v147, v77
	s_mov_b32 s11, 0
	s_waitcnt vmcnt(3)
	v_cvt_f32_f16_e32 v3, v6
	s_waitcnt vmcnt(2)
	ds_write_b32 v87, v0
	s_waitcnt vmcnt(1)
	ds_write_b32 v89, v1
	s_waitcnt vmcnt(0)
	ds_write_b32 v91, v2
	ds_write_b32 v41, v3
	s_waitcnt lgkmcnt(0)
	s_barrier
.LBB148_7:                              ;   Parent Loop BB148_6 Depth=1
                                        ; =>  This Inner Loop Header: Depth=2
	s_and_b32 s17, s11, 0x3ffffff8
	v_lshl_add_u32 v10, s17, 2, v75
	ds_read2_b32 v[152:153], v147 offset1:32
	ds_read_b128 v[4:7], v145
	ds_read_b128 v[0:3], v145 offset:16
	ds_read2_b32 v[8:9], v10 offset1:1
	s_lshr_b32 s17, s11, 2
	s_and_b32 s17, s17, 0x3ffffffc
	s_addk_i32 s17, 0x7280
	s_and_b32 s16, s11, -16
	s_waitcnt lgkmcnt(0)
	v_ashrrev_i32_e32 v8, s11, v8
	v_and_b32_e32 v171, 0x3030303, v8
	v_ashrrev_i32_e32 v8, s11, v9
	v_and_b32_e32 v168, 0x3030303, v8
	ds_read2_b32 v[8:9], v10 offset0:2 offset1:3
	s_add_i32 s16, s11, s16
	v_add_u32_e32 v193, s16, v141
	v_mov_b32_e32 v200, 0
	v_mov_b32_e32 v204, 0
	s_waitcnt lgkmcnt(0)
	v_ashrrev_i32_e32 v8, s11, v8
	v_and_b32_e32 v169, 0x3030303, v8
	v_ashrrev_i32_e32 v8, s11, v9
	v_and_b32_e32 v170, 0x3030303, v8
	ds_read2_b32 v[8:9], v10 offset0:4 offset1:5
	v_mov_b32_e32 v154, 0
	v_mov_b32_e32 v198, 0
	v_dot4c_i32_i8_e32 v154, v171, v4
	v_mov_b32_e32 v155, 0
	s_waitcnt lgkmcnt(0)
	v_ashrrev_i32_e32 v8, s11, v8
	v_and_b32_e32 v164, 0x3030303, v8
	v_ashrrev_i32_e32 v8, s11, v9
	v_and_b32_e32 v165, 0x3030303, v8
	ds_read2_b32 v[8:9], v10 offset0:6 offset1:7
	v_mov_b32_e32 v199, 0
	v_dot4c_i32_i8_e32 v154, v168, v5
	v_dot4c_i32_i8_e32 v155, v164, v0
	v_dot4c_i32_i8_e32 v154, v169, v6
	s_waitcnt lgkmcnt(0)
	v_ashrrev_i32_e32 v8, s11, v8
	v_and_b32_e32 v166, 0x3030303, v8
	v_ashrrev_i32_e32 v8, s11, v9
	v_and_b32_e32 v167, 0x3030303, v8
	v_add3_u32 v8, s17, v156, v97
	ds_read_b32 v8, v8
	v_dot4c_i32_i8_e32 v155, v165, v1
	v_dot4c_i32_i8_e32 v154, v170, v7
	;; [unrolled: 1-line block ×4, first 2 shown]
	s_waitcnt lgkmcnt(0)
	v_cvt_f32_f16_e32 v140, v8
	v_cvt_f32_f16_sdwa v142, v8 dst_sel:DWORD dst_unused:UNUSED_PAD src0_sel:WORD_1
	v_add_u32_e32 v8, 0x1080, v10
	ds_read2_b32 v[8:9], v8 offset1:1
	v_add_u32_e32 v197, s16, v143
	v_add_u32_e32 v201, s16, v149
	;; [unrolled: 1-line block ×3, first 2 shown]
	v_mov_b32_e32 v209, 0
	s_waitcnt lgkmcnt(0)
	v_ashrrev_i32_e32 v8, s11, v8
	v_and_b32_e32 v191, 0x3030303, v8
	v_ashrrev_i32_e32 v8, s11, v9
	v_and_b32_e32 v185, 0x3030303, v8
	v_add_u32_e32 v8, 0x1088, v10
	ds_read2_b32 v[8:9], v8 offset1:1
	v_mov_b32_e32 v212, 0
	v_mov_b32_e32 v202, 0
	v_dot4c_i32_i8_e32 v202, v191, v4
	v_mov_b32_e32 v203, 0
	s_waitcnt lgkmcnt(0)
	v_ashrrev_i32_e32 v8, s11, v8
	v_and_b32_e32 v189, 0x3030303, v8
	v_ashrrev_i32_e32 v8, s11, v9
	v_and_b32_e32 v190, 0x3030303, v8
	v_add_u32_e32 v8, 0x1090, v10
	ds_read2_b32 v[8:9], v8 offset1:1
	v_dot4c_i32_i8_e32 v202, v185, v5
	v_dot4c_i32_i8_e32 v202, v189, v6
	;; [unrolled: 1-line block ×3, first 2 shown]
	v_mov_b32_e32 v213, 0
	s_waitcnt lgkmcnt(0)
	v_ashrrev_i32_e32 v8, s11, v8
	v_and_b32_e32 v180, 0x3030303, v8
	v_ashrrev_i32_e32 v8, s11, v9
	v_and_b32_e32 v181, 0x3030303, v8
	v_add_u32_e32 v8, 0x1098, v10
	ds_read2_b32 v[8:9], v8 offset1:1
	v_dot4c_i32_i8_e32 v203, v180, v0
	v_dot4c_i32_i8_e32 v203, v181, v1
	v_mov_b32_e32 v205, 0
	v_mov_b32_e32 v208, 0
	s_waitcnt lgkmcnt(0)
	v_ashrrev_i32_e32 v8, s11, v8
	v_and_b32_e32 v182, 0x3030303, v8
	v_ashrrev_i32_e32 v8, s11, v9
	v_and_b32_e32 v183, 0x3030303, v8
	v_add3_u32 v8, s17, v99, v101
	ds_read_b32 v8, v8
	v_dot4c_i32_i8_e32 v203, v182, v2
	v_dot4c_i32_i8_e32 v203, v183, v3
	v_mov_b32_e32 v206, 0
	v_mov_b32_e32 v207, 0
	s_waitcnt lgkmcnt(0)
	v_cvt_f32_f16_e32 v148, v8
	v_cvt_f32_f16_sdwa v150, v8 dst_sel:DWORD dst_unused:UNUSED_PAD src0_sel:WORD_1
	v_add_u32_e32 v8, 0x2100, v10
	ds_read2_b32 v[8:9], v8 offset1:1
	s_waitcnt lgkmcnt(0)
	v_ashrrev_i32_e32 v8, s11, v8
	v_and_b32_e32 v179, 0x3030303, v8
	v_ashrrev_i32_e32 v8, s11, v9
	v_and_b32_e32 v176, 0x3030303, v8
	v_add_u32_e32 v8, 0x2108, v10
	ds_read2_b32 v[8:9], v8 offset1:1
	v_dot4c_i32_i8_e32 v205, v179, v4
	v_dot4c_i32_i8_e32 v205, v176, v5
	s_waitcnt lgkmcnt(0)
	v_ashrrev_i32_e32 v8, s11, v8
	v_and_b32_e32 v177, 0x3030303, v8
	v_ashrrev_i32_e32 v8, s11, v9
	v_and_b32_e32 v178, 0x3030303, v8
	v_add_u32_e32 v8, 0x2110, v10
	ds_read2_b32 v[8:9], v8 offset1:1
	v_dot4c_i32_i8_e32 v205, v177, v6
	v_dot4c_i32_i8_e32 v205, v178, v7
	s_waitcnt lgkmcnt(0)
	v_ashrrev_i32_e32 v8, s11, v8
	v_and_b32_e32 v172, 0x3030303, v8
	v_ashrrev_i32_e32 v8, s11, v9
	v_and_b32_e32 v173, 0x3030303, v8
	v_add_u32_e32 v8, 0x2118, v10
	ds_read2_b32 v[8:9], v8 offset1:1
	v_dot4c_i32_i8_e32 v208, v172, v0
	v_dot4c_i32_i8_e32 v208, v173, v1
	s_waitcnt lgkmcnt(0)
	v_ashrrev_i32_e32 v8, s11, v8
	v_and_b32_e32 v174, 0x3030303, v8
	v_ashrrev_i32_e32 v8, s11, v9
	v_and_b32_e32 v175, 0x3030303, v8
	v_add3_u32 v8, s17, v103, v117
	ds_read_b32 v8, v8
	v_dot4c_i32_i8_e32 v208, v174, v2
	v_dot4c_i32_i8_e32 v208, v175, v3
	s_waitcnt lgkmcnt(0)
	v_cvt_f32_f16_e32 v144, v8
	v_cvt_f32_f16_sdwa v146, v8 dst_sel:DWORD dst_unused:UNUSED_PAD src0_sel:WORD_1
	v_add_u32_e32 v8, 0x3180, v10
	ds_read2_b32 v[8:9], v8 offset1:1
	s_waitcnt lgkmcnt(0)
	v_ashrrev_i32_e32 v8, s11, v8
	v_and_b32_e32 v186, 0x3030303, v8
	v_ashrrev_i32_e32 v8, s11, v9
	v_and_b32_e32 v184, 0x3030303, v8
	v_add_u32_e32 v8, 0x3188, v10
	ds_read2_b32 v[8:9], v8 offset1:1
	v_dot4c_i32_i8_e32 v206, v186, v4
	v_dot4c_i32_i8_e32 v206, v184, v5
	s_waitcnt lgkmcnt(0)
	v_ashrrev_i32_e32 v8, s11, v8
	v_and_b32_e32 v187, 0x3030303, v8
	v_ashrrev_i32_e32 v8, s11, v9
	v_and_b32_e32 v188, 0x3030303, v8
	v_add_u32_e32 v8, 0x3190, v10
	ds_read2_b32 v[8:9], v8 offset1:1
	v_dot4c_i32_i8_e32 v206, v187, v6
	v_dot4c_i32_i8_e32 v206, v188, v7
	;; [unrolled: 9-line block ×3, first 2 shown]
	s_waitcnt lgkmcnt(0)
	v_ashrrev_i32_e32 v8, s11, v8
	v_and_b32_e32 v162, 0x3030303, v8
	v_ashrrev_i32_e32 v8, s11, v9
	v_and_b32_e32 v163, 0x3030303, v8
	v_add3_u32 v8, s17, v137, v139
	ds_read_b32 v8, v8
	v_dot4c_i32_i8_e32 v207, v162, v2
	v_dot4c_i32_i8_e32 v207, v163, v3
	s_waitcnt lgkmcnt(0)
	v_cvt_f32_f16_e32 v136, v8
	v_cvt_f32_f16_sdwa v138, v8 dst_sel:DWORD dst_unused:UNUSED_PAD src0_sel:WORD_1
	ds_read_b128 v[12:15], v145 offset:1024
	ds_read_b128 v[8:11], v145 offset:1040
	ds_read_u16 v195, v193
	s_waitcnt lgkmcnt(2)
	v_dot4c_i32_i8_e32 v199, v171, v12
	s_waitcnt lgkmcnt(1)
	v_dot4c_i32_i8_e32 v198, v164, v8
	s_waitcnt lgkmcnt(0)
	v_bfe_u32 v193, v195, 4, 4
	v_mul_lo_u32 v193, v193, s8
	v_dot4c_i32_i8_e32 v200, v193, v4
	v_dot4c_i32_i8_e32 v204, v193, v12
	;; [unrolled: 1-line block ×5, first 2 shown]
	v_lshrrev_b32_sdwa v194, v157, v195 dst_sel:DWORD dst_unused:UNUSED_PAD src0_sel:DWORD src1_sel:BYTE_1
	v_dot4c_i32_i8_e32 v204, v193, v14
	v_dot4c_i32_i8_e32 v198, v165, v9
	;; [unrolled: 1-line block ×3, first 2 shown]
	v_mul_lo_u32 v194, v194, s8
	v_dot4c_i32_i8_e32 v204, v193, v15
	v_dot4c_i32_i8_e32 v199, v168, v13
	;; [unrolled: 1-line block ×4, first 2 shown]
	v_and_b32_e32 v196, 15, v195
	v_and_b32_sdwa v195, v195, v158 dst_sel:DWORD dst_unused:UNUSED_PAD src0_sel:BYTE_1 src1_sel:DWORD
	v_dot4c_i32_i8_e32 v204, v194, v8
	v_dot4c_i32_i8_e32 v199, v169, v14
	;; [unrolled: 1-line block ×4, first 2 shown]
	v_and_b32_e32 v195, 0xffff, v195
	v_and_b32_e32 v196, 0xffff, v196
	v_dot4c_i32_i8_e32 v204, v194, v9
	v_dot4c_i32_i8_e32 v199, v170, v15
	;; [unrolled: 1-line block ×4, first 2 shown]
	v_mul_lo_u32 v154, v154, v196
	v_mul_lo_u32 v198, v198, v195
	v_dot4c_i32_i8_e32 v200, v194, v3
	v_dot4c_i32_i8_e32 v204, v194, v11
	v_mad_u64_u32 v[198:199], s[16:17], v199, v196, v[198:199]
	v_mad_u64_u32 v[154:155], s[16:17], v155, v195, v[154:155]
	v_cvt_f32_i32_e32 v155, v154
	v_cvt_f32_i32_e32 v154, v198
	;; [unrolled: 1-line block ×4, first 2 shown]
	v_mov_b32_e32 v204, 0
	v_dot4c_i32_i8_e32 v204, v180, v8
	v_dot4c_i32_i8_e32 v204, v181, v9
	v_pk_mul_f32 v[198:199], v[142:143], v[198:199] op_sel_hi:[0,1]
	v_pk_fma_f32 v[198:199], v[140:141], v[154:155], v[198:199] op_sel_hi:[0,1,1] neg_lo:[0,0,1] neg_hi:[0,0,1]
	v_mov_b32_e32 v155, v152
	ds_read_u16 v152, v197
	v_mov_b32_e32 v154, v153
	v_pk_fma_f32 v[58:59], v[154:155], v[198:199], v[58:59]
	v_mov_b32_e32 v153, 0
	v_dot4c_i32_i8_e32 v153, v191, v12
	s_waitcnt lgkmcnt(0)
	v_bfe_u32 v197, v152, 4, 4
	v_mul_lo_u32 v197, v197, s8
	v_dot4c_i32_i8_e32 v209, v197, v4
	v_dot4c_i32_i8_e32 v212, v197, v12
	;; [unrolled: 1-line block ×5, first 2 shown]
	v_lshrrev_b32_sdwa v198, v157, v152 dst_sel:DWORD dst_unused:UNUSED_PAD src0_sel:DWORD src1_sel:BYTE_1
	v_dot4c_i32_i8_e32 v212, v197, v14
	v_dot4c_i32_i8_e32 v209, v197, v7
	v_mul_lo_u32 v198, v198, s8
	v_dot4c_i32_i8_e32 v212, v197, v15
	v_dot4c_i32_i8_e32 v209, v198, v0
	;; [unrolled: 1-line block ×6, first 2 shown]
	v_and_b32_e32 v200, 15, v152
	v_and_b32_sdwa v152, v152, v158 dst_sel:DWORD dst_unused:UNUSED_PAD src0_sel:BYTE_1 src1_sel:DWORD
	v_dot4c_i32_i8_e32 v212, v198, v9
	v_dot4c_i32_i8_e32 v153, v189, v14
	;; [unrolled: 1-line block ×4, first 2 shown]
	v_and_b32_e32 v199, 0xffff, v152
	v_and_b32_e32 v200, 0xffff, v200
	v_dot4c_i32_i8_e32 v212, v198, v10
	v_dot4c_i32_i8_e32 v153, v190, v15
	;; [unrolled: 1-line block ×4, first 2 shown]
	v_mul_lo_u32 v152, v202, v200
	v_mul_lo_u32 v202, v204, v199
	v_mad_u64_u32 v[210:211], s[16:17], v153, v200, v[202:203]
	v_mad_u64_u32 v[152:153], s[16:17], v203, v199, v[152:153]
	v_cvt_f32_i32_e32 v203, v209
	v_cvt_f32_i32_e32 v202, v212
	;; [unrolled: 1-line block ×4, first 2 shown]
	v_mov_b32_e32 v212, 0
	v_pk_mul_f32 v[202:203], v[150:151], v[202:203] op_sel_hi:[0,1]
	v_mov_b32_e32 v209, 0
	v_pk_fma_f32 v[152:153], v[148:149], v[152:153], v[202:203] op_sel_hi:[0,1,1] neg_lo:[0,0,1] neg_hi:[0,0,1]
	v_pk_fma_f32 v[124:125], v[154:155], v[152:153], v[124:125]
	ds_read_u16 v152, v201
	v_mov_b32_e32 v153, 0
	v_dot4c_i32_i8_e32 v209, v172, v8
	v_dot4c_i32_i8_e32 v153, v179, v12
	;; [unrolled: 1-line block ×3, first 2 shown]
	s_waitcnt lgkmcnt(0)
	v_bfe_u32 v201, v152, 4, 4
	v_mul_lo_u32 v201, v201, s8
	v_dot4c_i32_i8_e32 v212, v201, v4
	v_dot4c_i32_i8_e32 v213, v201, v12
	;; [unrolled: 1-line block ×5, first 2 shown]
	v_lshrrev_b32_sdwa v202, v157, v152 dst_sel:DWORD dst_unused:UNUSED_PAD src0_sel:DWORD src1_sel:BYTE_1
	v_dot4c_i32_i8_e32 v213, v201, v14
	v_dot4c_i32_i8_e32 v212, v201, v7
	v_mul_lo_u32 v202, v202, s8
	v_dot4c_i32_i8_e32 v213, v201, v15
	v_dot4c_i32_i8_e32 v212, v202, v0
	;; [unrolled: 1-line block ×6, first 2 shown]
	v_and_b32_e32 v204, 15, v152
	v_and_b32_sdwa v152, v152, v158 dst_sel:DWORD dst_unused:UNUSED_PAD src0_sel:BYTE_1 src1_sel:DWORD
	v_dot4c_i32_i8_e32 v213, v202, v9
	v_dot4c_i32_i8_e32 v153, v177, v14
	v_dot4c_i32_i8_e32 v209, v175, v11
	v_dot4c_i32_i8_e32 v212, v202, v2
	v_and_b32_e32 v203, 0xffff, v152
	v_and_b32_e32 v204, 0xffff, v204
	v_dot4c_i32_i8_e32 v213, v202, v10
	v_dot4c_i32_i8_e32 v153, v178, v15
	;; [unrolled: 1-line block ×4, first 2 shown]
	v_mul_lo_u32 v152, v205, v204
	v_mul_lo_u32 v210, v209, v203
	v_mad_u64_u32 v[210:211], s[16:17], v153, v204, v[210:211]
	v_mad_u64_u32 v[152:153], s[16:17], v208, v203, v[152:153]
	v_cvt_f32_i32_e32 v209, v212
	v_cvt_f32_i32_e32 v208, v213
	;; [unrolled: 1-line block ×4, first 2 shown]
	v_mov_b32_e32 v210, 0
	v_pk_mul_f32 v[208:209], v[146:147], v[208:209] op_sel_hi:[0,1]
	v_mov_b32_e32 v211, 0
	v_pk_fma_f32 v[152:153], v[144:145], v[152:153], v[208:209] op_sel_hi:[0,1,1] neg_lo:[0,0,1] neg_hi:[0,0,1]
	v_pk_fma_f32 v[130:131], v[154:155], v[152:153], v[130:131]
	ds_read_u16 v153, v192
	v_mov_b32_e32 v209, 0
	v_mov_b32_e32 v208, 0
	v_dot4c_i32_i8_e32 v209, v160, v8
	v_dot4c_i32_i8_e32 v208, v186, v12
	s_waitcnt lgkmcnt(0)
	v_bfe_u32 v152, v153, 4, 4
	v_mul_lo_u32 v205, v152, s8
	v_dot4c_i32_i8_e32 v210, v205, v4
	v_lshrrev_b32_sdwa v4, v157, v153 dst_sel:DWORD dst_unused:UNUSED_PAD src0_sel:DWORD src1_sel:BYTE_1
	v_mul_lo_u32 v152, v4, s8
	v_mov_b32_e32 v4, 0
	v_dot4c_i32_i8_e32 v210, v205, v5
	v_dot4c_i32_i8_e32 v4, v205, v12
	;; [unrolled: 1-line block ×12, first 2 shown]
	v_and_b32_e32 v0, 15, v153
	v_and_b32_sdwa v1, v153, v158 dst_sel:DWORD dst_unused:UNUSED_PAD src0_sel:BYTE_1 src1_sel:DWORD
	v_dot4c_i32_i8_e32 v4, v152, v8
	v_dot4c_i32_i8_e32 v208, v187, v14
	;; [unrolled: 1-line block ×3, first 2 shown]
	v_and_b32_e32 v153, 0xffff, v1
	v_and_b32_e32 v192, 0xffff, v0
	v_dot4c_i32_i8_e32 v4, v152, v9
	v_dot4c_i32_i8_e32 v208, v188, v15
	;; [unrolled: 1-line block ×4, first 2 shown]
	v_mul_lo_u32 v0, v206, v192
	v_mul_lo_u32 v2, v209, v153
	v_dot4c_i32_i8_e32 v210, v152, v3
	v_dot4c_i32_i8_e32 v4, v152, v11
	v_mad_u64_u32 v[2:3], s[16:17], v208, v192, v[2:3]
	v_mad_u64_u32 v[0:1], s[16:17], v207, v153, v[0:1]
	v_cvt_f32_i32_e32 v1, v0
	v_cvt_f32_i32_e32 v0, v2
	;; [unrolled: 1-line block ×4, first 2 shown]
	v_mov_b32_e32 v206, 0
	v_mov_b32_e32 v209, 0
	v_mov_b32_e32 v12, 0
	v_pk_mul_f32 v[2:3], v[138:139], v[2:3] op_sel_hi:[0,1]
	v_pk_fma_f32 v[0:1], v[136:137], v[0:1], v[2:3] op_sel_hi:[0,1,1] neg_lo:[0,0,1] neg_hi:[0,0,1]
	v_pk_fma_f32 v[134:135], v[154:155], v[0:1], v[134:135]
	ds_read2_b32 v[8:9], v147 offset0:64 offset1:96
	ds_read_b128 v[4:7], v145 offset:2048
	ds_read_b128 v[0:3], v145 offset:2064
	v_mov_b32_e32 v154, 0
	v_mov_b32_e32 v10, 0
	;; [unrolled: 1-line block ×3, first 2 shown]
	s_waitcnt lgkmcnt(1)
	v_dot4c_i32_i8_e32 v154, v193, v4
	v_dot4c_i32_i8_e32 v206, v197, v4
	;; [unrolled: 1-line block ×13, first 2 shown]
	v_mov_b32_e32 v155, 0
	v_dot4c_i32_i8_e32 v206, v197, v7
	v_mov_b32_e32 v207, 0
	v_mov_b32_e32 v208, 0
	v_dot4c_i32_i8_e32 v209, v201, v7
	v_mov_b32_e32 v210, 0
	v_mov_b32_e32 v13, 0
	v_dot4c_i32_i8_e32 v12, v205, v7
	v_dot4c_i32_i8_e32 v10, v171, v4
	s_waitcnt lgkmcnt(0)
	v_dot4c_i32_i8_e32 v11, v164, v0
	v_dot4c_i32_i8_e32 v154, v194, v0
	;; [unrolled: 1-line block ×47, first 2 shown]
	ds_read_b128 v[4:7], v145 offset:3072
	ds_read_b128 v[0:3], v145 offset:3088
	v_mov_b32_e32 v212, 0
	v_mov_b32_e32 v14, 0
	;; [unrolled: 1-line block ×3, first 2 shown]
	s_waitcnt lgkmcnt(1)
	v_dot4c_i32_i8_e32 v212, v193, v4
	v_dot4c_i32_i8_e32 v212, v193, v5
	;; [unrolled: 1-line block ×3, first 2 shown]
	s_waitcnt lgkmcnt(0)
	v_dot4c_i32_i8_e32 v14, v164, v0
	v_dot4c_i32_i8_e32 v15, v171, v4
	;; [unrolled: 1-line block ×12, first 2 shown]
	v_mul_lo_u32 v10, v10, v196
	v_mul_lo_u32 v14, v14, v195
	v_dot4c_i32_i8_e32 v212, v194, v3
	v_mad_u64_u32 v[14:15], s[16:17], v15, v196, v[14:15]
	v_mad_u64_u32 v[10:11], s[16:17], v11, v195, v[10:11]
	v_cvt_f32_i32_e32 v11, v10
	v_cvt_f32_i32_e32 v10, v14
	;; [unrolled: 1-line block ×4, first 2 shown]
	v_mov_b32_e32 v154, 0
	v_dot4c_i32_i8_e32 v154, v197, v4
	v_dot4c_i32_i8_e32 v154, v197, v5
	v_pk_mul_f32 v[14:15], v[142:143], v[14:15] op_sel_hi:[0,1]
	v_pk_fma_f32 v[14:15], v[140:141], v[10:11], v[14:15] op_sel_hi:[0,1,1] neg_lo:[0,0,1] neg_hi:[0,0,1]
	v_mov_b32_e32 v10, v9
	v_mov_b32_e32 v11, v8
	v_pk_fma_f32 v[110:111], v[10:11], v[14:15], v[110:111]
	v_mov_b32_e32 v14, 0
	v_mov_b32_e32 v9, 0
	v_dot4c_i32_i8_e32 v154, v197, v6
	v_dot4c_i32_i8_e32 v14, v180, v0
	;; [unrolled: 1-line block ×13, first 2 shown]
	v_mul_lo_u32 v8, v155, v200
	v_mul_lo_u32 v14, v14, v199
	v_dot4c_i32_i8_e32 v154, v198, v3
	v_mad_u64_u32 v[14:15], s[16:17], v9, v200, v[14:15]
	v_mad_u64_u32 v[8:9], s[16:17], v207, v199, v[8:9]
	v_cvt_f32_i32_e32 v9, v8
	v_cvt_f32_i32_e32 v8, v14
	;; [unrolled: 1-line block ×4, first 2 shown]
	v_mov_b32_e32 v154, 0
	v_dot4c_i32_i8_e32 v154, v201, v4
	v_dot4c_i32_i8_e32 v154, v201, v5
	v_pk_mul_f32 v[14:15], v[150:151], v[14:15] op_sel_hi:[0,1]
	v_pk_fma_f32 v[8:9], v[148:149], v[8:9], v[14:15] op_sel_hi:[0,1,1] neg_lo:[0,0,1] neg_hi:[0,0,1]
	v_mov_b32_e32 v14, 0
	v_pk_fma_f32 v[118:119], v[10:11], v[8:9], v[118:119]
	v_mov_b32_e32 v9, 0
	v_dot4c_i32_i8_e32 v154, v201, v6
	v_dot4c_i32_i8_e32 v14, v172, v0
	;; [unrolled: 1-line block ×13, first 2 shown]
	v_mul_lo_u32 v8, v208, v204
	v_mul_lo_u32 v14, v14, v203
	v_dot4c_i32_i8_e32 v154, v202, v3
	v_mad_u64_u32 v[14:15], s[16:17], v9, v204, v[14:15]
	v_mad_u64_u32 v[8:9], s[16:17], v210, v203, v[8:9]
	v_cvt_f32_i32_e32 v9, v8
	v_cvt_f32_i32_e32 v8, v14
	;; [unrolled: 1-line block ×4, first 2 shown]
	v_mov_b32_e32 v209, 0
	v_mov_b32_e32 v206, 0
	;; [unrolled: 1-line block ×3, first 2 shown]
	v_pk_mul_f32 v[14:15], v[146:147], v[14:15] op_sel_hi:[0,1]
	v_pk_fma_f32 v[8:9], v[144:145], v[8:9], v[14:15] op_sel_hi:[0,1,1] neg_lo:[0,0,1] neg_hi:[0,0,1]
	v_pk_fma_f32 v[126:127], v[10:11], v[8:9], v[126:127]
	v_mov_b32_e32 v9, 0
	v_mov_b32_e32 v8, 0
	v_dot4c_i32_i8_e32 v9, v205, v4
	v_dot4c_i32_i8_e32 v8, v186, v4
	;; [unrolled: 1-line block ×3, first 2 shown]
	v_mov_b32_e32 v4, 0
	v_dot4c_i32_i8_e32 v9, v205, v6
	v_dot4c_i32_i8_e32 v4, v160, v0
	;; [unrolled: 1-line block ×12, first 2 shown]
	v_mul_lo_u32 v0, v13, v192
	v_mul_lo_u32 v2, v4, v153
	v_dot4c_i32_i8_e32 v9, v152, v3
	v_mad_u64_u32 v[2:3], s[16:17], v8, v192, v[2:3]
	v_mad_u64_u32 v[0:1], s[16:17], v211, v153, v[0:1]
	v_cvt_f32_i32_e32 v1, v0
	v_cvt_f32_i32_e32 v0, v2
	;; [unrolled: 1-line block ×4, first 2 shown]
	v_mov_b32_e32 v15, 0
	v_mov_b32_e32 v12, 0
	;; [unrolled: 1-line block ×3, first 2 shown]
	v_pk_mul_f32 v[2:3], v[138:139], v[2:3] op_sel_hi:[0,1]
	v_pk_fma_f32 v[0:1], v[136:137], v[0:1], v[2:3] op_sel_hi:[0,1,1] neg_lo:[0,0,1] neg_hi:[0,0,1]
	v_pk_fma_f32 v[132:133], v[10:11], v[0:1], v[132:133]
	ds_read2_b32 v[10:11], v147 offset0:128 offset1:160
	ds_read_b128 v[4:7], v145 offset:4096
	ds_read_b128 v[0:3], v145 offset:4112
	v_mov_b32_e32 v9, 0
	v_mov_b32_e32 v208, 0
	;; [unrolled: 1-line block ×3, first 2 shown]
	s_waitcnt lgkmcnt(1)
	v_dot4c_i32_i8_e32 v209, v193, v4
	v_dot4c_i32_i8_e32 v206, v197, v4
	;; [unrolled: 1-line block ×15, first 2 shown]
	v_mov_b32_e32 v155, 0
	v_mov_b32_e32 v13, 0
	v_dot4c_i32_i8_e32 v12, v205, v7
	v_mov_b32_e32 v14, 0
	v_dot4c_i32_i8_e32 v8, v171, v4
	s_waitcnt lgkmcnt(0)
	v_dot4c_i32_i8_e32 v9, v164, v0
	v_dot4c_i32_i8_e32 v209, v194, v0
	;; [unrolled: 1-line block ×47, first 2 shown]
	ds_read_b128 v[4:7], v145 offset:5120
	ds_read_b128 v[0:3], v145 offset:5136
	v_mov_b32_e32 v212, 0
	v_mov_b32_e32 v210, 0
	;; [unrolled: 1-line block ×3, first 2 shown]
	s_waitcnt lgkmcnt(1)
	v_dot4c_i32_i8_e32 v212, v193, v4
	v_dot4c_i32_i8_e32 v212, v193, v5
	;; [unrolled: 1-line block ×3, first 2 shown]
	s_waitcnt lgkmcnt(0)
	v_dot4c_i32_i8_e32 v210, v164, v0
	v_dot4c_i32_i8_e32 v211, v171, v4
	;; [unrolled: 1-line block ×12, first 2 shown]
	v_mul_lo_u32 v8, v8, v196
	v_mul_lo_u32 v210, v210, v195
	v_dot4c_i32_i8_e32 v212, v194, v3
	v_mad_u64_u32 v[210:211], s[16:17], v211, v196, v[210:211]
	v_mad_u64_u32 v[8:9], s[16:17], v9, v195, v[8:9]
	v_cvt_f32_i32_e32 v9, v8
	v_cvt_f32_i32_e32 v8, v210
	;; [unrolled: 1-line block ×4, first 2 shown]
	v_mov_b32_e32 v209, 0
	v_dot4c_i32_i8_e32 v209, v197, v4
	v_dot4c_i32_i8_e32 v209, v197, v5
	v_pk_mul_f32 v[210:211], v[142:143], v[210:211] op_sel_hi:[0,1]
	v_pk_fma_f32 v[210:211], v[140:141], v[8:9], v[210:211] op_sel_hi:[0,1,1] neg_lo:[0,0,1] neg_hi:[0,0,1]
	v_mov_b32_e32 v8, v11
	v_mov_b32_e32 v9, v10
	v_pk_fma_f32 v[106:107], v[8:9], v[210:211], v[106:107]
	v_dot4c_i32_i8_e32 v209, v197, v6
	v_mov_b32_e32 v210, 0
	v_mov_b32_e32 v11, 0
	v_dot4c_i32_i8_e32 v209, v197, v7
	v_dot4c_i32_i8_e32 v210, v180, v0
	;; [unrolled: 1-line block ×13, first 2 shown]
	v_mul_lo_u32 v10, v207, v200
	v_mul_lo_u32 v210, v210, v199
	v_mad_u64_u32 v[210:211], s[16:17], v11, v200, v[210:211]
	v_mad_u64_u32 v[10:11], s[16:17], v208, v199, v[10:11]
	v_cvt_f32_i32_e32 v207, v206
	v_cvt_f32_i32_e32 v206, v209
	;; [unrolled: 1-line block ×4, first 2 shown]
	v_mov_b32_e32 v208, 0
	v_dot4c_i32_i8_e32 v208, v201, v4
	v_pk_mul_f32 v[206:207], v[150:151], v[206:207] op_sel_hi:[0,1]
	v_dot4c_i32_i8_e32 v208, v201, v5
	v_pk_fma_f32 v[10:11], v[148:149], v[10:11], v[206:207] op_sel_hi:[0,1,1] neg_lo:[0,0,1] neg_hi:[0,0,1]
	v_dot4c_i32_i8_e32 v208, v201, v6
	v_mov_b32_e32 v206, 0
	v_pk_fma_f32 v[112:113], v[8:9], v[10:11], v[112:113]
	v_mov_b32_e32 v11, 0
	v_dot4c_i32_i8_e32 v208, v201, v7
	v_dot4c_i32_i8_e32 v206, v172, v0
	;; [unrolled: 1-line block ×13, first 2 shown]
	v_mul_lo_u32 v10, v154, v204
	v_mul_lo_u32 v154, v206, v203
	v_mad_u64_u32 v[206:207], s[16:17], v11, v204, v[154:155]
	v_mad_u64_u32 v[10:11], s[16:17], v155, v203, v[10:11]
	v_cvt_f32_i32_e32 v155, v15
	v_cvt_f32_i32_e32 v154, v208
	;; [unrolled: 1-line block ×4, first 2 shown]
	v_mov_b32_e32 v208, 0
	v_pk_mul_f32 v[154:155], v[146:147], v[154:155] op_sel_hi:[0,1]
	v_mov_b32_e32 v207, 0
	v_pk_fma_f32 v[10:11], v[144:145], v[10:11], v[154:155] op_sel_hi:[0,1,1] neg_lo:[0,0,1] neg_hi:[0,0,1]
	v_pk_fma_f32 v[120:121], v[8:9], v[10:11], v[120:121]
	v_mov_b32_e32 v11, 0
	v_mov_b32_e32 v10, 0
	v_dot4c_i32_i8_e32 v11, v205, v4
	v_dot4c_i32_i8_e32 v10, v186, v4
	;; [unrolled: 1-line block ×3, first 2 shown]
	v_mov_b32_e32 v4, 0
	v_dot4c_i32_i8_e32 v11, v205, v6
	v_dot4c_i32_i8_e32 v4, v160, v0
	;; [unrolled: 1-line block ×12, first 2 shown]
	v_mul_lo_u32 v0, v13, v192
	v_mul_lo_u32 v2, v4, v153
	v_dot4c_i32_i8_e32 v11, v152, v3
	v_mad_u64_u32 v[2:3], s[16:17], v10, v192, v[2:3]
	v_mad_u64_u32 v[0:1], s[16:17], v14, v153, v[0:1]
	v_cvt_f32_i32_e32 v1, v0
	v_cvt_f32_i32_e32 v0, v2
	;; [unrolled: 1-line block ×4, first 2 shown]
	v_mov_b32_e32 v154, 0
	v_mov_b32_e32 v13, 0
	v_mov_b32_e32 v206, 0
	v_pk_mul_f32 v[2:3], v[138:139], v[2:3] op_sel_hi:[0,1]
	v_pk_fma_f32 v[0:1], v[136:137], v[0:1], v[2:3] op_sel_hi:[0,1,1] neg_lo:[0,0,1] neg_hi:[0,0,1]
	v_pk_fma_f32 v[128:129], v[8:9], v[0:1], v[128:129]
	ds_read2_b32 v[10:11], v147 offset0:192 offset1:224
	ds_read_b128 v[4:7], v145 offset:6144
	ds_read_b128 v[0:3], v145 offset:6160
	v_mov_b32_e32 v8, 0
	v_mov_b32_e32 v9, 0
	;; [unrolled: 1-line block ×3, first 2 shown]
	s_waitcnt lgkmcnt(1)
	v_dot4c_i32_i8_e32 v208, v193, v4
	v_dot4c_i32_i8_e32 v207, v197, v4
	;; [unrolled: 1-line block ×14, first 2 shown]
	v_mov_b32_e32 v15, 0
	v_dot4c_i32_i8_e32 v154, v201, v7
	v_mov_b32_e32 v155, 0
	v_mov_b32_e32 v12, 0
	v_dot4c_i32_i8_e32 v13, v205, v7
	v_mov_b32_e32 v14, 0
	v_dot4c_i32_i8_e32 v8, v171, v4
	s_waitcnt lgkmcnt(0)
	v_dot4c_i32_i8_e32 v9, v164, v0
	v_dot4c_i32_i8_e32 v208, v194, v0
	;; [unrolled: 1-line block ×47, first 2 shown]
	ds_read_b128 v[4:7], v145 offset:7168
	ds_read_b128 v[0:3], v145 offset:7184
	v_mov_b32_e32 v210, 0
	v_mul_lo_u32 v8, v8, v196
	v_mad_u64_u32 v[8:9], s[16:17], v9, v195, v[8:9]
	s_waitcnt lgkmcnt(1)
	v_dot4c_i32_i8_e32 v210, v171, v4
	v_mov_b32_e32 v171, 0
	v_dot4c_i32_i8_e32 v171, v193, v4
	v_dot4c_i32_i8_e32 v210, v168, v5
	;; [unrolled: 1-line block ×3, first 2 shown]
	v_mov_b32_e32 v168, 0
	v_dot4c_i32_i8_e32 v171, v193, v6
	s_waitcnt lgkmcnt(0)
	v_dot4c_i32_i8_e32 v168, v164, v0
	v_dot4c_i32_i8_e32 v171, v193, v7
	;; [unrolled: 1-line block ×11, first 2 shown]
	v_mul_lo_u32 v164, v168, v195
	v_mad_u64_u32 v[164:165], s[16:17], v210, v196, v[164:165]
	v_cvt_f32_i32_e32 v9, v8
	v_cvt_f32_i32_e32 v8, v164
	v_cvt_f32_i32_e32 v165, v208
	v_cvt_f32_i32_e32 v164, v171
	v_pk_mul_f32 v[164:165], v[142:143], v[164:165] op_sel_hi:[0,1]
	v_mov_b32_e32 v142, 0
	v_dot4c_i32_i8_e32 v142, v197, v4
	v_pk_fma_f32 v[164:165], v[140:141], v[8:9], v[164:165] op_sel_hi:[0,1,1] neg_lo:[0,0,1] neg_hi:[0,0,1]
	v_dot4c_i32_i8_e32 v142, v197, v5
	v_mov_b32_e32 v140, 0
	v_mov_b32_e32 v8, v11
	;; [unrolled: 1-line block ×3, first 2 shown]
	v_dot4c_i32_i8_e32 v142, v197, v6
	v_dot4c_i32_i8_e32 v140, v180, v0
	;; [unrolled: 1-line block ×11, first 2 shown]
	v_mov_b32_e32 v9, v10
	v_dot4c_i32_i8_e32 v11, v190, v7
	v_dot4c_i32_i8_e32 v142, v198, v2
	v_mul_lo_u32 v10, v206, v200
	v_mul_lo_u32 v140, v140, v199
	v_pk_fma_f32 v[104:105], v[8:9], v[164:165], v[104:105]
	v_dot4c_i32_i8_e32 v142, v198, v3
	v_mad_u64_u32 v[164:165], s[16:17], v11, v200, v[140:141]
	v_mad_u64_u32 v[10:11], s[16:17], v209, v199, v[10:11]
	v_cvt_f32_i32_e32 v11, v10
	v_cvt_f32_i32_e32 v10, v164
	;; [unrolled: 1-line block ×4, first 2 shown]
	v_mov_b32_e32 v142, 0
	v_dot4c_i32_i8_e32 v142, v201, v4
	v_dot4c_i32_i8_e32 v142, v201, v5
	v_pk_mul_f32 v[164:165], v[150:151], v[164:165] op_sel_hi:[0,1]
	v_pk_fma_f32 v[10:11], v[148:149], v[10:11], v[164:165] op_sel_hi:[0,1,1] neg_lo:[0,0,1] neg_hi:[0,0,1]
	v_dot4c_i32_i8_e32 v142, v201, v6
	v_mov_b32_e32 v140, 0
	v_pk_fma_f32 v[108:109], v[8:9], v[10:11], v[108:109]
	v_mov_b32_e32 v11, 0
	v_dot4c_i32_i8_e32 v142, v201, v7
	v_dot4c_i32_i8_e32 v140, v172, v0
	;; [unrolled: 1-line block ×13, first 2 shown]
	v_mul_lo_u32 v10, v15, v204
	v_mul_lo_u32 v140, v140, v203
	v_mad_u64_u32 v[164:165], s[16:17], v11, v204, v[140:141]
	v_mad_u64_u32 v[10:11], s[16:17], v155, v203, v[10:11]
	v_cvt_f32_i32_e32 v155, v154
	v_cvt_f32_i32_e32 v154, v142
	;; [unrolled: 1-line block ×4, first 2 shown]
	v_pk_mul_f32 v[154:155], v[146:147], v[154:155] op_sel_hi:[0,1]
	v_add_u32_e32 v147, 4, v147
	v_pk_fma_f32 v[10:11], v[144:145], v[10:11], v[154:155] op_sel_hi:[0,1,1] neg_lo:[0,0,1] neg_hi:[0,0,1]
	v_pk_fma_f32 v[114:115], v[8:9], v[10:11], v[114:115]
	v_mov_b32_e32 v10, 0
	v_mov_b32_e32 v11, 0
	v_dot4c_i32_i8_e32 v10, v205, v4
	v_dot4c_i32_i8_e32 v11, v186, v4
	;; [unrolled: 1-line block ×3, first 2 shown]
	v_mov_b32_e32 v4, 0
	v_dot4c_i32_i8_e32 v10, v205, v6
	v_dot4c_i32_i8_e32 v4, v160, v0
	;; [unrolled: 1-line block ×12, first 2 shown]
	v_mul_lo_u32 v0, v12, v192
	v_mul_lo_u32 v2, v4, v153
	v_dot4c_i32_i8_e32 v10, v152, v3
	v_mad_u64_u32 v[2:3], s[16:17], v11, v192, v[2:3]
	v_mad_u64_u32 v[0:1], s[16:17], v14, v153, v[0:1]
	v_cvt_f32_i32_e32 v1, v0
	v_cvt_f32_i32_e32 v0, v2
	;; [unrolled: 1-line block ×4, first 2 shown]
	s_add_i32 s16, s11, 2
	v_add_u32_e32 v145, 32, v145
	s_cmp_lt_u32 s11, 6
	v_pk_mul_f32 v[2:3], v[138:139], v[2:3] op_sel_hi:[0,1]
	v_pk_fma_f32 v[0:1], v[136:137], v[0:1], v[2:3] op_sel_hi:[0,1,1] neg_lo:[0,0,1] neg_hi:[0,0,1]
	v_pk_fma_f32 v[122:123], v[8:9], v[0:1], v[122:123]
	s_mov_b32 s11, s16
	s_cbranch_scc1 .LBB148_7
; %bb.8:                                ;   in Loop: Header=BB148_6 Depth=1
	v_add_u32_e32 v14, s9, v69
	v_add_u32_e32 v0, v14, v43
	;; [unrolled: 1-line block ×6, first 2 shown]
	v_mad_i64_i32 v[0:1], s[16:17], v0, 36, v[56:57]
	v_mad_i64_i32 v[2:3], s[16:17], v2, 36, v[56:57]
	v_mad_i64_i32 v[4:5], s[16:17], v4, 36, v[56:57]
	v_mad_i64_i32 v[6:7], s[16:17], v6, 36, v[56:57]
	v_add_u32_e32 v8, v14, v55
	v_add_u32_e32 v10, v14, v63
	;; [unrolled: 1-line block ×4, first 2 shown]
	v_mad_u64_u32 v[144:145], s[16:17], v136, 36, s[2:3]
	s_barrier
	v_mad_i64_i32 v[8:9], s[16:17], v8, 36, v[56:57]
	v_mad_i64_i32 v[10:11], s[16:17], v10, 36, v[56:57]
	;; [unrolled: 1-line block ×4, first 2 shown]
	global_load_dword v136, v[144:145], off
	s_nop 0
	global_load_dword v0, v[0:1], off offset:4
	s_nop 0
	global_load_dword v1, v[2:3], off offset:4
	;; [unrolled: 2-line block ×3, first 2 shown]
	global_load_dword v3, v[6:7], off offset:4
	s_nop 0
	global_load_dword v4, v[8:9], off offset:4
	global_load_dword v5, v[10:11], off offset:4
	;; [unrolled: 1-line block ×4, first 2 shown]
	s_mov_b32 s11, 8
	v_mov_b32_e32 v145, v95
	v_mov_b32_e32 v147, v77
	s_waitcnt vmcnt(8)
	v_cvt_f32_f16_e32 v8, v136
	s_waitcnt vmcnt(7)
	ds_write_b32 v93, v0
	s_waitcnt vmcnt(6)
	ds_write_b32 v79, v1
	;; [unrolled: 2-line block ×8, first 2 shown]
	ds_write_b32 v41, v8
	s_waitcnt lgkmcnt(0)
	s_barrier
.LBB148_9:                              ;   Parent Loop BB148_6 Depth=1
                                        ; =>  This Inner Loop Header: Depth=2
	s_and_b32 s18, s11, 0x3ffffff8
	v_lshl_add_u32 v10, s18, 2, v75
	ds_read2_b32 v[152:153], v147 offset1:32
	ds_read_b128 v[4:7], v145
	ds_read_b128 v[0:3], v145 offset:16
	ds_read2_b32 v[8:9], v10 offset1:1
	s_add_i32 s16, s11, -8
	s_lshr_b32 s18, s11, 2
	s_and_b32 s18, s18, 0x3ffffffc
	s_addk_i32 s18, 0x7280
	s_waitcnt lgkmcnt(0)
	v_ashrrev_i32_e32 v8, s16, v8
	v_and_b32_e32 v178, 0x3030303, v8
	v_ashrrev_i32_e32 v8, s16, v9
	v_and_b32_e32 v175, 0x3030303, v8
	ds_read2_b32 v[8:9], v10 offset0:2 offset1:3
	s_and_b32 s17, s11, -16
	s_add_i32 s17, s11, s17
	v_add_u32_e32 v194, s17, v23
	v_add_u32_e32 v192, s17, v29
	s_waitcnt lgkmcnt(0)
	v_ashrrev_i32_e32 v8, s16, v8
	v_and_b32_e32 v176, 0x3030303, v8
	v_ashrrev_i32_e32 v8, s16, v9
	v_and_b32_e32 v177, 0x3030303, v8
	ds_read2_b32 v[8:9], v10 offset0:4 offset1:5
	v_mov_b32_e32 v210, 0
	v_mov_b32_e32 v211, 0
	;; [unrolled: 1-line block ×4, first 2 shown]
	s_waitcnt lgkmcnt(0)
	v_ashrrev_i32_e32 v8, s16, v8
	v_and_b32_e32 v167, 0x3030303, v8
	v_ashrrev_i32_e32 v8, s16, v9
	v_and_b32_e32 v168, 0x3030303, v8
	ds_read2_b32 v[8:9], v10 offset0:6 offset1:7
	v_dot4c_i32_i8_e32 v155, v178, v4
	v_mov_b32_e32 v154, 0
	v_mov_b32_e32 v201, 0
	v_dot4c_i32_i8_e32 v155, v175, v5
	s_waitcnt lgkmcnt(0)
	v_ashrrev_i32_e32 v8, s16, v8
	v_and_b32_e32 v169, 0x3030303, v8
	v_ashrrev_i32_e32 v8, s16, v9
	v_and_b32_e32 v170, 0x3030303, v8
	v_add3_u32 v8, s18, v156, v97
	ds_read_b32 v8, v8
	v_dot4c_i32_i8_e32 v154, v167, v0
	v_dot4c_i32_i8_e32 v155, v176, v6
	;; [unrolled: 1-line block ×4, first 2 shown]
	s_waitcnt lgkmcnt(0)
	v_cvt_f32_f16_e32 v140, v8
	v_cvt_f32_f16_sdwa v142, v8 dst_sel:DWORD dst_unused:UNUSED_PAD src0_sel:WORD_1
	v_add_u32_e32 v8, 0x1080, v10
	ds_read2_b32 v[8:9], v8 offset1:1
	v_dot4c_i32_i8_e32 v154, v169, v2
	v_dot4c_i32_i8_e32 v154, v170, v3
	v_add_u32_e32 v200, s17, v25
	v_add_u32_e32 v196, s17, v27
	s_waitcnt lgkmcnt(0)
	v_ashrrev_i32_e32 v8, s16, v8
	v_and_b32_e32 v182, 0x3030303, v8
	v_ashrrev_i32_e32 v8, s16, v9
	v_and_b32_e32 v179, 0x3030303, v8
	v_add_u32_e32 v8, 0x1088, v10
	ds_read2_b32 v[8:9], v8 offset1:1
	v_mov_b32_e32 v205, 0
	v_dot4c_i32_i8_e32 v205, v182, v4
	v_mov_b32_e32 v204, 0
	v_dot4c_i32_i8_e32 v205, v179, v5
	s_waitcnt lgkmcnt(0)
	v_ashrrev_i32_e32 v8, s16, v8
	v_and_b32_e32 v180, 0x3030303, v8
	v_ashrrev_i32_e32 v8, s16, v9
	v_and_b32_e32 v181, 0x3030303, v8
	v_add_u32_e32 v8, 0x1090, v10
	ds_read2_b32 v[8:9], v8 offset1:1
	v_dot4c_i32_i8_e32 v205, v180, v6
	v_dot4c_i32_i8_e32 v205, v181, v7
	v_mov_b32_e32 v212, 0
	v_mov_b32_e32 v213, 0
	s_waitcnt lgkmcnt(0)
	v_ashrrev_i32_e32 v8, s16, v8
	v_and_b32_e32 v171, 0x3030303, v8
	v_ashrrev_i32_e32 v8, s16, v9
	v_and_b32_e32 v172, 0x3030303, v8
	v_add_u32_e32 v8, 0x1098, v10
	ds_read2_b32 v[8:9], v8 offset1:1
	v_dot4c_i32_i8_e32 v204, v171, v0
	v_dot4c_i32_i8_e32 v204, v172, v1
	v_mov_b32_e32 v198, 0
	v_mov_b32_e32 v193, 0
	s_waitcnt lgkmcnt(0)
	v_ashrrev_i32_e32 v8, s16, v8
	v_and_b32_e32 v173, 0x3030303, v8
	v_ashrrev_i32_e32 v8, s16, v9
	v_and_b32_e32 v174, 0x3030303, v8
	v_add3_u32 v8, s18, v99, v101
	ds_read_b32 v8, v8
	v_dot4c_i32_i8_e32 v204, v173, v2
	v_dot4c_i32_i8_e32 v204, v174, v3
	v_mov_b32_e32 v209, 0
	v_mov_b32_e32 v208, 0
	s_waitcnt lgkmcnt(0)
	v_cvt_f32_f16_e32 v144, v8
	v_cvt_f32_f16_sdwa v146, v8 dst_sel:DWORD dst_unused:UNUSED_PAD src0_sel:WORD_1
	v_add_u32_e32 v8, 0x2100, v10
	ds_read2_b32 v[8:9], v8 offset1:1
	s_waitcnt lgkmcnt(0)
	v_ashrrev_i32_e32 v8, s16, v8
	v_and_b32_e32 v190, 0x3030303, v8
	v_ashrrev_i32_e32 v8, s16, v9
	v_and_b32_e32 v187, 0x3030303, v8
	v_add_u32_e32 v8, 0x2108, v10
	ds_read2_b32 v[8:9], v8 offset1:1
	v_dot4c_i32_i8_e32 v198, v190, v4
	v_dot4c_i32_i8_e32 v198, v187, v5
	s_waitcnt lgkmcnt(0)
	v_ashrrev_i32_e32 v8, s16, v8
	v_and_b32_e32 v188, 0x3030303, v8
	v_ashrrev_i32_e32 v8, s16, v9
	v_and_b32_e32 v189, 0x3030303, v8
	v_add_u32_e32 v8, 0x2110, v10
	ds_read2_b32 v[8:9], v8 offset1:1
	v_dot4c_i32_i8_e32 v198, v188, v6
	v_dot4c_i32_i8_e32 v198, v189, v7
	;; [unrolled: 9-line block ×3, first 2 shown]
	s_waitcnt lgkmcnt(0)
	v_ashrrev_i32_e32 v8, s16, v8
	v_and_b32_e32 v185, 0x3030303, v8
	v_ashrrev_i32_e32 v8, s16, v9
	v_and_b32_e32 v186, 0x3030303, v8
	v_add3_u32 v8, s18, v103, v117
	ds_read_b32 v8, v8
	v_dot4c_i32_i8_e32 v193, v185, v2
	v_dot4c_i32_i8_e32 v193, v186, v3
	s_waitcnt lgkmcnt(0)
	v_cvt_f32_f16_e32 v148, v8
	v_cvt_f32_f16_sdwa v150, v8 dst_sel:DWORD dst_unused:UNUSED_PAD src0_sel:WORD_1
	v_add_u32_e32 v8, 0x3180, v10
	ds_read2_b32 v[8:9], v8 offset1:1
	s_waitcnt lgkmcnt(0)
	v_ashrrev_i32_e32 v8, s16, v8
	v_and_b32_e32 v191, 0x3030303, v8
	v_ashrrev_i32_e32 v8, s16, v9
	v_and_b32_e32 v164, 0x3030303, v8
	v_add_u32_e32 v8, 0x3188, v10
	ds_read2_b32 v[8:9], v8 offset1:1
	v_dot4c_i32_i8_e32 v209, v191, v4
	v_dot4c_i32_i8_e32 v209, v164, v5
	s_waitcnt lgkmcnt(0)
	v_ashrrev_i32_e32 v8, s16, v8
	v_and_b32_e32 v165, 0x3030303, v8
	v_ashrrev_i32_e32 v8, s16, v9
	v_and_b32_e32 v166, 0x3030303, v8
	v_add_u32_e32 v8, 0x3190, v10
	ds_read2_b32 v[8:9], v8 offset1:1
	v_dot4c_i32_i8_e32 v209, v165, v6
	v_dot4c_i32_i8_e32 v209, v166, v7
	;; [unrolled: 9-line block ×3, first 2 shown]
	s_waitcnt lgkmcnt(0)
	v_ashrrev_i32_e32 v8, s16, v8
	v_and_b32_e32 v162, 0x3030303, v8
	v_ashrrev_i32_e32 v8, s16, v9
	v_and_b32_e32 v163, 0x3030303, v8
	v_add3_u32 v8, s18, v137, v139
	ds_read_b32 v8, v8
	v_dot4c_i32_i8_e32 v208, v162, v2
	v_dot4c_i32_i8_e32 v208, v163, v3
	s_waitcnt lgkmcnt(0)
	v_cvt_f32_f16_e32 v136, v8
	v_cvt_f32_f16_sdwa v138, v8 dst_sel:DWORD dst_unused:UNUSED_PAD src0_sel:WORD_1
	ds_read_b128 v[12:15], v145 offset:1024
	ds_read_b128 v[8:11], v145 offset:1040
	ds_read_u16 v194, v194 offset:25088
	ds_read_u16 v192, v192 offset:28160
	s_waitcnt lgkmcnt(3)
	v_dot4c_i32_i8_e32 v201, v178, v12
	s_waitcnt lgkmcnt(2)
	v_dot4c_i32_i8_e32 v203, v167, v8
	s_waitcnt lgkmcnt(1)
	v_bfe_u32 v195, v194, 4, 4
	v_mul_lo_u32 v197, v195, s8
	v_dot4c_i32_i8_e32 v210, v197, v4
	v_dot4c_i32_i8_e32 v211, v197, v12
	;; [unrolled: 1-line block ×5, first 2 shown]
	v_lshrrev_b32_sdwa v195, v157, v194 dst_sel:DWORD dst_unused:UNUSED_PAD src0_sel:DWORD src1_sel:BYTE_1
	v_dot4c_i32_i8_e32 v211, v197, v14
	v_dot4c_i32_i8_e32 v210, v197, v7
	v_mul_lo_u32 v195, v195, s8
	v_dot4c_i32_i8_e32 v211, v197, v15
	v_dot4c_i32_i8_e32 v203, v168, v9
	;; [unrolled: 1-line block ×7, first 2 shown]
	v_and_b32_e32 v199, 15, v194
	v_and_b32_sdwa v194, v194, v158 dst_sel:DWORD dst_unused:UNUSED_PAD src0_sel:BYTE_1 src1_sel:DWORD
	v_dot4c_i32_i8_e32 v211, v195, v9
	v_dot4c_i32_i8_e32 v201, v176, v14
	;; [unrolled: 1-line block ×4, first 2 shown]
	v_and_b32_e32 v194, 0xffff, v194
	v_and_b32_e32 v199, 0xffff, v199
	v_dot4c_i32_i8_e32 v211, v195, v10
	v_dot4c_i32_i8_e32 v201, v177, v15
	;; [unrolled: 1-line block ×4, first 2 shown]
	v_mul_lo_u32 v202, v155, v199
	v_mul_lo_u32 v206, v203, v194
	v_mad_u64_u32 v[206:207], s[16:17], v201, v199, v[206:207]
	v_mad_u64_u32 v[154:155], s[16:17], v154, v194, v[202:203]
	v_cvt_f32_i32_e32 v203, v210
	v_cvt_f32_i32_e32 v202, v211
	;; [unrolled: 1-line block ×4, first 2 shown]
	v_mov_b32_e32 v210, 0
	v_pk_mul_f32 v[202:203], v[142:143], v[202:203] op_sel_hi:[0,1]
	v_mov_b32_e32 v211, 0
	v_pk_fma_f32 v[202:203], v[140:141], v[154:155], v[202:203] op_sel_hi:[0,1,1] neg_lo:[0,0,1] neg_hi:[0,0,1]
	v_mov_b32_e32 v155, v152
	ds_read_u16 v152, v200 offset:26112
	v_mov_b32_e32 v154, v153
	v_pk_fma_f32 v[58:59], v[154:155], v[202:203], v[58:59]
	v_mov_b32_e32 v206, 0
	v_mov_b32_e32 v153, 0
	s_waitcnt lgkmcnt(0)
	v_bfe_u32 v200, v152, 4, 4
	v_mul_lo_u32 v202, v200, s8
	v_dot4c_i32_i8_e32 v210, v202, v4
	v_dot4c_i32_i8_e32 v211, v202, v12
	;; [unrolled: 1-line block ×6, first 2 shown]
	v_lshrrev_b32_sdwa v200, v157, v152 dst_sel:DWORD dst_unused:UNUSED_PAD src0_sel:DWORD src1_sel:BYTE_1
	v_dot4c_i32_i8_e32 v211, v202, v14
	v_dot4c_i32_i8_e32 v153, v182, v12
	;; [unrolled: 1-line block ×4, first 2 shown]
	v_mul_lo_u32 v201, v200, s8
	v_dot4c_i32_i8_e32 v211, v202, v15
	v_dot4c_i32_i8_e32 v153, v179, v13
	;; [unrolled: 1-line block ×4, first 2 shown]
	v_and_b32_e32 v203, 15, v152
	v_and_b32_sdwa v152, v152, v158 dst_sel:DWORD dst_unused:UNUSED_PAD src0_sel:BYTE_1 src1_sel:DWORD
	v_dot4c_i32_i8_e32 v211, v201, v8
	v_dot4c_i32_i8_e32 v153, v180, v14
	;; [unrolled: 1-line block ×4, first 2 shown]
	v_and_b32_e32 v200, 0xffff, v152
	v_dot4c_i32_i8_e32 v211, v201, v9
	v_dot4c_i32_i8_e32 v153, v181, v15
	;; [unrolled: 1-line block ×3, first 2 shown]
	v_and_b32_e32 v203, 0xffff, v203
	v_dot4c_i32_i8_e32 v211, v201, v10
	v_mul_lo_u32 v206, v206, v200
	v_dot4c_i32_i8_e32 v210, v201, v3
	v_dot4c_i32_i8_e32 v211, v201, v11
	v_mul_lo_u32 v152, v205, v203
	v_mad_u64_u32 v[206:207], s[16:17], v153, v203, v[206:207]
                                        ; kill: def $vgpr153 killed $sgpr0 killed $exec
	v_cvt_f32_i32_e32 v205, v210
	v_mad_u64_u32 v[152:153], s[16:17], v204, v200, v[152:153]
	v_cvt_f32_i32_e32 v204, v211
	v_cvt_f32_i32_e32 v153, v152
	;; [unrolled: 1-line block ×3, first 2 shown]
	v_mov_b32_e32 v210, 0
	v_pk_mul_f32 v[204:205], v[146:147], v[204:205] op_sel_hi:[0,1]
	v_dot4c_i32_i8_e32 v210, v183, v8
	v_pk_fma_f32 v[152:153], v[144:145], v[152:153], v[204:205] op_sel_hi:[0,1,1] neg_lo:[0,0,1] neg_hi:[0,0,1]
	v_pk_fma_f32 v[124:125], v[154:155], v[152:153], v[124:125]
	ds_read_u16 v152, v196 offset:27136
	v_mov_b32_e32 v153, 0
	v_dot4c_i32_i8_e32 v153, v190, v12
	v_dot4c_i32_i8_e32 v210, v184, v9
	;; [unrolled: 1-line block ×3, first 2 shown]
	s_waitcnt lgkmcnt(0)
	v_bfe_u32 v196, v152, 4, 4
	v_mul_lo_u32 v206, v196, s8
	v_dot4c_i32_i8_e32 v212, v206, v4
	v_dot4c_i32_i8_e32 v213, v206, v12
	;; [unrolled: 1-line block ×5, first 2 shown]
	v_lshrrev_b32_sdwa v196, v157, v152 dst_sel:DWORD dst_unused:UNUSED_PAD src0_sel:DWORD src1_sel:BYTE_1
	v_dot4c_i32_i8_e32 v213, v206, v14
	v_dot4c_i32_i8_e32 v210, v185, v10
	;; [unrolled: 1-line block ×3, first 2 shown]
	v_mul_lo_u32 v205, v196, s8
	v_and_b32_e32 v196, 15, v152
	v_and_b32_sdwa v152, v152, v158 dst_sel:DWORD dst_unused:UNUSED_PAD src0_sel:BYTE_1 src1_sel:DWORD
	v_dot4c_i32_i8_e32 v213, v206, v15
	v_dot4c_i32_i8_e32 v153, v188, v14
	;; [unrolled: 1-line block ×4, first 2 shown]
	v_and_b32_e32 v204, 0xffff, v152
	v_dot4c_i32_i8_e32 v213, v205, v8
	v_dot4c_i32_i8_e32 v153, v189, v15
	;; [unrolled: 1-line block ×3, first 2 shown]
	v_and_b32_e32 v207, 0xffff, v196
	v_dot4c_i32_i8_e32 v213, v205, v9
	v_mul_lo_u32 v196, v210, v204
	v_dot4c_i32_i8_e32 v212, v205, v2
	v_dot4c_i32_i8_e32 v213, v205, v10
	v_mul_lo_u32 v152, v198, v207
	v_mad_u64_u32 v[210:211], s[16:17], v153, v207, v[196:197]
                                        ; kill: def $vgpr153 killed $sgpr0 killed $exec
	v_dot4c_i32_i8_e32 v212, v205, v3
	v_dot4c_i32_i8_e32 v213, v205, v11
	v_mad_u64_u32 v[152:153], s[16:17], v193, v204, v[152:153]
	v_cvt_f32_i32_e32 v153, v152
	v_cvt_f32_i32_e32 v152, v210
	;; [unrolled: 1-line block ×4, first 2 shown]
	v_bfe_u32 v193, v192, 4, 4
	v_mul_lo_u32 v196, v193, s8
	v_pk_mul_f32 v[210:211], v[150:151], v[210:211] op_sel_hi:[0,1]
	v_pk_fma_f32 v[152:153], v[148:149], v[152:153], v[210:211] op_sel_hi:[0,1,1] neg_lo:[0,0,1] neg_hi:[0,0,1]
	v_mov_b32_e32 v210, 0
	v_dot4c_i32_i8_e32 v210, v196, v4
	v_lshrrev_b32_sdwa v4, v157, v192 dst_sel:DWORD dst_unused:UNUSED_PAD src0_sel:DWORD src1_sel:BYTE_1
	v_mul_lo_u32 v193, v4, s8
	v_mov_b32_e32 v4, 0
	v_dot4c_i32_i8_e32 v210, v196, v5
	v_dot4c_i32_i8_e32 v4, v196, v12
	v_pk_fma_f32 v[130:131], v[154:155], v[152:153], v[130:131]
	v_mov_b32_e32 v153, 0
	v_dot4c_i32_i8_e32 v210, v196, v6
	v_dot4c_i32_i8_e32 v4, v196, v13
	v_mov_b32_e32 v152, 0
	v_dot4c_i32_i8_e32 v153, v160, v8
	v_dot4c_i32_i8_e32 v210, v196, v7
	;; [unrolled: 1-line block ×10, first 2 shown]
	v_and_b32_e32 v0, 15, v192
	v_and_b32_sdwa v1, v192, v158 dst_sel:DWORD dst_unused:UNUSED_PAD src0_sel:BYTE_1 src1_sel:DWORD
	v_dot4c_i32_i8_e32 v4, v193, v8
	v_dot4c_i32_i8_e32 v152, v165, v14
	;; [unrolled: 1-line block ×3, first 2 shown]
	v_and_b32_e32 v192, 0xffff, v1
	v_and_b32_e32 v198, 0xffff, v0
	v_dot4c_i32_i8_e32 v4, v193, v9
	v_dot4c_i32_i8_e32 v152, v166, v15
	;; [unrolled: 1-line block ×4, first 2 shown]
	v_mul_lo_u32 v0, v209, v198
	v_mul_lo_u32 v2, v153, v192
                                        ; kill: def $vgpr1 killed $sgpr0 killed $exec
	v_dot4c_i32_i8_e32 v210, v193, v3
	v_dot4c_i32_i8_e32 v4, v193, v11
	v_mad_u64_u32 v[2:3], s[16:17], v152, v198, v[2:3]
	v_mad_u64_u32 v[0:1], s[16:17], v208, v192, v[0:1]
	v_cvt_f32_i32_e32 v1, v0
	v_cvt_f32_i32_e32 v0, v2
	v_cvt_f32_i32_e32 v3, v210
	v_cvt_f32_i32_e32 v2, v4
	v_mov_b32_e32 v8, 0
	v_mov_b32_e32 v9, 0
	;; [unrolled: 1-line block ×3, first 2 shown]
	v_pk_mul_f32 v[2:3], v[138:139], v[2:3] op_sel_hi:[0,1]
	v_pk_fma_f32 v[0:1], v[136:137], v[0:1], v[2:3] op_sel_hi:[0,1,1] neg_lo:[0,0,1] neg_hi:[0,0,1]
	v_pk_fma_f32 v[134:135], v[154:155], v[0:1], v[134:135]
	ds_read2_b32 v[10:11], v147 offset0:64 offset1:96
	ds_read_b128 v[4:7], v145 offset:2048
	ds_read_b128 v[0:3], v145 offset:2064
	v_mov_b32_e32 v209, 0
	v_mov_b32_e32 v210, 0
	s_waitcnt lgkmcnt(1)
	v_dot4c_i32_i8_e32 v8, v178, v4
	v_dot4c_i32_i8_e32 v8, v175, v5
	s_waitcnt lgkmcnt(0)
	v_dot4c_i32_i8_e32 v9, v167, v0
	v_dot4c_i32_i8_e32 v8, v176, v6
	;; [unrolled: 1-line block ×7, first 2 shown]
	v_mul_lo_u32 v8, v8, v199
	v_dot4c_i32_i8_e32 v209, v202, v4
	v_mad_u64_u32 v[152:153], s[16:17], v9, v194, v[8:9]
	v_mov_b32_e32 v8, 0
	v_dot4c_i32_i8_e32 v8, v182, v4
	v_mov_b32_e32 v9, 0
	v_dot4c_i32_i8_e32 v8, v179, v5
	v_dot4c_i32_i8_e32 v9, v171, v0
	;; [unrolled: 1-line block ×8, first 2 shown]
	v_mul_lo_u32 v8, v8, v203
	v_dot4c_i32_i8_e32 v209, v202, v5
	v_mad_u64_u32 v[14:15], s[16:17], v9, v200, v[8:9]
	v_mov_b32_e32 v8, 0
	v_dot4c_i32_i8_e32 v8, v190, v4
	v_mov_b32_e32 v9, 0
	v_dot4c_i32_i8_e32 v8, v187, v5
	v_dot4c_i32_i8_e32 v9, v183, v0
	;; [unrolled: 1-line block ×7, first 2 shown]
	v_mov_b32_e32 v15, 0
	v_mul_lo_u32 v8, v8, v207
	v_dot4c_i32_i8_e32 v15, v206, v4
	v_mad_u64_u32 v[12:13], s[16:17], v9, v204, v[8:9]
	v_mov_b32_e32 v13, 0
	v_mov_b32_e32 v8, 0
	v_dot4c_i32_i8_e32 v13, v196, v4
	v_dot4c_i32_i8_e32 v15, v206, v5
	;; [unrolled: 1-line block ×9, first 2 shown]
	v_mov_b32_e32 v5, 0
	v_dot4c_i32_i8_e32 v208, v197, v7
	v_dot4c_i32_i8_e32 v209, v202, v7
	;; [unrolled: 1-line block ×20, first 2 shown]
	v_mul_lo_u32 v4, v8, v198
	v_dot4c_i32_i8_e32 v13, v193, v2
	v_dot4c_i32_i8_e32 v5, v163, v3
	;; [unrolled: 1-line block ×6, first 2 shown]
	v_mad_u64_u32 v[8:9], s[16:17], v5, v192, v[4:5]
	ds_read_b128 v[4:7], v145 offset:3072
	ds_read_b128 v[0:3], v145 offset:3088
	v_mov_b32_e32 v9, 0
	v_cvt_f32_i32_e32 v153, v152
	v_cvt_f32_i32_e32 v15, v15
	s_waitcnt lgkmcnt(1)
	v_dot4c_i32_i8_e32 v9, v178, v4
	v_dot4c_i32_i8_e32 v9, v175, v5
	v_dot4c_i32_i8_e32 v210, v197, v4
	v_dot4c_i32_i8_e32 v9, v176, v6
	v_dot4c_i32_i8_e32 v210, v197, v5
	v_dot4c_i32_i8_e32 v9, v177, v7
	v_dot4c_i32_i8_e32 v210, v197, v6
	v_dot4c_i32_i8_e32 v210, v197, v7
	s_waitcnt lgkmcnt(0)
	v_dot4c_i32_i8_e32 v210, v195, v0
	v_mul_lo_u32 v154, v9, v199
	v_mov_b32_e32 v9, 0
	v_dot4c_i32_i8_e32 v9, v167, v0
	v_dot4c_i32_i8_e32 v9, v168, v1
	;; [unrolled: 1-line block ×7, first 2 shown]
	s_nop 1
	v_mad_u64_u32 v[154:155], s[16:17], v9, v194, v[154:155]
	v_cvt_f32_i32_e32 v152, v154
	v_cvt_f32_i32_e32 v155, v208
	;; [unrolled: 1-line block ×3, first 2 shown]
	v_mov_b32_e32 v9, 0
	v_dot4c_i32_i8_e32 v9, v182, v4
	v_dot4c_i32_i8_e32 v9, v179, v5
	v_pk_mul_f32 v[154:155], v[142:143], v[154:155] op_sel_hi:[0,1]
	v_pk_fma_f32 v[154:155], v[140:141], v[152:153], v[154:155] op_sel_hi:[0,1,1] neg_lo:[0,0,1] neg_hi:[0,0,1]
	v_mov_b32_e32 v152, v11
	v_mov_b32_e32 v153, v10
	v_pk_fma_f32 v[110:111], v[152:153], v[154:155], v[110:111]
	v_mov_b32_e32 v154, 0
	v_dot4c_i32_i8_e32 v154, v202, v4
	v_dot4c_i32_i8_e32 v154, v202, v5
	;; [unrolled: 1-line block ×8, first 2 shown]
	v_mul_lo_u32 v10, v9, v203
	v_mov_b32_e32 v9, 0
	v_dot4c_i32_i8_e32 v9, v171, v0
	v_dot4c_i32_i8_e32 v9, v172, v1
	;; [unrolled: 1-line block ×6, first 2 shown]
                                        ; kill: def $vgpr11 killed $sgpr0 killed $exec
	v_cvt_f32_i32_e32 v155, v209
	v_mov_b32_e32 v208, 0
	v_mad_u64_u32 v[10:11], s[16:17], v9, v200, v[10:11]
	v_cvt_f32_i32_e32 v154, v154
	v_cvt_f32_i32_e32 v11, v14
	;; [unrolled: 1-line block ×3, first 2 shown]
	v_mov_b32_e32 v9, 0
	v_dot4c_i32_i8_e32 v9, v190, v4
	v_mov_b32_e32 v14, 0
	v_dot4c_i32_i8_e32 v14, v206, v4
	v_dot4c_i32_i8_e32 v9, v187, v5
	v_pk_mul_f32 v[154:155], v[146:147], v[154:155] op_sel_hi:[0,1]
	v_dot4c_i32_i8_e32 v14, v206, v5
	v_dot4c_i32_i8_e32 v9, v188, v6
	v_pk_fma_f32 v[10:11], v[144:145], v[10:11], v[154:155] op_sel_hi:[0,1,1] neg_lo:[0,0,1] neg_hi:[0,0,1]
	v_dot4c_i32_i8_e32 v14, v206, v6
	v_dot4c_i32_i8_e32 v9, v189, v7
	v_pk_fma_f32 v[118:119], v[152:153], v[10:11], v[118:119]
	v_dot4c_i32_i8_e32 v14, v206, v7
	v_dot4c_i32_i8_e32 v14, v205, v0
	v_mul_lo_u32 v10, v9, v207
	v_mov_b32_e32 v9, 0
	v_dot4c_i32_i8_e32 v9, v183, v0
	v_dot4c_i32_i8_e32 v9, v184, v1
	;; [unrolled: 1-line block ×7, first 2 shown]
                                        ; kill: def $vgpr11 killed $sgpr0 killed $exec
	v_mov_b32_e32 v209, 0
	v_mov_b32_e32 v210, 0
	v_mad_u64_u32 v[10:11], s[16:17], v9, v204, v[10:11]
	v_cvt_f32_i32_e32 v14, v14
	v_cvt_f32_i32_e32 v11, v12
	;; [unrolled: 1-line block ×3, first 2 shown]
	v_mov_b32_e32 v9, 0
	v_pk_mul_f32 v[14:15], v[150:151], v[14:15] op_sel_hi:[0,1]
	v_dot4c_i32_i8_e32 v9, v191, v4
	v_pk_fma_f32 v[10:11], v[148:149], v[10:11], v[14:15] op_sel_hi:[0,1,1] neg_lo:[0,0,1] neg_hi:[0,0,1]
	v_pk_fma_f32 v[126:127], v[152:153], v[10:11], v[126:127]
	v_mov_b32_e32 v10, 0
	v_dot4c_i32_i8_e32 v10, v196, v4
	v_dot4c_i32_i8_e32 v10, v196, v5
	;; [unrolled: 1-line block ×5, first 2 shown]
	v_mov_b32_e32 v5, 0
	v_dot4c_i32_i8_e32 v5, v160, v0
	v_dot4c_i32_i8_e32 v10, v193, v0
	;; [unrolled: 1-line block ×9, first 2 shown]
	v_mul_lo_u32 v4, v9, v198
	v_dot4c_i32_i8_e32 v10, v193, v3
	v_cvt_f32_i32_e32 v3, v13
	v_mad_u64_u32 v[0:1], s[16:17], v5, v192, v[4:5]
	s_nop 0
	v_cvt_f32_i32_e32 v2, v10
	v_cvt_f32_i32_e32 v1, v8
	;; [unrolled: 1-line block ×3, first 2 shown]
	v_mov_b32_e32 v8, 0
	v_pk_mul_f32 v[2:3], v[138:139], v[2:3] op_sel_hi:[0,1]
	v_mov_b32_e32 v9, 0
	v_pk_fma_f32 v[0:1], v[136:137], v[0:1], v[2:3] op_sel_hi:[0,1,1] neg_lo:[0,0,1] neg_hi:[0,0,1]
	v_pk_fma_f32 v[132:133], v[152:153], v[0:1], v[132:133]
	ds_read2_b32 v[10:11], v147 offset0:128 offset1:160
	ds_read_b128 v[4:7], v145 offset:4096
	ds_read_b128 v[0:3], v145 offset:4112
	s_waitcnt lgkmcnt(1)
	v_dot4c_i32_i8_e32 v8, v178, v4
	v_dot4c_i32_i8_e32 v8, v175, v5
	s_waitcnt lgkmcnt(0)
	v_dot4c_i32_i8_e32 v9, v167, v0
	v_dot4c_i32_i8_e32 v8, v176, v6
	;; [unrolled: 1-line block ×7, first 2 shown]
	v_mul_lo_u32 v8, v8, v199
	v_dot4c_i32_i8_e32 v209, v202, v4
	v_mad_u64_u32 v[152:153], s[16:17], v9, v194, v[8:9]
	v_mov_b32_e32 v8, 0
	v_dot4c_i32_i8_e32 v8, v182, v4
	v_mov_b32_e32 v9, 0
	v_dot4c_i32_i8_e32 v8, v179, v5
	v_dot4c_i32_i8_e32 v9, v171, v0
	;; [unrolled: 1-line block ×8, first 2 shown]
	v_mul_lo_u32 v8, v8, v203
	v_dot4c_i32_i8_e32 v209, v202, v5
	v_mad_u64_u32 v[14:15], s[16:17], v9, v200, v[8:9]
	v_mov_b32_e32 v8, 0
	v_dot4c_i32_i8_e32 v8, v190, v4
	v_mov_b32_e32 v9, 0
	v_dot4c_i32_i8_e32 v8, v187, v5
	v_dot4c_i32_i8_e32 v9, v183, v0
	;; [unrolled: 1-line block ×7, first 2 shown]
	v_mov_b32_e32 v15, 0
	v_mul_lo_u32 v8, v8, v207
	v_dot4c_i32_i8_e32 v15, v206, v4
	v_mad_u64_u32 v[12:13], s[16:17], v9, v204, v[8:9]
	v_mov_b32_e32 v13, 0
	v_mov_b32_e32 v8, 0
	v_dot4c_i32_i8_e32 v13, v196, v4
	v_dot4c_i32_i8_e32 v15, v206, v5
	;; [unrolled: 1-line block ×9, first 2 shown]
	v_mov_b32_e32 v5, 0
	v_dot4c_i32_i8_e32 v208, v197, v7
	v_dot4c_i32_i8_e32 v209, v202, v7
	;; [unrolled: 1-line block ×20, first 2 shown]
	v_mul_lo_u32 v4, v8, v198
	v_dot4c_i32_i8_e32 v13, v193, v2
	v_dot4c_i32_i8_e32 v5, v163, v3
	;; [unrolled: 1-line block ×6, first 2 shown]
	v_mad_u64_u32 v[8:9], s[16:17], v5, v192, v[4:5]
	ds_read_b128 v[4:7], v145 offset:5120
	ds_read_b128 v[0:3], v145 offset:5136
	v_mov_b32_e32 v9, 0
	v_cvt_f32_i32_e32 v153, v152
	v_cvt_f32_i32_e32 v15, v15
	s_waitcnt lgkmcnt(1)
	v_dot4c_i32_i8_e32 v9, v178, v4
	v_dot4c_i32_i8_e32 v9, v175, v5
	;; [unrolled: 1-line block ×8, first 2 shown]
	s_waitcnt lgkmcnt(0)
	v_dot4c_i32_i8_e32 v210, v195, v0
	v_mul_lo_u32 v154, v9, v199
	v_mov_b32_e32 v9, 0
	v_dot4c_i32_i8_e32 v9, v167, v0
	v_dot4c_i32_i8_e32 v9, v168, v1
	;; [unrolled: 1-line block ×7, first 2 shown]
	s_nop 1
	v_mad_u64_u32 v[154:155], s[16:17], v9, v194, v[154:155]
	v_cvt_f32_i32_e32 v152, v154
	v_cvt_f32_i32_e32 v155, v208
	;; [unrolled: 1-line block ×3, first 2 shown]
	v_mov_b32_e32 v9, 0
	v_dot4c_i32_i8_e32 v9, v182, v4
	v_dot4c_i32_i8_e32 v9, v179, v5
	v_pk_mul_f32 v[154:155], v[142:143], v[154:155] op_sel_hi:[0,1]
	v_pk_fma_f32 v[154:155], v[140:141], v[152:153], v[154:155] op_sel_hi:[0,1,1] neg_lo:[0,0,1] neg_hi:[0,0,1]
	v_mov_b32_e32 v152, v11
	v_mov_b32_e32 v153, v10
	v_pk_fma_f32 v[106:107], v[152:153], v[154:155], v[106:107]
	v_mov_b32_e32 v154, 0
	v_dot4c_i32_i8_e32 v154, v202, v4
	v_dot4c_i32_i8_e32 v154, v202, v5
	;; [unrolled: 1-line block ×8, first 2 shown]
	v_mul_lo_u32 v10, v9, v203
	v_mov_b32_e32 v9, 0
	v_dot4c_i32_i8_e32 v9, v171, v0
	v_dot4c_i32_i8_e32 v9, v172, v1
	;; [unrolled: 1-line block ×6, first 2 shown]
                                        ; kill: def $vgpr11 killed $sgpr0 killed $exec
	v_cvt_f32_i32_e32 v155, v209
	v_mov_b32_e32 v208, 0
	v_mad_u64_u32 v[10:11], s[16:17], v9, v200, v[10:11]
	v_cvt_f32_i32_e32 v154, v154
	v_cvt_f32_i32_e32 v11, v14
	;; [unrolled: 1-line block ×3, first 2 shown]
	v_mov_b32_e32 v9, 0
	v_dot4c_i32_i8_e32 v9, v190, v4
	v_mov_b32_e32 v14, 0
	v_dot4c_i32_i8_e32 v14, v206, v4
	v_dot4c_i32_i8_e32 v9, v187, v5
	v_pk_mul_f32 v[154:155], v[146:147], v[154:155] op_sel_hi:[0,1]
	v_dot4c_i32_i8_e32 v14, v206, v5
	v_dot4c_i32_i8_e32 v9, v188, v6
	v_pk_fma_f32 v[10:11], v[144:145], v[10:11], v[154:155] op_sel_hi:[0,1,1] neg_lo:[0,0,1] neg_hi:[0,0,1]
	v_dot4c_i32_i8_e32 v14, v206, v6
	v_dot4c_i32_i8_e32 v9, v189, v7
	v_pk_fma_f32 v[112:113], v[152:153], v[10:11], v[112:113]
	v_dot4c_i32_i8_e32 v14, v206, v7
	v_dot4c_i32_i8_e32 v14, v205, v0
	v_mul_lo_u32 v10, v9, v207
	v_mov_b32_e32 v9, 0
	v_dot4c_i32_i8_e32 v9, v183, v0
	v_dot4c_i32_i8_e32 v9, v184, v1
	;; [unrolled: 1-line block ×7, first 2 shown]
                                        ; kill: def $vgpr11 killed $sgpr0 killed $exec
	v_mov_b32_e32 v209, 0
	s_nop 0
	v_mad_u64_u32 v[10:11], s[16:17], v9, v204, v[10:11]
	v_cvt_f32_i32_e32 v14, v14
	v_cvt_f32_i32_e32 v11, v12
	;; [unrolled: 1-line block ×3, first 2 shown]
	v_mov_b32_e32 v9, 0
	v_pk_mul_f32 v[14:15], v[150:151], v[14:15] op_sel_hi:[0,1]
	v_dot4c_i32_i8_e32 v9, v191, v4
	v_pk_fma_f32 v[10:11], v[148:149], v[10:11], v[14:15] op_sel_hi:[0,1,1] neg_lo:[0,0,1] neg_hi:[0,0,1]
	v_pk_fma_f32 v[120:121], v[152:153], v[10:11], v[120:121]
	v_mov_b32_e32 v10, 0
	v_dot4c_i32_i8_e32 v10, v196, v4
	v_dot4c_i32_i8_e32 v10, v196, v5
	;; [unrolled: 1-line block ×5, first 2 shown]
	v_mov_b32_e32 v5, 0
	v_dot4c_i32_i8_e32 v5, v160, v0
	v_dot4c_i32_i8_e32 v10, v193, v0
	v_dot4c_i32_i8_e32 v9, v165, v6
	v_dot4c_i32_i8_e32 v5, v161, v1
	v_dot4c_i32_i8_e32 v10, v193, v1
	v_dot4c_i32_i8_e32 v9, v166, v7
	v_dot4c_i32_i8_e32 v5, v162, v2
	v_dot4c_i32_i8_e32 v10, v193, v2
	v_dot4c_i32_i8_e32 v5, v163, v3
	v_mul_lo_u32 v4, v9, v198
	v_dot4c_i32_i8_e32 v10, v193, v3
	v_cvt_f32_i32_e32 v3, v13
	v_mad_u64_u32 v[0:1], s[16:17], v5, v192, v[4:5]
	s_nop 0
	v_cvt_f32_i32_e32 v2, v10
	v_cvt_f32_i32_e32 v1, v8
	;; [unrolled: 1-line block ×3, first 2 shown]
	v_mov_b32_e32 v8, 0
	v_pk_mul_f32 v[2:3], v[138:139], v[2:3] op_sel_hi:[0,1]
	v_mov_b32_e32 v9, 0
	v_pk_fma_f32 v[0:1], v[136:137], v[0:1], v[2:3] op_sel_hi:[0,1,1] neg_lo:[0,0,1] neg_hi:[0,0,1]
	v_pk_fma_f32 v[128:129], v[152:153], v[0:1], v[128:129]
	ds_read2_b32 v[12:13], v147 offset0:192 offset1:224
	ds_read_b128 v[4:7], v145 offset:6144
	ds_read_b128 v[0:3], v145 offset:6160
	s_waitcnt lgkmcnt(1)
	v_dot4c_i32_i8_e32 v8, v178, v4
	v_dot4c_i32_i8_e32 v8, v175, v5
	s_waitcnt lgkmcnt(0)
	v_dot4c_i32_i8_e32 v9, v167, v0
	v_dot4c_i32_i8_e32 v8, v176, v6
	;; [unrolled: 1-line block ×7, first 2 shown]
	v_mul_lo_u32 v8, v8, v199
	v_dot4c_i32_i8_e32 v209, v202, v4
	v_mad_u64_u32 v[10:11], s[16:17], v9, v194, v[8:9]
	v_mov_b32_e32 v8, 0
	v_dot4c_i32_i8_e32 v8, v182, v4
	v_mov_b32_e32 v9, 0
	v_dot4c_i32_i8_e32 v8, v179, v5
	v_dot4c_i32_i8_e32 v9, v171, v0
	;; [unrolled: 1-line block ×8, first 2 shown]
	v_mul_lo_u32 v8, v8, v203
	v_dot4c_i32_i8_e32 v209, v202, v5
	v_mad_u64_u32 v[152:153], s[16:17], v9, v200, v[8:9]
	v_mov_b32_e32 v8, 0
	v_dot4c_i32_i8_e32 v8, v190, v4
	v_mov_b32_e32 v9, 0
	v_dot4c_i32_i8_e32 v8, v187, v5
	v_dot4c_i32_i8_e32 v9, v183, v0
	;; [unrolled: 1-line block ×7, first 2 shown]
	v_mov_b32_e32 v153, 0
	v_mul_lo_u32 v8, v8, v207
	v_dot4c_i32_i8_e32 v153, v206, v4
	v_mad_u64_u32 v[14:15], s[16:17], v9, v204, v[8:9]
	v_mov_b32_e32 v15, 0
	v_mov_b32_e32 v8, 0
	v_dot4c_i32_i8_e32 v15, v196, v4
	v_dot4c_i32_i8_e32 v153, v206, v5
	;; [unrolled: 1-line block ×9, first 2 shown]
	v_mov_b32_e32 v5, 0
	v_dot4c_i32_i8_e32 v208, v197, v7
	v_dot4c_i32_i8_e32 v209, v202, v7
	;; [unrolled: 1-line block ×20, first 2 shown]
	v_mul_lo_u32 v4, v8, v198
	v_dot4c_i32_i8_e32 v15, v193, v2
	v_dot4c_i32_i8_e32 v5, v163, v3
	;; [unrolled: 1-line block ×6, first 2 shown]
	v_mad_u64_u32 v[8:9], s[16:17], v5, v192, v[4:5]
	ds_read_b128 v[4:7], v145 offset:7168
	ds_read_b128 v[0:3], v145 offset:7184
	v_mov_b32_e32 v9, 0
	v_cvt_f32_i32_e32 v11, v10
	v_cvt_f32_i32_e32 v153, v153
	s_waitcnt lgkmcnt(1)
	v_dot4c_i32_i8_e32 v9, v178, v4
	v_mov_b32_e32 v178, 0
	v_dot4c_i32_i8_e32 v9, v175, v5
	v_dot4c_i32_i8_e32 v178, v197, v4
	;; [unrolled: 1-line block ×7, first 2 shown]
	s_waitcnt lgkmcnt(0)
	v_dot4c_i32_i8_e32 v178, v195, v0
	v_mul_lo_u32 v154, v9, v199
	v_mov_b32_e32 v9, 0
	v_dot4c_i32_i8_e32 v9, v167, v0
	v_dot4c_i32_i8_e32 v9, v168, v1
	;; [unrolled: 1-line block ×7, first 2 shown]
	s_nop 1
	v_mad_u64_u32 v[154:155], s[16:17], v9, v194, v[154:155]
	v_cvt_f32_i32_e32 v10, v154
	v_cvt_f32_i32_e32 v155, v208
	;; [unrolled: 1-line block ×3, first 2 shown]
	v_mov_b32_e32 v9, 0
	v_dot4c_i32_i8_e32 v9, v182, v4
	v_dot4c_i32_i8_e32 v9, v179, v5
	v_pk_mul_f32 v[154:155], v[142:143], v[154:155] op_sel_hi:[0,1]
	v_pk_fma_f32 v[154:155], v[140:141], v[10:11], v[154:155] op_sel_hi:[0,1,1] neg_lo:[0,0,1] neg_hi:[0,0,1]
	v_mov_b32_e32 v140, 0
	v_dot4c_i32_i8_e32 v140, v202, v4
	v_dot4c_i32_i8_e32 v140, v202, v5
	;; [unrolled: 1-line block ×5, first 2 shown]
	v_mov_b32_e32 v11, v12
	v_dot4c_i32_i8_e32 v140, v202, v7
	v_dot4c_i32_i8_e32 v140, v201, v0
	v_mul_lo_u32 v12, v9, v203
	v_mov_b32_e32 v9, 0
	v_dot4c_i32_i8_e32 v9, v171, v0
	v_dot4c_i32_i8_e32 v9, v172, v1
	v_dot4c_i32_i8_e32 v140, v201, v1
	v_dot4c_i32_i8_e32 v9, v173, v2
	v_dot4c_i32_i8_e32 v140, v201, v2
	v_mov_b32_e32 v10, v13
	v_dot4c_i32_i8_e32 v9, v174, v3
	v_dot4c_i32_i8_e32 v140, v201, v3
                                        ; kill: def $vgpr13 killed $sgpr0 killed $exec
	v_pk_fma_f32 v[104:105], v[10:11], v[154:155], v[104:105]
	v_cvt_f32_i32_e32 v155, v209
	v_mad_u64_u32 v[12:13], s[16:17], v9, v200, v[12:13]
	v_cvt_f32_i32_e32 v154, v140
	v_cvt_f32_i32_e32 v13, v152
	;; [unrolled: 1-line block ×3, first 2 shown]
	v_mov_b32_e32 v9, 0
	v_dot4c_i32_i8_e32 v9, v190, v4
	v_mov_b32_e32 v140, 0
	v_dot4c_i32_i8_e32 v140, v206, v4
	v_dot4c_i32_i8_e32 v9, v187, v5
	v_pk_mul_f32 v[154:155], v[146:147], v[154:155] op_sel_hi:[0,1]
	v_dot4c_i32_i8_e32 v140, v206, v5
	v_dot4c_i32_i8_e32 v9, v188, v6
	v_pk_fma_f32 v[12:13], v[144:145], v[12:13], v[154:155] op_sel_hi:[0,1,1] neg_lo:[0,0,1] neg_hi:[0,0,1]
	v_dot4c_i32_i8_e32 v140, v206, v6
	v_dot4c_i32_i8_e32 v9, v189, v7
	v_pk_fma_f32 v[108:109], v[10:11], v[12:13], v[108:109]
	v_dot4c_i32_i8_e32 v140, v206, v7
	v_dot4c_i32_i8_e32 v140, v205, v0
	v_mul_lo_u32 v12, v9, v207
	v_mov_b32_e32 v9, 0
	v_dot4c_i32_i8_e32 v9, v183, v0
	v_dot4c_i32_i8_e32 v9, v184, v1
	;; [unrolled: 1-line block ×7, first 2 shown]
                                        ; kill: def $vgpr13 killed $sgpr0 killed $exec
	v_add_u32_e32 v147, 4, v147
	v_add_u32_e32 v145, 32, v145
	v_mad_u64_u32 v[12:13], s[16:17], v9, v204, v[12:13]
	v_cvt_f32_i32_e32 v152, v140
	v_cvt_f32_i32_e32 v13, v14
	;; [unrolled: 1-line block ×3, first 2 shown]
	v_mov_b32_e32 v9, 0
	v_pk_mul_f32 v[152:153], v[150:151], v[152:153] op_sel_hi:[0,1]
	v_dot4c_i32_i8_e32 v9, v191, v4
	v_pk_fma_f32 v[12:13], v[148:149], v[12:13], v[152:153] op_sel_hi:[0,1,1] neg_lo:[0,0,1] neg_hi:[0,0,1]
	v_pk_fma_f32 v[114:115], v[10:11], v[12:13], v[114:115]
	v_mov_b32_e32 v12, 0
	v_dot4c_i32_i8_e32 v12, v196, v4
	v_dot4c_i32_i8_e32 v12, v196, v5
	;; [unrolled: 1-line block ×5, first 2 shown]
	v_mov_b32_e32 v5, 0
	v_dot4c_i32_i8_e32 v5, v160, v0
	v_dot4c_i32_i8_e32 v12, v193, v0
	;; [unrolled: 1-line block ×9, first 2 shown]
	v_mul_lo_u32 v4, v9, v198
	v_dot4c_i32_i8_e32 v12, v193, v3
	v_cvt_f32_i32_e32 v3, v15
	v_mad_u64_u32 v[0:1], s[16:17], v5, v192, v[4:5]
	s_nop 0
	v_cvt_f32_i32_e32 v2, v12
	v_cvt_f32_i32_e32 v1, v8
	v_cvt_f32_i32_e32 v0, v0
	s_add_i32 s16, s11, 2
	v_pk_mul_f32 v[2:3], v[138:139], v[2:3] op_sel_hi:[0,1]
	s_cmp_lt_u32 s11, 14
	v_pk_fma_f32 v[0:1], v[136:137], v[0:1], v[2:3] op_sel_hi:[0,1,1] neg_lo:[0,0,1] neg_hi:[0,0,1]
	v_pk_fma_f32 v[122:123], v[10:11], v[0:1], v[122:123]
	s_mov_b32 s11, s16
	s_cbranch_scc1 .LBB148_9
; %bb.10:                               ;   in Loop: Header=BB148_6 Depth=1
	s_or_b32 s11, s7, 1
	s_cmp_ge_i32 s11, s4
	s_barrier
	s_cbranch_scc1 .LBB148_5
; %bb.11:                               ;   in Loop: Header=BB148_6 Depth=1
	v_add_u32_e32 v14, s9, v71
	v_add_u32_e32 v0, v14, v43
	;; [unrolled: 1-line block ×6, first 2 shown]
	v_mad_i64_i32 v[0:1], s[16:17], v0, 36, v[56:57]
	v_mad_i64_i32 v[2:3], s[16:17], v2, 36, v[56:57]
	;; [unrolled: 1-line block ×4, first 2 shown]
	v_add_u32_e32 v8, v14, v55
	v_add_u32_e32 v10, v14, v63
	;; [unrolled: 1-line block ×4, first 2 shown]
	v_mad_u64_u32 v[144:145], s[16:17], v136, 36, s[2:3]
	v_mad_i64_i32 v[8:9], s[16:17], v8, 36, v[56:57]
	v_mad_i64_i32 v[10:11], s[16:17], v10, 36, v[56:57]
	v_mad_i64_i32 v[12:13], s[16:17], v12, 36, v[56:57]
	v_mad_i64_i32 v[14:15], s[16:17], v14, 36, v[56:57]
	global_load_dword v136, v[144:145], off
	s_nop 0
	global_load_dword v0, v[0:1], off offset:4
	s_nop 0
	global_load_dword v1, v[2:3], off offset:4
	;; [unrolled: 2-line block ×3, first 2 shown]
	global_load_dword v3, v[6:7], off offset:4
	s_nop 0
	global_load_dword v4, v[8:9], off offset:4
	global_load_dword v5, v[10:11], off offset:4
	;; [unrolled: 1-line block ×4, first 2 shown]
	s_mov_b32 s11, 16
	v_mov_b32_e32 v11, v95
	v_mov_b32_e32 v13, v77
	s_waitcnt vmcnt(8)
	v_cvt_f32_f16_e32 v8, v136
	s_waitcnt vmcnt(7)
	ds_write_b32 v93, v0
	s_waitcnt vmcnt(6)
	ds_write_b32 v79, v1
	;; [unrolled: 2-line block ×8, first 2 shown]
	ds_write_b32 v41, v8
	s_waitcnt lgkmcnt(0)
	s_barrier
.LBB148_12:                             ;   Parent Loop BB148_6 Depth=1
                                        ; =>  This Inner Loop Header: Depth=2
	s_and_b32 s18, s11, 0x3ffffff8
	v_lshl_add_u32 v12, s18, 2, v75
	ds_read2_b32 v[144:145], v13 offset1:32
	ds_read_b128 v[4:7], v11
	ds_read_b128 v[0:3], v11 offset:16
	ds_read2_b32 v[8:9], v12 offset1:1
	ds_read2_b32 v[14:15], v12 offset0:4 offset1:5
	s_add_i32 s16, s11, -16
	s_lshr_b32 s18, s11, 2
	s_and_b32 s17, s11, -16
	s_waitcnt lgkmcnt(1)
	v_ashrrev_i32_e32 v8, s16, v8
	v_and_b32_e32 v155, 0x3030303, v8
	v_ashrrev_i32_e32 v8, s16, v9
	v_and_b32_e32 v152, 0x3030303, v8
	ds_read2_b32 v[8:9], v12 offset0:2 offset1:3
	ds_read2_b32 v[146:147], v12 offset0:6 offset1:7
	s_and_b32 s18, s18, 0x3ffffffc
	s_add_i32 s17, s11, s17
	s_addk_i32 s18, 0x7280
	s_waitcnt lgkmcnt(1)
	v_ashrrev_i32_e32 v8, s16, v8
	v_and_b32_e32 v153, 0x3030303, v8
	v_ashrrev_i32_e32 v8, s16, v9
	v_and_b32_e32 v154, 0x3030303, v8
	v_ashrrev_i32_e32 v8, s16, v14
	v_and_b32_e32 v9, 0x3030303, v8
	v_ashrrev_i32_e32 v8, s16, v15
	v_and_b32_e32 v15, 0x3030303, v8
	s_waitcnt lgkmcnt(0)
	v_ashrrev_i32_e32 v8, s16, v146
	v_and_b32_e32 v148, 0x3030303, v8
	v_ashrrev_i32_e32 v8, s16, v147
	v_and_b32_e32 v150, 0x3030303, v8
	v_add_u32_e32 v8, s17, v23
	v_add3_u32 v10, s18, v156, v97
	ds_read_b32 v10, v10
	ds_read_u16 v8, v8 offset:25072
	v_add3_u32 v136, s18, v99, v101
	v_add3_u32 v140, s18, v103, v117
	v_mov_b32_e32 v147, 0
	v_mov_b32_e32 v201, 0
	s_waitcnt lgkmcnt(0)
	v_bfe_u32 v14, v8, 4, 4
	v_mul_lo_u32 v174, v14, s8
	v_lshrrev_b32_sdwa v14, v157, v8 dst_sel:DWORD dst_unused:UNUSED_PAD src0_sel:DWORD src1_sel:BYTE_1
	v_mul_lo_u32 v175, v14, s8
	v_add_u32_e32 v14, 0x1080, v12
	ds_read2_b32 v[160:161], v14 offset1:1
	v_mov_b32_e32 v204, 0
	v_mov_b32_e32 v207, 0
	v_dot4c_i32_i8_e32 v147, v174, v4
	v_mov_b32_e32 v146, 0
	s_waitcnt lgkmcnt(0)
	v_ashrrev_i32_e32 v14, s16, v160
	v_and_b32_e32 v172, 0x3030303, v14
	v_ashrrev_i32_e32 v14, s16, v161
	v_and_b32_e32 v169, 0x3030303, v14
	v_add_u32_e32 v14, 0x1088, v12
	ds_read2_b32 v[160:161], v14 offset1:1
	v_dot4c_i32_i8_e32 v147, v174, v5
	v_mov_b32_e32 v200, 0
	v_mov_b32_e32 v203, 0
	;; [unrolled: 1-line block ×3, first 2 shown]
	s_waitcnt lgkmcnt(0)
	v_ashrrev_i32_e32 v14, s16, v160
	v_and_b32_e32 v170, 0x3030303, v14
	v_ashrrev_i32_e32 v14, s16, v161
	v_and_b32_e32 v171, 0x3030303, v14
	v_add_u32_e32 v14, 0x1090, v12
	ds_read2_b32 v[160:161], v14 offset1:1
	v_dot4c_i32_i8_e32 v146, v155, v4
	v_dot4c_i32_i8_e32 v147, v174, v6
	;; [unrolled: 1-line block ×4, first 2 shown]
	s_waitcnt lgkmcnt(0)
	v_ashrrev_i32_e32 v14, s16, v160
	v_and_b32_e32 v164, 0x3030303, v14
	v_ashrrev_i32_e32 v14, s16, v161
	v_and_b32_e32 v165, 0x3030303, v14
	v_add_u32_e32 v14, 0x1098, v12
	ds_read2_b32 v[160:161], v14 offset1:1
	v_mov_b32_e32 v202, 0
	v_mov_b32_e32 v205, 0
	;; [unrolled: 1-line block ×4, first 2 shown]
	s_waitcnt lgkmcnt(0)
	v_ashrrev_i32_e32 v14, s16, v160
	v_and_b32_e32 v166, 0x3030303, v14
	v_ashrrev_i32_e32 v14, s16, v161
	v_and_b32_e32 v167, 0x3030303, v14
	v_add_u32_e32 v14, s17, v25
	ds_read_b32 v138, v136
	ds_read_u16 v14, v14 offset:26096
	v_dot4c_i32_i8_e32 v202, v9, v0
	v_dot4c_i32_i8_e32 v147, v175, v0
	;; [unrolled: 1-line block ×4, first 2 shown]
	s_waitcnt lgkmcnt(0)
	v_bfe_u32 v136, v14, 4, 4
	v_mul_lo_u32 v173, v136, s8
	v_and_b32_e32 v182, 15, v14
	v_lshrrev_b32_sdwa v136, v157, v14 dst_sel:DWORD dst_unused:UNUSED_PAD src0_sel:DWORD src1_sel:BYTE_1
	v_and_b32_sdwa v191, v14, v158 dst_sel:DWORD dst_unused:UNUSED_PAD src0_sel:BYTE_1 src1_sel:DWORD
	v_add_u32_e32 v14, 0x2100, v12
	ds_read2_b32 v[160:161], v14 offset1:1
	v_dot4c_i32_i8_e32 v201, v173, v4
	v_dot4c_i32_i8_e32 v201, v173, v5
	;; [unrolled: 1-line block ×4, first 2 shown]
	s_waitcnt lgkmcnt(0)
	v_ashrrev_i32_e32 v14, s16, v160
	v_and_b32_e32 v186, 0x3030303, v14
	v_ashrrev_i32_e32 v14, s16, v161
	v_and_b32_e32 v183, 0x3030303, v14
	v_add_u32_e32 v14, 0x2108, v12
	ds_read2_b32 v[160:161], v14 offset1:1
	v_dot4c_i32_i8_e32 v203, v186, v4
	v_mul_lo_u32 v190, v136, s8
	v_dot4c_i32_i8_e32 v201, v190, v0
	v_dot4c_i32_i8_e32 v202, v15, v1
	s_waitcnt lgkmcnt(0)
	v_ashrrev_i32_e32 v14, s16, v160
	v_and_b32_e32 v184, 0x3030303, v14
	v_ashrrev_i32_e32 v14, s16, v161
	v_and_b32_e32 v185, 0x3030303, v14
	v_add_u32_e32 v14, 0x2110, v12
	ds_read2_b32 v[160:161], v14 offset1:1
	v_dot4c_i32_i8_e32 v147, v175, v1
	v_dot4c_i32_i8_e32 v200, v169, v5
	;; [unrolled: 1-line block ×4, first 2 shown]
	s_waitcnt lgkmcnt(0)
	v_ashrrev_i32_e32 v14, s16, v160
	v_and_b32_e32 v178, 0x3030303, v14
	v_ashrrev_i32_e32 v14, s16, v161
	v_and_b32_e32 v179, 0x3030303, v14
	v_add_u32_e32 v14, 0x2118, v12
	ds_read2_b32 v[160:161], v14 offset1:1
	v_dot4c_i32_i8_e32 v208, v178, v0
	v_dot4c_i32_i8_e32 v203, v183, v5
	;; [unrolled: 1-line block ×4, first 2 shown]
	s_waitcnt lgkmcnt(0)
	v_ashrrev_i32_e32 v14, s16, v160
	v_and_b32_e32 v180, 0x3030303, v14
	v_ashrrev_i32_e32 v14, s16, v161
	v_and_b32_e32 v181, 0x3030303, v14
	v_add_u32_e32 v14, s17, v27
	ds_read_b32 v142, v140
	ds_read_u16 v14, v14 offset:27120
	v_dot4c_i32_i8_e32 v202, v148, v2
	v_dot4c_i32_i8_e32 v147, v175, v2
	;; [unrolled: 1-line block ×4, first 2 shown]
	s_waitcnt lgkmcnt(0)
	v_bfe_u32 v140, v14, 4, 4
	v_mul_lo_u32 v187, v140, s8
	v_and_b32_e32 v192, 15, v14
	v_lshrrev_b32_sdwa v140, v157, v14 dst_sel:DWORD dst_unused:UNUSED_PAD src0_sel:DWORD src1_sel:BYTE_1
	v_and_b32_sdwa v199, v14, v158 dst_sel:DWORD dst_unused:UNUSED_PAD src0_sel:BYTE_1 src1_sel:DWORD
	v_add_u32_e32 v14, 0x3180, v12
	ds_read2_b32 v[160:161], v14 offset1:1
	v_dot4c_i32_i8_e32 v204, v187, v4
	v_dot4c_i32_i8_e32 v204, v187, v5
	;; [unrolled: 1-line block ×4, first 2 shown]
	s_waitcnt lgkmcnt(0)
	v_ashrrev_i32_e32 v14, s16, v160
	v_and_b32_e32 v196, 0x3030303, v14
	v_ashrrev_i32_e32 v14, s16, v161
	v_and_b32_e32 v193, 0x3030303, v14
	v_add_u32_e32 v14, 0x3188, v12
	ds_read2_b32 v[160:161], v14 offset1:1
	v_dot4c_i32_i8_e32 v206, v196, v4
	v_mul_lo_u32 v198, v140, s8
	v_dot4c_i32_i8_e32 v204, v198, v0
	v_dot4c_i32_i8_e32 v204, v198, v1
	s_waitcnt lgkmcnt(0)
	v_ashrrev_i32_e32 v14, s16, v160
	v_and_b32_e32 v194, 0x3030303, v14
	v_ashrrev_i32_e32 v14, s16, v161
	v_and_b32_e32 v195, 0x3030303, v14
	v_add_u32_e32 v14, 0x3190, v12
	v_add_u32_e32 v12, 0x3198, v12
	ds_read2_b32 v[160:161], v14 offset1:1
	ds_read2_b32 v[162:163], v12 offset1:1
	v_dot4c_i32_i8_e32 v206, v193, v5
	v_dot4c_i32_i8_e32 v201, v190, v2
	;; [unrolled: 1-line block ×3, first 2 shown]
	s_waitcnt lgkmcnt(1)
	v_ashrrev_i32_e32 v14, s16, v160
	s_waitcnt lgkmcnt(0)
	v_ashrrev_i32_e32 v12, s16, v162
	v_and_b32_e32 v160, 0x3030303, v14
	v_ashrrev_i32_e32 v14, s16, v161
	v_and_b32_e32 v162, 0x3030303, v12
	;; [unrolled: 2-line block ×3, first 2 shown]
	v_and_b32_e32 v163, 0x3030303, v12
	v_add_u32_e32 v12, s17, v29
	v_add3_u32 v14, s18, v137, v139
	ds_read_b32 v14, v14
	ds_read_u16 v12, v12 offset:28144
	v_dot4c_i32_i8_e32 v209, v160, v0
	v_dot4c_i32_i8_e32 v209, v161, v1
	;; [unrolled: 1-line block ×4, first 2 shown]
	s_waitcnt lgkmcnt(0)
	v_bfe_u32 v177, v12, 4, 4
	v_mul_lo_u32 v197, v177, s8
	v_dot4c_i32_i8_e32 v207, v197, v4
	v_dot4c_i32_i8_e32 v207, v197, v5
	;; [unrolled: 1-line block ×3, first 2 shown]
	v_lshrrev_b32_sdwa v4, v157, v12 dst_sel:DWORD dst_unused:UNUSED_PAD src0_sel:DWORD src1_sel:BYTE_1
	v_dot4c_i32_i8_e32 v207, v197, v7
	v_mul_lo_u32 v188, v4, s8
	v_dot4c_i32_i8_e32 v207, v188, v0
	v_dot4c_i32_i8_e32 v207, v188, v1
	;; [unrolled: 1-line block ×17, first 2 shown]
	ds_read_b128 v[4:7], v11 offset:1024
	ds_read_b128 v[0:3], v11 offset:1040
	v_mov_b32_e32 v214, 0
	v_mov_b32_e32 v210, 0
	v_mov_b32_e32 v211, 0
	s_waitcnt lgkmcnt(1)
	v_dot4c_i32_i8_e32 v214, v174, v4
	v_dot4c_i32_i8_e32 v214, v174, v5
	;; [unrolled: 1-line block ×6, first 2 shown]
	s_waitcnt lgkmcnt(0)
	v_dot4c_i32_i8_e32 v211, v9, v0
	v_dot4c_i32_i8_e32 v214, v175, v0
	;; [unrolled: 1-line block ×5, first 2 shown]
	v_and_b32_e32 v168, 15, v8
	v_and_b32_sdwa v176, v8, v158 dst_sel:DWORD dst_unused:UNUSED_PAD src0_sel:BYTE_1 src1_sel:DWORD
	v_dot4c_i32_i8_e32 v210, v154, v7
	v_dot4c_i32_i8_e32 v211, v148, v2
	;; [unrolled: 1-line block ×5, first 2 shown]
	v_mul_lo_u32 v202, v176, v202
	v_mul_lo_u32 v210, v168, v210
	v_cvt_f32_f16_e32 v8, v10
	v_cvt_f32_f16_sdwa v10, v10 dst_sel:DWORD dst_unused:UNUSED_PAD src0_sel:WORD_1
	v_mad_u64_u32 v[210:211], s[16:17], v176, v211, v[210:211]
	v_mad_u64_u32 v[212:213], s[16:17], v168, v146, v[202:203]
	v_cvt_f32_i32_e32 v147, v147
	v_cvt_f32_i32_e32 v146, v214
	;; [unrolled: 1-line block ×4, first 2 shown]
	v_mov_b32_e32 v212, 0
	v_dot4c_i32_i8_e32 v212, v173, v4
	v_pk_mul_f32 v[146:147], v[10:11], v[146:147] op_sel_hi:[0,1]
	v_dot4c_i32_i8_e32 v212, v173, v5
	v_pk_fma_f32 v[210:211], v[8:9], v[210:211], v[146:147] op_sel_hi:[0,1,1] neg_lo:[0,0,1] neg_hi:[0,0,1]
	v_mov_b32_e32 v146, v145
	v_mov_b32_e32 v147, v144
	;; [unrolled: 1-line block ×3, first 2 shown]
	v_dot4c_i32_i8_e32 v212, v173, v6
	v_pk_fma_f32 v[58:59], v[146:147], v[210:211], v[58:59]
	v_dot4c_i32_i8_e32 v145, v172, v4
	v_dot4c_i32_i8_e32 v212, v173, v7
	v_mov_b32_e32 v210, 0
	v_dot4c_i32_i8_e32 v145, v169, v5
	v_dot4c_i32_i8_e32 v210, v164, v0
	;; [unrolled: 1-line block ×11, first 2 shown]
	v_mul_lo_u32 v144, v191, v205
	v_mul_lo_u32 v202, v182, v145
                                        ; kill: def $vgpr145 killed $sgpr0 killed $exec
	v_cvt_f32_f16_e32 v136, v138
	v_cvt_f32_f16_sdwa v138, v138 dst_sel:DWORD dst_unused:UNUSED_PAD src0_sel:WORD_1
	v_mad_u64_u32 v[210:211], s[16:17], v191, v210, v[202:203]
	v_mad_u64_u32 v[144:145], s[16:17], v182, v200, v[144:145]
	v_cvt_f32_i32_e32 v201, v201
	v_cvt_f32_i32_e32 v200, v212
	;; [unrolled: 1-line block ×4, first 2 shown]
	v_mov_b32_e32 v202, 0
	v_pk_mul_f32 v[200:201], v[138:139], v[200:201] op_sel_hi:[0,1]
	v_dot4c_i32_i8_e32 v202, v187, v4
	v_pk_fma_f32 v[144:145], v[136:137], v[144:145], v[200:201] op_sel_hi:[0,1,1] neg_lo:[0,0,1] neg_hi:[0,0,1]
	v_pk_fma_f32 v[124:125], v[146:147], v[144:145], v[124:125]
	v_mov_b32_e32 v145, 0
	v_dot4c_i32_i8_e32 v202, v187, v5
	v_dot4c_i32_i8_e32 v145, v186, v4
	;; [unrolled: 1-line block ×3, first 2 shown]
	v_mov_b32_e32 v201, 0
	v_dot4c_i32_i8_e32 v145, v183, v5
	v_dot4c_i32_i8_e32 v202, v187, v7
	v_dot4c_i32_i8_e32 v201, v178, v0
	v_dot4c_i32_i8_e32 v145, v184, v6
	v_dot4c_i32_i8_e32 v202, v198, v0
	v_dot4c_i32_i8_e32 v201, v179, v1
	v_dot4c_i32_i8_e32 v145, v185, v7
	v_dot4c_i32_i8_e32 v202, v198, v1
	v_dot4c_i32_i8_e32 v201, v180, v2
	v_dot4c_i32_i8_e32 v202, v198, v2
	v_dot4c_i32_i8_e32 v201, v181, v3
	v_mul_lo_u32 v144, v199, v208
	v_mul_lo_u32 v200, v192, v145
                                        ; kill: def $vgpr145 killed $sgpr0 killed $exec
	v_dot4c_i32_i8_e32 v202, v198, v3
	v_mad_u64_u32 v[200:201], s[16:17], v199, v201, v[200:201]
	v_mad_u64_u32 v[144:145], s[16:17], v192, v203, v[144:145]
	v_cvt_f32_f16_e32 v140, v142
	v_cvt_f32_f16_sdwa v142, v142 dst_sel:DWORD dst_unused:UNUSED_PAD src0_sel:WORD_1
	v_cvt_f32_i32_e32 v145, v144
	v_cvt_f32_i32_e32 v144, v200
	;; [unrolled: 1-line block ×4, first 2 shown]
	v_and_b32_e32 v177, 15, v12
	v_and_b32_sdwa v189, v12, v158 dst_sel:DWORD dst_unused:UNUSED_PAD src0_sel:BYTE_1 src1_sel:DWORD
	v_cvt_f32_f16_e32 v12, v14
	v_pk_mul_f32 v[200:201], v[142:143], v[200:201] op_sel_hi:[0,1]
	v_pk_fma_f32 v[144:145], v[140:141], v[144:145], v[200:201] op_sel_hi:[0,1,1] neg_lo:[0,0,1] neg_hi:[0,0,1]
	v_pk_fma_f32 v[130:131], v[146:147], v[144:145], v[130:131]
	v_mov_b32_e32 v145, 0
	v_dot4c_i32_i8_e32 v145, v197, v4
	v_mov_b32_e32 v144, 0
	v_dot4c_i32_i8_e32 v145, v197, v5
	v_dot4c_i32_i8_e32 v144, v196, v4
	;; [unrolled: 1-line block ×3, first 2 shown]
	v_mov_b32_e32 v4, 0
	v_dot4c_i32_i8_e32 v144, v193, v5
	v_dot4c_i32_i8_e32 v145, v197, v7
	;; [unrolled: 1-line block ×11, first 2 shown]
	v_mul_lo_u32 v0, v189, v209
	v_mul_lo_u32 v2, v177, v144
                                        ; kill: def $vgpr1 killed $sgpr0 killed $exec
	v_dot4c_i32_i8_e32 v145, v188, v3
	v_mad_u64_u32 v[2:3], s[16:17], v189, v4, v[2:3]
	v_mad_u64_u32 v[0:1], s[16:17], v177, v206, v[0:1]
	v_cvt_f32_f16_sdwa v14, v14 dst_sel:DWORD dst_unused:UNUSED_PAD src0_sel:WORD_1
	v_cvt_f32_i32_e32 v1, v0
	v_cvt_f32_i32_e32 v0, v2
	;; [unrolled: 1-line block ×4, first 2 shown]
	v_mov_b32_e32 v206, 0
	v_mov_b32_e32 v208, 0
	;; [unrolled: 1-line block ×3, first 2 shown]
	v_pk_mul_f32 v[2:3], v[14:15], v[2:3] op_sel_hi:[0,1]
	v_pk_fma_f32 v[0:1], v[12:13], v[0:1], v[2:3] op_sel_hi:[0,1,1] neg_lo:[0,0,1] neg_hi:[0,0,1]
	v_pk_fma_f32 v[134:135], v[146:147], v[0:1], v[134:135]
	ds_read2_b32 v[144:145], v13 offset0:64 offset1:96
	ds_read_b128 v[4:7], v11 offset:2048
	ds_read_b128 v[0:3], v11 offset:2064
	v_mov_b32_e32 v201, 0
	v_mov_b32_e32 v147, 0
	;; [unrolled: 1-line block ×3, first 2 shown]
	s_waitcnt lgkmcnt(1)
	v_dot4c_i32_i8_e32 v206, v174, v4
	v_dot4c_i32_i8_e32 v208, v173, v4
	;; [unrolled: 1-line block ×13, first 2 shown]
	v_mov_b32_e32 v207, 0
	v_dot4c_i32_i8_e32 v208, v173, v7
	v_mov_b32_e32 v209, 0
	v_mov_b32_e32 v202, 0
	v_dot4c_i32_i8_e32 v203, v187, v7
	v_mov_b32_e32 v210, 0
	;; [unrolled: 3-line block ×3, first 2 shown]
	v_dot4c_i32_i8_e32 v147, v155, v4
	s_waitcnt lgkmcnt(0)
	v_dot4c_i32_i8_e32 v146, v9, v0
	v_dot4c_i32_i8_e32 v206, v175, v0
	;; [unrolled: 1-line block ×47, first 2 shown]
	ds_read_b128 v[4:7], v11 offset:3072
	ds_read_b128 v[0:3], v11 offset:3088
	v_mov_b32_e32 v212, 0
	v_mov_b32_e32 v204, 0
	;; [unrolled: 1-line block ×3, first 2 shown]
	s_waitcnt lgkmcnt(1)
	v_dot4c_i32_i8_e32 v212, v174, v4
	v_dot4c_i32_i8_e32 v212, v174, v5
	;; [unrolled: 1-line block ×6, first 2 shown]
	s_waitcnt lgkmcnt(0)
	v_dot4c_i32_i8_e32 v205, v9, v0
	v_dot4c_i32_i8_e32 v204, v153, v6
	v_dot4c_i32_i8_e32 v212, v175, v0
	v_dot4c_i32_i8_e32 v205, v15, v1
	v_dot4c_i32_i8_e32 v204, v154, v7
	v_dot4c_i32_i8_e32 v212, v175, v1
	v_dot4c_i32_i8_e32 v205, v148, v2
	v_dot4c_i32_i8_e32 v212, v175, v2
	v_dot4c_i32_i8_e32 v205, v150, v3
	v_mul_lo_u32 v146, v146, v176
	v_mul_lo_u32 v204, v204, v168
	v_dot4c_i32_i8_e32 v212, v175, v3
	v_mad_u64_u32 v[204:205], s[16:17], v205, v176, v[204:205]
	v_mad_u64_u32 v[146:147], s[16:17], v147, v168, v[146:147]
	v_cvt_f32_i32_e32 v147, v146
	v_cvt_f32_i32_e32 v146, v204
	;; [unrolled: 1-line block ×4, first 2 shown]
	v_mov_b32_e32 v206, 0
	v_dot4c_i32_i8_e32 v206, v173, v4
	v_dot4c_i32_i8_e32 v206, v173, v5
	v_pk_mul_f32 v[204:205], v[10:11], v[204:205] op_sel_hi:[0,1]
	v_pk_fma_f32 v[204:205], v[8:9], v[146:147], v[204:205] op_sel_hi:[0,1,1] neg_lo:[0,0,1] neg_hi:[0,0,1]
	v_mov_b32_e32 v146, v145
	v_mov_b32_e32 v147, v144
	;; [unrolled: 1-line block ×3, first 2 shown]
	v_pk_fma_f32 v[110:111], v[146:147], v[204:205], v[110:111]
	v_dot4c_i32_i8_e32 v145, v172, v4
	v_dot4c_i32_i8_e32 v206, v173, v6
	v_mov_b32_e32 v205, 0
	v_dot4c_i32_i8_e32 v145, v169, v5
	v_dot4c_i32_i8_e32 v206, v173, v7
	;; [unrolled: 1-line block ×11, first 2 shown]
	v_mul_lo_u32 v144, v209, v191
	v_mul_lo_u32 v204, v145, v182
                                        ; kill: def $vgpr145 killed $sgpr0 killed $exec
	v_dot4c_i32_i8_e32 v206, v190, v3
	v_mad_u64_u32 v[204:205], s[16:17], v205, v191, v[204:205]
	v_mad_u64_u32 v[144:145], s[16:17], v207, v182, v[144:145]
	v_cvt_f32_i32_e32 v145, v144
	v_cvt_f32_i32_e32 v144, v204
	;; [unrolled: 1-line block ×4, first 2 shown]
	v_mov_b32_e32 v206, 0
	v_dot4c_i32_i8_e32 v206, v187, v4
	v_dot4c_i32_i8_e32 v206, v187, v5
	v_pk_mul_f32 v[204:205], v[138:139], v[204:205] op_sel_hi:[0,1]
	v_pk_fma_f32 v[144:145], v[136:137], v[144:145], v[204:205] op_sel_hi:[0,1,1] neg_lo:[0,0,1] neg_hi:[0,0,1]
	v_pk_fma_f32 v[118:119], v[146:147], v[144:145], v[118:119]
	v_mov_b32_e32 v145, 0
	v_dot4c_i32_i8_e32 v206, v187, v6
	v_dot4c_i32_i8_e32 v145, v186, v4
	;; [unrolled: 1-line block ×3, first 2 shown]
	v_mov_b32_e32 v205, 0
	v_dot4c_i32_i8_e32 v145, v183, v5
	v_dot4c_i32_i8_e32 v205, v178, v0
	;; [unrolled: 1-line block ×11, first 2 shown]
	v_mul_lo_u32 v144, v210, v199
	v_mul_lo_u32 v204, v145, v192
                                        ; kill: def $vgpr145 killed $sgpr0 killed $exec
	v_mad_u64_u32 v[204:205], s[16:17], v205, v199, v[204:205]
	v_mad_u64_u32 v[144:145], s[16:17], v202, v192, v[144:145]
	v_cvt_f32_i32_e32 v203, v203
	v_cvt_f32_i32_e32 v202, v206
	;; [unrolled: 1-line block ×4, first 2 shown]
	v_mov_b32_e32 v206, 0
	v_pk_mul_f32 v[202:203], v[142:143], v[202:203] op_sel_hi:[0,1]
	v_mov_b32_e32 v208, 0
	v_pk_fma_f32 v[144:145], v[140:141], v[144:145], v[202:203] op_sel_hi:[0,1,1] neg_lo:[0,0,1] neg_hi:[0,0,1]
	v_pk_fma_f32 v[126:127], v[146:147], v[144:145], v[126:127]
	v_mov_b32_e32 v145, 0
	v_dot4c_i32_i8_e32 v145, v197, v4
	v_mov_b32_e32 v144, 0
	v_dot4c_i32_i8_e32 v145, v197, v5
	v_dot4c_i32_i8_e32 v144, v196, v4
	;; [unrolled: 1-line block ×3, first 2 shown]
	v_mov_b32_e32 v4, 0
	v_dot4c_i32_i8_e32 v144, v193, v5
	v_dot4c_i32_i8_e32 v145, v197, v7
	;; [unrolled: 1-line block ×11, first 2 shown]
	v_mul_lo_u32 v0, v211, v189
	v_mul_lo_u32 v2, v144, v177
                                        ; kill: def $vgpr1 killed $sgpr0 killed $exec
	v_dot4c_i32_i8_e32 v145, v188, v3
	v_mad_u64_u32 v[2:3], s[16:17], v4, v189, v[2:3]
	v_mad_u64_u32 v[0:1], s[16:17], v200, v177, v[0:1]
	v_cvt_f32_i32_e32 v1, v0
	v_cvt_f32_i32_e32 v0, v2
	;; [unrolled: 1-line block ×4, first 2 shown]
	v_mov_b32_e32 v203, 0
	v_mov_b32_e32 v201, 0
	;; [unrolled: 1-line block ×3, first 2 shown]
	v_pk_mul_f32 v[2:3], v[14:15], v[2:3] op_sel_hi:[0,1]
	v_pk_fma_f32 v[0:1], v[12:13], v[0:1], v[2:3] op_sel_hi:[0,1,1] neg_lo:[0,0,1] neg_hi:[0,0,1]
	v_pk_fma_f32 v[132:133], v[146:147], v[0:1], v[132:133]
	ds_read2_b32 v[144:145], v13 offset0:128 offset1:160
	ds_read_b128 v[4:7], v11 offset:4096
	ds_read_b128 v[0:3], v11 offset:4112
	v_mov_b32_e32 v147, 0
	v_mov_b32_e32 v146, 0
	;; [unrolled: 1-line block ×3, first 2 shown]
	s_waitcnt lgkmcnt(1)
	v_dot4c_i32_i8_e32 v206, v174, v4
	v_dot4c_i32_i8_e32 v208, v173, v4
	;; [unrolled: 1-line block ×14, first 2 shown]
	v_mov_b32_e32 v202, 0
	v_dot4c_i32_i8_e32 v203, v187, v7
	v_mov_b32_e32 v210, 0
	v_mov_b32_e32 v200, 0
	v_dot4c_i32_i8_e32 v201, v197, v7
	v_mov_b32_e32 v211, 0
	v_dot4c_i32_i8_e32 v147, v155, v4
	s_waitcnt lgkmcnt(0)
	v_dot4c_i32_i8_e32 v146, v9, v0
	v_dot4c_i32_i8_e32 v206, v175, v0
	;; [unrolled: 1-line block ×47, first 2 shown]
	ds_read_b128 v[4:7], v11 offset:5120
	ds_read_b128 v[0:3], v11 offset:5136
	v_mov_b32_e32 v212, 0
	v_mov_b32_e32 v204, 0
	;; [unrolled: 1-line block ×3, first 2 shown]
	s_waitcnt lgkmcnt(1)
	v_dot4c_i32_i8_e32 v212, v174, v4
	v_dot4c_i32_i8_e32 v212, v174, v5
	;; [unrolled: 1-line block ×6, first 2 shown]
	s_waitcnt lgkmcnt(0)
	v_dot4c_i32_i8_e32 v205, v9, v0
	v_dot4c_i32_i8_e32 v204, v153, v6
	;; [unrolled: 1-line block ×9, first 2 shown]
	v_mul_lo_u32 v146, v146, v176
	v_mul_lo_u32 v204, v204, v168
	v_dot4c_i32_i8_e32 v212, v175, v3
	v_mad_u64_u32 v[204:205], s[16:17], v205, v176, v[204:205]
	v_mad_u64_u32 v[146:147], s[16:17], v147, v168, v[146:147]
	v_cvt_f32_i32_e32 v147, v146
	v_cvt_f32_i32_e32 v146, v204
	;; [unrolled: 1-line block ×4, first 2 shown]
	v_mov_b32_e32 v206, 0
	v_dot4c_i32_i8_e32 v206, v173, v4
	v_dot4c_i32_i8_e32 v206, v173, v5
	v_pk_mul_f32 v[204:205], v[10:11], v[204:205] op_sel_hi:[0,1]
	v_pk_fma_f32 v[204:205], v[8:9], v[146:147], v[204:205] op_sel_hi:[0,1,1] neg_lo:[0,0,1] neg_hi:[0,0,1]
	v_mov_b32_e32 v146, v145
	v_mov_b32_e32 v147, v144
	;; [unrolled: 1-line block ×3, first 2 shown]
	v_pk_fma_f32 v[106:107], v[146:147], v[204:205], v[106:107]
	v_dot4c_i32_i8_e32 v145, v172, v4
	v_dot4c_i32_i8_e32 v206, v173, v6
	v_mov_b32_e32 v205, 0
	v_dot4c_i32_i8_e32 v145, v169, v5
	v_dot4c_i32_i8_e32 v206, v173, v7
	;; [unrolled: 1-line block ×11, first 2 shown]
	v_mul_lo_u32 v144, v209, v191
	v_mul_lo_u32 v204, v145, v182
                                        ; kill: def $vgpr145 killed $sgpr0 killed $exec
	v_dot4c_i32_i8_e32 v206, v190, v3
	v_mad_u64_u32 v[204:205], s[16:17], v205, v191, v[204:205]
	v_mad_u64_u32 v[144:145], s[16:17], v207, v182, v[144:145]
	v_cvt_f32_i32_e32 v145, v144
	v_cvt_f32_i32_e32 v144, v204
	;; [unrolled: 1-line block ×4, first 2 shown]
	v_mov_b32_e32 v206, 0
	v_dot4c_i32_i8_e32 v206, v187, v4
	v_dot4c_i32_i8_e32 v206, v187, v5
	v_pk_mul_f32 v[204:205], v[138:139], v[204:205] op_sel_hi:[0,1]
	v_pk_fma_f32 v[144:145], v[136:137], v[144:145], v[204:205] op_sel_hi:[0,1,1] neg_lo:[0,0,1] neg_hi:[0,0,1]
	v_pk_fma_f32 v[112:113], v[146:147], v[144:145], v[112:113]
	v_mov_b32_e32 v145, 0
	v_dot4c_i32_i8_e32 v206, v187, v6
	v_dot4c_i32_i8_e32 v145, v186, v4
	;; [unrolled: 1-line block ×3, first 2 shown]
	v_mov_b32_e32 v205, 0
	v_dot4c_i32_i8_e32 v145, v183, v5
	v_dot4c_i32_i8_e32 v205, v178, v0
	;; [unrolled: 1-line block ×11, first 2 shown]
	v_mul_lo_u32 v144, v210, v199
	v_mul_lo_u32 v204, v145, v192
                                        ; kill: def $vgpr145 killed $sgpr0 killed $exec
	v_mad_u64_u32 v[204:205], s[16:17], v205, v199, v[204:205]
	v_mad_u64_u32 v[144:145], s[16:17], v202, v192, v[144:145]
	v_cvt_f32_i32_e32 v203, v203
	v_cvt_f32_i32_e32 v202, v206
	;; [unrolled: 1-line block ×4, first 2 shown]
	v_mov_b32_e32 v204, 0
	v_pk_mul_f32 v[202:203], v[142:143], v[202:203] op_sel_hi:[0,1]
	v_mov_b32_e32 v207, 0
	v_pk_fma_f32 v[144:145], v[140:141], v[144:145], v[202:203] op_sel_hi:[0,1,1] neg_lo:[0,0,1] neg_hi:[0,0,1]
	v_pk_fma_f32 v[120:121], v[146:147], v[144:145], v[120:121]
	v_mov_b32_e32 v145, 0
	v_dot4c_i32_i8_e32 v145, v197, v4
	v_mov_b32_e32 v144, 0
	v_dot4c_i32_i8_e32 v145, v197, v5
	v_dot4c_i32_i8_e32 v144, v196, v4
	v_dot4c_i32_i8_e32 v145, v197, v6
	v_mov_b32_e32 v4, 0
	v_dot4c_i32_i8_e32 v144, v193, v5
	v_dot4c_i32_i8_e32 v145, v197, v7
	;; [unrolled: 1-line block ×11, first 2 shown]
	v_mul_lo_u32 v0, v211, v189
	v_mul_lo_u32 v2, v144, v177
                                        ; kill: def $vgpr1 killed $sgpr0 killed $exec
	v_dot4c_i32_i8_e32 v145, v188, v3
	v_mad_u64_u32 v[2:3], s[16:17], v4, v189, v[2:3]
	v_mad_u64_u32 v[0:1], s[16:17], v200, v177, v[0:1]
	v_cvt_f32_i32_e32 v1, v0
	v_cvt_f32_i32_e32 v0, v2
	;; [unrolled: 1-line block ×4, first 2 shown]
	v_mov_b32_e32 v202, 0
	v_mov_b32_e32 v203, 0
	;; [unrolled: 1-line block ×3, first 2 shown]
	v_pk_mul_f32 v[2:3], v[14:15], v[2:3] op_sel_hi:[0,1]
	v_pk_fma_f32 v[0:1], v[12:13], v[0:1], v[2:3] op_sel_hi:[0,1,1] neg_lo:[0,0,1] neg_hi:[0,0,1]
	v_pk_fma_f32 v[128:129], v[146:147], v[0:1], v[128:129]
	ds_read2_b32 v[144:145], v13 offset0:192 offset1:224
	ds_read_b128 v[4:7], v11 offset:6144
	ds_read_b128 v[0:3], v11 offset:6160
	v_mov_b32_e32 v147, 0
	v_mov_b32_e32 v206, 0
	;; [unrolled: 1-line block ×3, first 2 shown]
	s_waitcnt lgkmcnt(1)
	v_dot4c_i32_i8_e32 v204, v174, v4
	v_dot4c_i32_i8_e32 v207, v173, v4
	;; [unrolled: 1-line block ×14, first 2 shown]
	v_mov_b32_e32 v201, 0
	v_dot4c_i32_i8_e32 v202, v187, v7
	v_mov_b32_e32 v209, 0
	v_mov_b32_e32 v146, 0
	v_dot4c_i32_i8_e32 v147, v197, v7
	v_mov_b32_e32 v200, 0
	v_dot4c_i32_i8_e32 v203, v155, v4
	s_waitcnt lgkmcnt(0)
	v_dot4c_i32_i8_e32 v205, v9, v0
	v_dot4c_i32_i8_e32 v204, v175, v0
	;; [unrolled: 1-line block ×47, first 2 shown]
	ds_read_b128 v[4:7], v11 offset:7168
	ds_read_b128 v[0:3], v11 offset:7184
	v_mov_b32_e32 v211, 0
	v_mov_b32_e32 v210, 0
	s_waitcnt lgkmcnt(1)
	v_dot4c_i32_i8_e32 v211, v174, v4
	v_dot4c_i32_i8_e32 v210, v155, v4
	;; [unrolled: 1-line block ×5, first 2 shown]
	v_mov_b32_e32 v152, 0
	v_dot4c_i32_i8_e32 v211, v174, v7
	s_waitcnt lgkmcnt(0)
	v_dot4c_i32_i8_e32 v152, v9, v0
	v_dot4c_i32_i8_e32 v210, v153, v6
	;; [unrolled: 1-line block ×9, first 2 shown]
	v_mul_lo_u32 v148, v205, v176
	v_mul_lo_u32 v150, v210, v168
	v_dot4c_i32_i8_e32 v211, v175, v3
	v_mad_u64_u32 v[152:153], s[16:17], v152, v176, v[150:151]
	v_mad_u64_u32 v[154:155], s[16:17], v203, v168, v[148:149]
	v_cvt_f32_i32_e32 v153, v154
	v_cvt_f32_i32_e32 v155, v204
	;; [unrolled: 1-line block ×4, first 2 shown]
	v_mov_b32_e32 v148, 0
	v_dot4c_i32_i8_e32 v148, v173, v4
	v_pk_mul_f32 v[154:155], v[10:11], v[154:155] op_sel_hi:[0,1]
	v_mov_b32_e32 v15, 0
	v_dot4c_i32_i8_e32 v148, v173, v5
                                        ; kill: def $vgpr9 killed $sgpr0 killed $exec
	v_pk_fma_f32 v[152:153], v[8:9], v[152:153], v[154:155] op_sel_hi:[0,1,1] neg_lo:[0,0,1] neg_hi:[0,0,1]
	v_mov_b32_e32 v8, v145
	v_dot4c_i32_i8_e32 v15, v172, v4
	v_dot4c_i32_i8_e32 v148, v173, v6
	v_mov_b32_e32 v145, 0
	v_dot4c_i32_i8_e32 v15, v169, v5
	v_dot4c_i32_i8_e32 v148, v173, v7
	;; [unrolled: 1-line block ×9, first 2 shown]
	v_mov_b32_e32 v9, v144
	v_dot4c_i32_i8_e32 v148, v190, v2
	v_dot4c_i32_i8_e32 v145, v167, v3
	v_mul_lo_u32 v10, v208, v191
	v_mul_lo_u32 v144, v15, v182
	v_pk_fma_f32 v[104:105], v[8:9], v[152:153], v[104:105]
	v_dot4c_i32_i8_e32 v148, v190, v3
	v_mad_u64_u32 v[144:145], s[16:17], v145, v191, v[144:145]
	v_mad_u64_u32 v[152:153], s[16:17], v206, v182, v[10:11]
	v_cvt_f32_i32_e32 v145, v152
	v_cvt_f32_i32_e32 v153, v207
	;; [unrolled: 1-line block ×3, first 2 shown]
	v_mov_b32_e32 v15, 0
	v_cvt_f32_i32_e32 v144, v144
	v_dot4c_i32_i8_e32 v15, v186, v4
	v_dot4c_i32_i8_e32 v15, v183, v5
	;; [unrolled: 1-line block ×3, first 2 shown]
	v_pk_mul_f32 v[152:153], v[138:139], v[152:153] op_sel_hi:[0,1]
	v_dot4c_i32_i8_e32 v15, v185, v7
	v_pk_fma_f32 v[144:145], v[136:137], v[144:145], v[152:153] op_sel_hi:[0,1,1] neg_lo:[0,0,1] neg_hi:[0,0,1]
	v_mov_b32_e32 v138, 0
	v_dot4c_i32_i8_e32 v138, v187, v4
	v_mul_lo_u32 v136, v15, v192
	v_mov_b32_e32 v15, 0
	v_mul_lo_u32 v10, v209, v199
	v_dot4c_i32_i8_e32 v15, v197, v4
	v_dot4c_i32_i8_e32 v138, v187, v5
	v_mad_u64_u32 v[152:153], s[16:17], v201, v192, v[10:11]
	v_mov_b32_e32 v10, 0
	v_dot4c_i32_i8_e32 v15, v197, v5
	v_pk_fma_f32 v[108:109], v[8:9], v[144:145], v[108:109]
	v_dot4c_i32_i8_e32 v138, v187, v6
	v_mov_b32_e32 v144, 0
	v_dot4c_i32_i8_e32 v10, v196, v4
	v_dot4c_i32_i8_e32 v15, v197, v6
	v_mov_b32_e32 v4, 0
	v_dot4c_i32_i8_e32 v138, v187, v7
	v_dot4c_i32_i8_e32 v144, v178, v0
	v_dot4c_i32_i8_e32 v10, v193, v5
	v_dot4c_i32_i8_e32 v15, v197, v7
	v_dot4c_i32_i8_e32 v4, v160, v0
	v_dot4c_i32_i8_e32 v138, v198, v0
	v_dot4c_i32_i8_e32 v144, v179, v1
	v_dot4c_i32_i8_e32 v10, v194, v6
	v_dot4c_i32_i8_e32 v15, v188, v0
	v_dot4c_i32_i8_e32 v4, v161, v1
	v_dot4c_i32_i8_e32 v138, v198, v1
	v_dot4c_i32_i8_e32 v144, v180, v2
	v_dot4c_i32_i8_e32 v10, v195, v7
	v_dot4c_i32_i8_e32 v15, v188, v1
	v_dot4c_i32_i8_e32 v4, v162, v2
	v_dot4c_i32_i8_e32 v138, v198, v2
	v_dot4c_i32_i8_e32 v144, v181, v3
	v_dot4c_i32_i8_e32 v15, v188, v2
	v_dot4c_i32_i8_e32 v4, v163, v3
	v_mul_lo_u32 v0, v200, v189
	v_mul_lo_u32 v2, v10, v177
                                        ; kill: def $vgpr1 killed $sgpr0 killed $exec
	v_dot4c_i32_i8_e32 v138, v198, v3
	v_mad_u64_u32 v[144:145], s[16:17], v144, v199, v[136:137]
	v_dot4c_i32_i8_e32 v15, v188, v3
	v_mad_u64_u32 v[2:3], s[16:17], v4, v189, v[2:3]
	v_mad_u64_u32 v[0:1], s[16:17], v146, v177, v[0:1]
	v_cvt_f32_i32_e32 v145, v152
	v_cvt_f32_i32_e32 v153, v202
	;; [unrolled: 1-line block ×8, first 2 shown]
	v_pk_mul_f32 v[152:153], v[142:143], v[152:153] op_sel_hi:[0,1]
	s_add_i32 s16, s11, 2
	v_pk_mul_f32 v[2:3], v[14:15], v[2:3] op_sel_hi:[0,1]
	v_pk_fma_f32 v[144:145], v[140:141], v[144:145], v[152:153] op_sel_hi:[0,1,1] neg_lo:[0,0,1] neg_hi:[0,0,1]
	v_pk_fma_f32 v[0:1], v[12:13], v[0:1], v[2:3] op_sel_hi:[0,1,1] neg_lo:[0,0,1] neg_hi:[0,0,1]
	v_pk_fma_f32 v[114:115], v[8:9], v[144:145], v[114:115]
	v_pk_fma_f32 v[122:123], v[8:9], v[0:1], v[122:123]
	v_add_u32_e32 v13, 4, v13
	v_add_u32_e32 v11, 32, v11
	s_cmp_lt_u32 s11, 22
	s_mov_b32 s11, s16
	s_cbranch_scc1 .LBB148_12
; %bb.13:                               ;   in Loop: Header=BB148_6 Depth=1
	v_add_u32_e32 v14, s9, v73
	v_add_u32_e32 v0, v14, v43
	;; [unrolled: 1-line block ×6, first 2 shown]
	v_mad_i64_i32 v[0:1], s[16:17], v0, 36, v[56:57]
	v_mad_i64_i32 v[2:3], s[16:17], v2, 36, v[56:57]
	;; [unrolled: 1-line block ×4, first 2 shown]
	v_add_u32_e32 v8, v14, v55
	v_add_u32_e32 v10, v14, v63
	;; [unrolled: 1-line block ×4, first 2 shown]
	v_mad_u64_u32 v[144:145], s[16:17], v136, 36, s[2:3]
	s_barrier
	v_mad_i64_i32 v[8:9], s[16:17], v8, 36, v[56:57]
	v_mad_i64_i32 v[10:11], s[16:17], v10, 36, v[56:57]
	;; [unrolled: 1-line block ×4, first 2 shown]
	global_load_dword v136, v[144:145], off
	s_nop 0
	global_load_dword v0, v[0:1], off offset:4
	s_nop 0
	global_load_dword v1, v[2:3], off offset:4
	;; [unrolled: 2-line block ×3, first 2 shown]
	global_load_dword v3, v[6:7], off offset:4
	s_nop 0
	global_load_dword v4, v[8:9], off offset:4
	global_load_dword v5, v[10:11], off offset:4
	global_load_dword v6, v[12:13], off offset:4
	global_load_dword v7, v[14:15], off offset:4
	s_mov_b32 s9, 24
	v_mov_b32_e32 v145, v95
	v_mov_b32_e32 v147, v77
	s_waitcnt vmcnt(8)
	v_cvt_f32_f16_e32 v8, v136
	s_waitcnt vmcnt(7)
	ds_write_b32 v93, v0
	s_waitcnt vmcnt(6)
	ds_write_b32 v79, v1
	;; [unrolled: 2-line block ×8, first 2 shown]
	ds_write_b32 v41, v8
	s_waitcnt lgkmcnt(0)
	s_barrier
.LBB148_14:                             ;   Parent Loop BB148_6 Depth=1
                                        ; =>  This Inner Loop Header: Depth=2
	s_and_b32 s17, s9, 0x3ffffff8
	v_lshl_add_u32 v10, s17, 2, v75
	ds_read2_b32 v[152:153], v147 offset1:32
	ds_read_b128 v[4:7], v145
	ds_read_b128 v[0:3], v145 offset:16
	ds_read2_b32 v[8:9], v10 offset1:1
	s_sub_i32 s11, s9, 24
	s_lshr_b32 s17, s9, 2
	s_and_b32 s17, s17, 0x3ffffffc
	s_addk_i32 s17, 0x7280
	s_waitcnt lgkmcnt(0)
	v_ashrrev_i32_e32 v8, s11, v8
	v_and_b32_e32 v182, 0x3030303, v8
	v_ashrrev_i32_e32 v8, s11, v9
	v_and_b32_e32 v178, 0x3030303, v8
	ds_read2_b32 v[8:9], v10 offset0:2 offset1:3
	s_and_b32 s16, s9, -16
	s_add_i32 s16, s9, s16
	v_add_u32_e32 v155, s16, v23
	v_mov_b32_e32 v210, 0
	s_waitcnt lgkmcnt(0)
	v_ashrrev_i32_e32 v8, s11, v8
	v_and_b32_e32 v180, 0x3030303, v8
	v_ashrrev_i32_e32 v8, s11, v9
	v_and_b32_e32 v181, 0x3030303, v8
	ds_read2_b32 v[8:9], v10 offset0:4 offset1:5
	v_mov_b32_e32 v211, 0
	v_mov_b32_e32 v197, 0
	;; [unrolled: 1-line block ×4, first 2 shown]
	s_waitcnt lgkmcnt(0)
	v_ashrrev_i32_e32 v8, s11, v8
	v_and_b32_e32 v165, 0x3030303, v8
	v_ashrrev_i32_e32 v8, s11, v9
	v_and_b32_e32 v166, 0x3030303, v8
	ds_read2_b32 v[8:9], v10 offset0:6 offset1:7
	v_dot4c_i32_i8_e32 v197, v165, v0
	v_mov_b32_e32 v203, 0
	v_dot4c_i32_i8_e32 v154, v182, v4
	v_dot4c_i32_i8_e32 v197, v166, v1
	s_waitcnt lgkmcnt(0)
	v_ashrrev_i32_e32 v8, s11, v8
	v_and_b32_e32 v169, 0x3030303, v8
	v_ashrrev_i32_e32 v8, s11, v9
	v_and_b32_e32 v170, 0x3030303, v8
	v_add3_u32 v8, s17, v156, v97
	ds_read_b32 v8, v8
	v_dot4c_i32_i8_e32 v154, v178, v5
	v_dot4c_i32_i8_e32 v197, v169, v2
	;; [unrolled: 1-line block ×4, first 2 shown]
	s_waitcnt lgkmcnt(0)
	v_cvt_f32_f16_e32 v140, v8
	v_cvt_f32_f16_sdwa v142, v8 dst_sel:DWORD dst_unused:UNUSED_PAD src0_sel:WORD_1
	v_add_u32_e32 v8, 0x1080, v10
	ds_read2_b32 v[8:9], v8 offset1:1
	v_dot4c_i32_i8_e32 v154, v181, v7
	v_add_u32_e32 v196, s16, v25
	v_add_u32_e32 v200, s16, v27
	;; [unrolled: 1-line block ×3, first 2 shown]
	s_waitcnt lgkmcnt(0)
	v_ashrrev_i32_e32 v8, s11, v8
	v_and_b32_e32 v179, 0x3030303, v8
	v_ashrrev_i32_e32 v8, s11, v9
	v_and_b32_e32 v171, 0x3030303, v8
	v_add_u32_e32 v8, 0x1088, v10
	ds_read2_b32 v[8:9], v8 offset1:1
	v_mov_b32_e32 v202, 0
	v_mov_b32_e32 v201, 0
	v_dot4c_i32_i8_e32 v201, v179, v4
	v_dot4c_i32_i8_e32 v201, v171, v5
	s_waitcnt lgkmcnt(0)
	v_ashrrev_i32_e32 v8, s11, v8
	v_and_b32_e32 v174, 0x3030303, v8
	v_ashrrev_i32_e32 v8, s11, v9
	v_and_b32_e32 v175, 0x3030303, v8
	v_add_u32_e32 v8, 0x1090, v10
	ds_read2_b32 v[8:9], v8 offset1:1
	v_dot4c_i32_i8_e32 v201, v174, v6
	v_dot4c_i32_i8_e32 v201, v175, v7
	v_mov_b32_e32 v207, 0
	v_mov_b32_e32 v204, 0
	s_waitcnt lgkmcnt(0)
	v_ashrrev_i32_e32 v8, s11, v8
	v_and_b32_e32 v163, 0x3030303, v8
	v_ashrrev_i32_e32 v8, s11, v9
	v_and_b32_e32 v164, 0x3030303, v8
	v_add_u32_e32 v8, 0x1098, v10
	ds_read2_b32 v[8:9], v8 offset1:1
	v_dot4c_i32_i8_e32 v202, v163, v0
	v_dot4c_i32_i8_e32 v202, v164, v1
	v_mov_b32_e32 v205, 0
	v_mov_b32_e32 v206, 0
	s_waitcnt lgkmcnt(0)
	v_ashrrev_i32_e32 v8, s11, v8
	v_and_b32_e32 v167, 0x3030303, v8
	v_ashrrev_i32_e32 v8, s11, v9
	v_and_b32_e32 v168, 0x3030303, v8
	v_add3_u32 v8, s17, v99, v101
	ds_read_b32 v8, v8
	v_dot4c_i32_i8_e32 v202, v167, v2
	v_dot4c_i32_i8_e32 v202, v168, v3
	s_waitcnt lgkmcnt(0)
	v_cvt_f32_f16_e32 v144, v8
	v_cvt_f32_f16_sdwa v146, v8 dst_sel:DWORD dst_unused:UNUSED_PAD src0_sel:WORD_1
	v_add_u32_e32 v8, 0x2100, v10
	ds_read2_b32 v[8:9], v8 offset1:1
	s_waitcnt lgkmcnt(0)
	v_ashrrev_i32_e32 v8, s11, v8
	v_and_b32_e32 v186, 0x3030303, v8
	v_ashrrev_i32_e32 v8, s11, v9
	v_and_b32_e32 v183, 0x3030303, v8
	v_add_u32_e32 v8, 0x2108, v10
	ds_read2_b32 v[8:9], v8 offset1:1
	v_dot4c_i32_i8_e32 v204, v186, v4
	v_dot4c_i32_i8_e32 v204, v183, v5
	s_waitcnt lgkmcnt(0)
	v_ashrrev_i32_e32 v8, s11, v8
	v_and_b32_e32 v184, 0x3030303, v8
	v_ashrrev_i32_e32 v8, s11, v9
	v_and_b32_e32 v185, 0x3030303, v8
	v_add_u32_e32 v8, 0x2110, v10
	ds_read2_b32 v[8:9], v8 offset1:1
	v_dot4c_i32_i8_e32 v204, v184, v6
	v_dot4c_i32_i8_e32 v204, v185, v7
	;; [unrolled: 9-line block ×3, first 2 shown]
	s_waitcnt lgkmcnt(0)
	v_ashrrev_i32_e32 v8, s11, v8
	v_and_b32_e32 v176, 0x3030303, v8
	v_ashrrev_i32_e32 v8, s11, v9
	v_and_b32_e32 v177, 0x3030303, v8
	v_add3_u32 v8, s17, v103, v117
	ds_read_b32 v8, v8
	v_dot4c_i32_i8_e32 v207, v176, v2
	v_dot4c_i32_i8_e32 v207, v177, v3
	s_waitcnt lgkmcnt(0)
	v_cvt_f32_f16_e32 v148, v8
	v_cvt_f32_f16_sdwa v150, v8 dst_sel:DWORD dst_unused:UNUSED_PAD src0_sel:WORD_1
	v_add_u32_e32 v8, 0x3180, v10
	ds_read2_b32 v[8:9], v8 offset1:1
	s_waitcnt lgkmcnt(0)
	v_ashrrev_i32_e32 v8, s11, v8
	v_and_b32_e32 v190, 0x3030303, v8
	v_ashrrev_i32_e32 v8, s11, v9
	v_and_b32_e32 v187, 0x3030303, v8
	v_add_u32_e32 v8, 0x3188, v10
	ds_read2_b32 v[8:9], v8 offset1:1
	v_dot4c_i32_i8_e32 v205, v190, v4
	v_dot4c_i32_i8_e32 v205, v187, v5
	s_waitcnt lgkmcnt(0)
	v_ashrrev_i32_e32 v8, s11, v8
	v_and_b32_e32 v188, 0x3030303, v8
	v_ashrrev_i32_e32 v8, s11, v9
	v_and_b32_e32 v189, 0x3030303, v8
	v_add_u32_e32 v8, 0x3190, v10
	ds_read2_b32 v[8:9], v8 offset1:1
	v_dot4c_i32_i8_e32 v205, v188, v6
	v_dot4c_i32_i8_e32 v205, v189, v7
	;; [unrolled: 9-line block ×3, first 2 shown]
	s_waitcnt lgkmcnt(0)
	v_ashrrev_i32_e32 v8, s11, v8
	v_and_b32_e32 v161, 0x3030303, v8
	v_ashrrev_i32_e32 v8, s11, v9
	v_and_b32_e32 v162, 0x3030303, v8
	v_add3_u32 v8, s17, v137, v139
	ds_read_b32 v8, v8
	v_dot4c_i32_i8_e32 v206, v161, v2
	v_dot4c_i32_i8_e32 v206, v162, v3
	s_add_i32 s11, s9, 2
	s_cmp_lt_u32 s9, 30
	s_waitcnt lgkmcnt(0)
	v_cvt_f32_f16_e32 v136, v8
	v_cvt_f32_f16_sdwa v138, v8 dst_sel:DWORD dst_unused:UNUSED_PAD src0_sel:WORD_1
	ds_read_b128 v[12:15], v145 offset:1024
	ds_read_b128 v[8:11], v145 offset:1040
	ds_read_u16 v155, v155 offset:25072
	s_mov_b32 s9, s11
	s_waitcnt lgkmcnt(2)
	v_dot4c_i32_i8_e32 v199, v182, v12
	v_dot4c_i32_i8_e32 v199, v178, v13
	s_waitcnt lgkmcnt(0)
	v_bfe_u32 v191, v155, 4, 4
	v_mul_lo_u32 v194, v191, s8
	v_dot4c_i32_i8_e32 v210, v194, v4
	v_dot4c_i32_i8_e32 v211, v194, v12
	;; [unrolled: 1-line block ×5, first 2 shown]
	v_lshrrev_b32_sdwa v191, v157, v155 dst_sel:DWORD dst_unused:UNUSED_PAD src0_sel:DWORD src1_sel:BYTE_1
	v_dot4c_i32_i8_e32 v211, v194, v14
	v_dot4c_i32_i8_e32 v210, v194, v7
	v_mul_lo_u32 v193, v191, s8
	v_dot4c_i32_i8_e32 v211, v194, v15
	v_dot4c_i32_i8_e32 v203, v165, v8
	;; [unrolled: 1-line block ×7, first 2 shown]
	v_and_b32_sdwa v192, v155, v158 dst_sel:DWORD dst_unused:UNUSED_PAD src0_sel:BYTE_1 src1_sel:DWORD
	v_and_b32_e32 v155, 15, v155
	v_dot4c_i32_i8_e32 v211, v193, v9
	v_dot4c_i32_i8_e32 v199, v181, v15
	;; [unrolled: 1-line block ×4, first 2 shown]
	v_and_b32_e32 v191, 0xffff, v155
	v_and_b32_e32 v192, 0xffff, v192
	v_dot4c_i32_i8_e32 v211, v193, v10
	v_dot4c_i32_i8_e32 v203, v170, v11
	;; [unrolled: 1-line block ×3, first 2 shown]
	v_mul_lo_u32 v198, v197, v192
	v_mul_lo_u32 v208, v199, v191
	v_dot4c_i32_i8_e32 v211, v193, v11
	v_mad_u64_u32 v[208:209], s[16:17], v203, v192, v[208:209]
	v_mad_u64_u32 v[154:155], s[16:17], v154, v191, v[198:199]
	v_cvt_f32_i32_e32 v199, v210
	v_cvt_f32_i32_e32 v198, v211
	;; [unrolled: 1-line block ×4, first 2 shown]
	v_mov_b32_e32 v208, 0
	v_pk_mul_f32 v[198:199], v[142:143], v[198:199] op_sel_hi:[0,1]
	v_mov_b32_e32 v209, 0
	v_pk_fma_f32 v[198:199], v[140:141], v[154:155], v[198:199] op_sel_hi:[0,1,1] neg_lo:[0,0,1] neg_hi:[0,0,1]
	v_mov_b32_e32 v155, v152
	ds_read_u16 v152, v196 offset:26096
	v_mov_b32_e32 v154, v153
	v_pk_fma_f32 v[58:59], v[154:155], v[198:199], v[58:59]
	v_mov_b32_e32 v153, 0
	v_dot4c_i32_i8_e32 v153, v179, v12
	s_waitcnt lgkmcnt(0)
	v_bfe_u32 v196, v152, 4, 4
	v_mul_lo_u32 v199, v196, s8
	v_dot4c_i32_i8_e32 v208, v199, v4
	v_dot4c_i32_i8_e32 v209, v199, v12
	v_dot4c_i32_i8_e32 v208, v199, v5
	v_dot4c_i32_i8_e32 v209, v199, v13
	v_mov_b32_e32 v203, 0
	v_dot4c_i32_i8_e32 v208, v199, v6
	v_lshrrev_b32_sdwa v196, v157, v152 dst_sel:DWORD dst_unused:UNUSED_PAD src0_sel:DWORD src1_sel:BYTE_1
	v_dot4c_i32_i8_e32 v209, v199, v14
	v_dot4c_i32_i8_e32 v153, v171, v13
	v_dot4c_i32_i8_e32 v203, v163, v8
	v_dot4c_i32_i8_e32 v208, v199, v7
	v_mul_lo_u32 v198, v196, s8
	v_dot4c_i32_i8_e32 v209, v199, v15
	v_dot4c_i32_i8_e32 v153, v174, v14
	;; [unrolled: 1-line block ×4, first 2 shown]
	v_and_b32_sdwa v197, v152, v158 dst_sel:DWORD dst_unused:UNUSED_PAD src0_sel:BYTE_1 src1_sel:DWORD
	v_and_b32_e32 v152, 15, v152
	v_dot4c_i32_i8_e32 v209, v198, v8
	v_dot4c_i32_i8_e32 v153, v175, v15
	;; [unrolled: 1-line block ×4, first 2 shown]
	v_and_b32_e32 v196, 0xffff, v152
	v_and_b32_e32 v197, 0xffff, v197
	v_dot4c_i32_i8_e32 v209, v198, v9
	v_dot4c_i32_i8_e32 v203, v168, v11
	;; [unrolled: 1-line block ×3, first 2 shown]
	v_mul_lo_u32 v152, v202, v197
	v_mul_lo_u32 v202, v153, v196
	v_dot4c_i32_i8_e32 v209, v198, v10
                                        ; kill: def $vgpr153 killed $sgpr0 killed $exec
	v_dot4c_i32_i8_e32 v208, v198, v3
	v_dot4c_i32_i8_e32 v209, v198, v11
	v_mad_u64_u32 v[202:203], s[16:17], v203, v197, v[202:203]
	v_mad_u64_u32 v[152:153], s[16:17], v201, v196, v[152:153]
	v_cvt_f32_i32_e32 v153, v152
	v_cvt_f32_i32_e32 v152, v202
	;; [unrolled: 1-line block ×4, first 2 shown]
	v_mov_b32_e32 v210, 0
	v_mov_b32_e32 v211, 0
	;; [unrolled: 1-line block ×3, first 2 shown]
	v_pk_mul_f32 v[202:203], v[146:147], v[202:203] op_sel_hi:[0,1]
	v_pk_fma_f32 v[152:153], v[144:145], v[152:153], v[202:203] op_sel_hi:[0,1,1] neg_lo:[0,0,1] neg_hi:[0,0,1]
	v_pk_fma_f32 v[124:125], v[154:155], v[152:153], v[124:125]
	ds_read_u16 v152, v200 offset:27120
	v_mov_b32_e32 v153, 0
	v_dot4c_i32_i8_e32 v153, v186, v12
	v_dot4c_i32_i8_e32 v153, v183, v13
	;; [unrolled: 1-line block ×3, first 2 shown]
	s_waitcnt lgkmcnt(0)
	v_bfe_u32 v200, v152, 4, 4
	v_mul_lo_u32 v203, v200, s8
	v_dot4c_i32_i8_e32 v210, v203, v4
	v_dot4c_i32_i8_e32 v211, v203, v12
	;; [unrolled: 1-line block ×5, first 2 shown]
	v_lshrrev_b32_sdwa v200, v157, v152 dst_sel:DWORD dst_unused:UNUSED_PAD src0_sel:DWORD src1_sel:BYTE_1
	v_dot4c_i32_i8_e32 v211, v203, v14
	v_dot4c_i32_i8_e32 v210, v203, v7
	v_mul_lo_u32 v202, v200, s8
	v_dot4c_i32_i8_e32 v211, v203, v15
	v_dot4c_i32_i8_e32 v153, v184, v14
	;; [unrolled: 1-line block ×4, first 2 shown]
	v_and_b32_sdwa v201, v152, v158 dst_sel:DWORD dst_unused:UNUSED_PAD src0_sel:BYTE_1 src1_sel:DWORD
	v_and_b32_e32 v152, 15, v152
	v_dot4c_i32_i8_e32 v211, v202, v8
	v_dot4c_i32_i8_e32 v153, v185, v15
	;; [unrolled: 1-line block ×4, first 2 shown]
	v_and_b32_e32 v200, 0xffff, v152
	v_and_b32_e32 v201, 0xffff, v201
	v_dot4c_i32_i8_e32 v211, v202, v9
	v_dot4c_i32_i8_e32 v209, v177, v11
	v_dot4c_i32_i8_e32 v210, v202, v2
	v_mul_lo_u32 v152, v207, v201
	v_mul_lo_u32 v208, v153, v200
	v_dot4c_i32_i8_e32 v211, v202, v10
                                        ; kill: def $vgpr153 killed $sgpr0 killed $exec
	v_dot4c_i32_i8_e32 v210, v202, v3
	v_dot4c_i32_i8_e32 v211, v202, v11
	v_mad_u64_u32 v[208:209], s[16:17], v209, v201, v[208:209]
	v_mad_u64_u32 v[152:153], s[16:17], v204, v200, v[152:153]
	v_cvt_f32_i32_e32 v153, v152
	v_cvt_f32_i32_e32 v152, v208
	v_cvt_f32_i32_e32 v209, v210
	v_cvt_f32_i32_e32 v208, v211
	v_mov_b32_e32 v207, 0
	v_dot4c_i32_i8_e32 v207, v190, v12
	v_dot4c_i32_i8_e32 v207, v187, v13
	v_pk_mul_f32 v[208:209], v[150:151], v[208:209] op_sel_hi:[0,1]
	v_pk_fma_f32 v[152:153], v[148:149], v[152:153], v[208:209] op_sel_hi:[0,1,1] neg_lo:[0,0,1] neg_hi:[0,0,1]
	v_pk_fma_f32 v[130:131], v[154:155], v[152:153], v[130:131]
	ds_read_u16 v152, v195 offset:28144
	v_mov_b32_e32 v209, 0
	v_mov_b32_e32 v208, 0
	v_dot4c_i32_i8_e32 v208, v159, v8
	v_dot4c_i32_i8_e32 v207, v188, v14
	s_waitcnt lgkmcnt(0)
	v_bfe_u32 v153, v152, 4, 4
	v_mul_lo_u32 v204, v153, s8
	v_dot4c_i32_i8_e32 v209, v204, v4
	v_lshrrev_b32_sdwa v4, v157, v152 dst_sel:DWORD dst_unused:UNUSED_PAD src0_sel:DWORD src1_sel:BYTE_1
	v_mul_lo_u32 v195, v4, s8
	v_mov_b32_e32 v4, 0
	v_dot4c_i32_i8_e32 v209, v204, v5
	v_dot4c_i32_i8_e32 v4, v204, v12
	;; [unrolled: 1-line block ×10, first 2 shown]
	v_and_b32_sdwa v0, v152, v158 dst_sel:DWORD dst_unused:UNUSED_PAD src0_sel:BYTE_1 src1_sel:DWORD
	v_and_b32_e32 v1, 15, v152
	v_dot4c_i32_i8_e32 v4, v195, v8
	v_dot4c_i32_i8_e32 v207, v189, v15
	;; [unrolled: 1-line block ×3, first 2 shown]
	v_and_b32_e32 v152, 0xffff, v1
	v_and_b32_e32 v153, 0xffff, v0
	v_dot4c_i32_i8_e32 v4, v195, v9
	v_dot4c_i32_i8_e32 v208, v162, v11
	;; [unrolled: 1-line block ×3, first 2 shown]
	v_mul_lo_u32 v0, v206, v153
	v_mul_lo_u32 v2, v207, v152
	v_dot4c_i32_i8_e32 v4, v195, v10
                                        ; kill: def $vgpr1 killed $sgpr0 killed $exec
	v_dot4c_i32_i8_e32 v209, v195, v3
	v_dot4c_i32_i8_e32 v4, v195, v11
	v_mad_u64_u32 v[2:3], s[16:17], v208, v153, v[2:3]
	v_mad_u64_u32 v[0:1], s[16:17], v205, v152, v[0:1]
	v_cvt_f32_i32_e32 v1, v0
	v_cvt_f32_i32_e32 v0, v2
	;; [unrolled: 1-line block ×4, first 2 shown]
	v_mov_b32_e32 v205, 0
	v_mov_b32_e32 v207, 0
	;; [unrolled: 1-line block ×3, first 2 shown]
	v_pk_mul_f32 v[2:3], v[138:139], v[2:3] op_sel_hi:[0,1]
	v_pk_fma_f32 v[0:1], v[136:137], v[0:1], v[2:3] op_sel_hi:[0,1,1] neg_lo:[0,0,1] neg_hi:[0,0,1]
	v_pk_fma_f32 v[134:135], v[154:155], v[0:1], v[134:135]
	ds_read2_b32 v[8:9], v147 offset0:64 offset1:96
	ds_read_b128 v[4:7], v145 offset:2048
	ds_read_b128 v[0:3], v145 offset:2064
	v_mov_b32_e32 v13, 0
	v_mov_b32_e32 v11, 0
	;; [unrolled: 1-line block ×3, first 2 shown]
	s_waitcnt lgkmcnt(1)
	v_dot4c_i32_i8_e32 v205, v194, v4
	v_dot4c_i32_i8_e32 v207, v199, v4
	v_dot4c_i32_i8_e32 v15, v203, v4
	v_dot4c_i32_i8_e32 v13, v204, v4
	v_dot4c_i32_i8_e32 v205, v194, v5
	v_dot4c_i32_i8_e32 v207, v199, v5
	v_dot4c_i32_i8_e32 v15, v203, v5
	v_dot4c_i32_i8_e32 v13, v204, v5
	v_dot4c_i32_i8_e32 v205, v194, v6
	v_dot4c_i32_i8_e32 v207, v199, v6
	v_dot4c_i32_i8_e32 v15, v203, v6
	v_dot4c_i32_i8_e32 v13, v204, v6
	v_dot4c_i32_i8_e32 v205, v194, v7
	v_mov_b32_e32 v206, 0
	v_dot4c_i32_i8_e32 v207, v199, v7
	v_mov_b32_e32 v208, 0
	v_mov_b32_e32 v14, 0
	v_dot4c_i32_i8_e32 v15, v203, v7
	v_mov_b32_e32 v209, 0
	;; [unrolled: 3-line block ×3, first 2 shown]
	v_dot4c_i32_i8_e32 v11, v182, v4
	s_waitcnt lgkmcnt(0)
	v_dot4c_i32_i8_e32 v10, v165, v0
	v_dot4c_i32_i8_e32 v205, v193, v0
	;; [unrolled: 1-line block ×47, first 2 shown]
	ds_read_b128 v[4:7], v145 offset:3072
	ds_read_b128 v[0:3], v145 offset:3088
	v_mov_b32_e32 v211, 0
	v_mov_b32_e32 v154, 0
	;; [unrolled: 1-line block ×3, first 2 shown]
	s_waitcnt lgkmcnt(1)
	v_dot4c_i32_i8_e32 v211, v194, v4
	v_dot4c_i32_i8_e32 v211, v194, v5
	;; [unrolled: 1-line block ×6, first 2 shown]
	s_waitcnt lgkmcnt(0)
	v_dot4c_i32_i8_e32 v155, v165, v0
	v_dot4c_i32_i8_e32 v154, v180, v6
	;; [unrolled: 1-line block ×9, first 2 shown]
	v_mul_lo_u32 v10, v10, v192
	v_mul_lo_u32 v154, v154, v191
	v_dot4c_i32_i8_e32 v211, v193, v3
	v_mad_u64_u32 v[154:155], s[16:17], v155, v192, v[154:155]
	v_mad_u64_u32 v[10:11], s[16:17], v11, v191, v[10:11]
	v_cvt_f32_i32_e32 v11, v10
	v_cvt_f32_i32_e32 v10, v154
	;; [unrolled: 1-line block ×4, first 2 shown]
	v_mov_b32_e32 v205, 0
	v_dot4c_i32_i8_e32 v205, v199, v4
	v_dot4c_i32_i8_e32 v205, v199, v5
	v_pk_mul_f32 v[154:155], v[142:143], v[154:155] op_sel_hi:[0,1]
	v_pk_fma_f32 v[154:155], v[140:141], v[10:11], v[154:155] op_sel_hi:[0,1,1] neg_lo:[0,0,1] neg_hi:[0,0,1]
	v_mov_b32_e32 v10, v9
	v_mov_b32_e32 v11, v8
	;; [unrolled: 1-line block ×3, first 2 shown]
	v_pk_fma_f32 v[110:111], v[10:11], v[154:155], v[110:111]
	v_dot4c_i32_i8_e32 v9, v179, v4
	v_dot4c_i32_i8_e32 v205, v199, v6
	v_mov_b32_e32 v155, 0
	v_dot4c_i32_i8_e32 v9, v171, v5
	v_dot4c_i32_i8_e32 v205, v199, v7
	;; [unrolled: 1-line block ×11, first 2 shown]
	v_mul_lo_u32 v8, v208, v197
	v_mul_lo_u32 v154, v9, v196
                                        ; kill: def $vgpr9 killed $sgpr0 killed $exec
	v_dot4c_i32_i8_e32 v205, v198, v3
	v_mad_u64_u32 v[154:155], s[16:17], v155, v197, v[154:155]
	v_mad_u64_u32 v[8:9], s[16:17], v206, v196, v[8:9]
	v_cvt_f32_i32_e32 v9, v8
	v_cvt_f32_i32_e32 v8, v154
	;; [unrolled: 1-line block ×4, first 2 shown]
	v_mov_b32_e32 v205, 0
	v_dot4c_i32_i8_e32 v205, v203, v4
	v_dot4c_i32_i8_e32 v205, v203, v5
	v_pk_mul_f32 v[154:155], v[146:147], v[154:155] op_sel_hi:[0,1]
	v_pk_fma_f32 v[8:9], v[144:145], v[8:9], v[154:155] op_sel_hi:[0,1,1] neg_lo:[0,0,1] neg_hi:[0,0,1]
	v_pk_fma_f32 v[118:119], v[10:11], v[8:9], v[118:119]
	v_mov_b32_e32 v9, 0
	v_dot4c_i32_i8_e32 v205, v203, v6
	v_dot4c_i32_i8_e32 v9, v186, v4
	;; [unrolled: 1-line block ×3, first 2 shown]
	v_mov_b32_e32 v155, 0
	v_dot4c_i32_i8_e32 v9, v183, v5
	v_dot4c_i32_i8_e32 v155, v172, v0
	;; [unrolled: 1-line block ×11, first 2 shown]
	v_mul_lo_u32 v8, v209, v201
	v_mul_lo_u32 v154, v9, v200
                                        ; kill: def $vgpr9 killed $sgpr0 killed $exec
	v_mad_u64_u32 v[154:155], s[16:17], v155, v201, v[154:155]
	v_mad_u64_u32 v[8:9], s[16:17], v14, v200, v[8:9]
	v_cvt_f32_i32_e32 v15, v15
	v_cvt_f32_i32_e32 v14, v205
	;; [unrolled: 1-line block ×4, first 2 shown]
	v_mov_b32_e32 v205, 0
	v_pk_mul_f32 v[14:15], v[150:151], v[14:15] op_sel_hi:[0,1]
	v_mov_b32_e32 v207, 0
	v_pk_fma_f32 v[8:9], v[148:149], v[8:9], v[14:15] op_sel_hi:[0,1,1] neg_lo:[0,0,1] neg_hi:[0,0,1]
	v_pk_fma_f32 v[126:127], v[10:11], v[8:9], v[126:127]
	v_mov_b32_e32 v9, 0
	v_dot4c_i32_i8_e32 v9, v204, v4
	v_mov_b32_e32 v8, 0
	v_dot4c_i32_i8_e32 v9, v204, v5
	v_dot4c_i32_i8_e32 v8, v190, v4
	;; [unrolled: 1-line block ×3, first 2 shown]
	v_mov_b32_e32 v4, 0
	v_dot4c_i32_i8_e32 v8, v187, v5
	v_dot4c_i32_i8_e32 v9, v204, v7
	;; [unrolled: 1-line block ×11, first 2 shown]
	v_mul_lo_u32 v0, v210, v153
	v_mul_lo_u32 v2, v8, v152
                                        ; kill: def $vgpr1 killed $sgpr0 killed $exec
	v_dot4c_i32_i8_e32 v9, v195, v3
	v_mad_u64_u32 v[2:3], s[16:17], v4, v153, v[2:3]
	v_mad_u64_u32 v[0:1], s[16:17], v12, v152, v[0:1]
	v_cvt_f32_i32_e32 v1, v0
	v_cvt_f32_i32_e32 v0, v2
	;; [unrolled: 1-line block ×4, first 2 shown]
	v_mov_b32_e32 v15, 0
	v_mov_b32_e32 v13, 0
	;; [unrolled: 1-line block ×3, first 2 shown]
	v_pk_mul_f32 v[2:3], v[138:139], v[2:3] op_sel_hi:[0,1]
	v_pk_fma_f32 v[0:1], v[136:137], v[0:1], v[2:3] op_sel_hi:[0,1,1] neg_lo:[0,0,1] neg_hi:[0,0,1]
	v_pk_fma_f32 v[132:133], v[10:11], v[0:1], v[132:133]
	ds_read2_b32 v[8:9], v147 offset0:128 offset1:160
	ds_read_b128 v[4:7], v145 offset:4096
	ds_read_b128 v[0:3], v145 offset:4112
	v_mov_b32_e32 v11, 0
	v_mov_b32_e32 v10, 0
	;; [unrolled: 1-line block ×3, first 2 shown]
	s_waitcnt lgkmcnt(1)
	v_dot4c_i32_i8_e32 v205, v194, v4
	v_dot4c_i32_i8_e32 v207, v199, v4
	;; [unrolled: 1-line block ×14, first 2 shown]
	v_mov_b32_e32 v14, 0
	v_dot4c_i32_i8_e32 v15, v203, v7
	v_mov_b32_e32 v209, 0
	v_mov_b32_e32 v12, 0
	v_dot4c_i32_i8_e32 v13, v204, v7
	v_mov_b32_e32 v210, 0
	v_dot4c_i32_i8_e32 v11, v182, v4
	s_waitcnt lgkmcnt(0)
	v_dot4c_i32_i8_e32 v10, v165, v0
	v_dot4c_i32_i8_e32 v205, v193, v0
	;; [unrolled: 1-line block ×47, first 2 shown]
	ds_read_b128 v[4:7], v145 offset:5120
	ds_read_b128 v[0:3], v145 offset:5136
	v_mov_b32_e32 v211, 0
	v_mov_b32_e32 v154, 0
	v_mov_b32_e32 v155, 0
	s_waitcnt lgkmcnt(1)
	v_dot4c_i32_i8_e32 v211, v194, v4
	v_dot4c_i32_i8_e32 v211, v194, v5
	;; [unrolled: 1-line block ×6, first 2 shown]
	s_waitcnt lgkmcnt(0)
	v_dot4c_i32_i8_e32 v155, v165, v0
	v_dot4c_i32_i8_e32 v154, v180, v6
	;; [unrolled: 1-line block ×9, first 2 shown]
	v_mul_lo_u32 v10, v10, v192
	v_mul_lo_u32 v154, v154, v191
	v_dot4c_i32_i8_e32 v211, v193, v3
	v_mad_u64_u32 v[154:155], s[16:17], v155, v192, v[154:155]
	v_mad_u64_u32 v[10:11], s[16:17], v11, v191, v[10:11]
	v_cvt_f32_i32_e32 v11, v10
	v_cvt_f32_i32_e32 v10, v154
	;; [unrolled: 1-line block ×4, first 2 shown]
	v_mov_b32_e32 v205, 0
	v_dot4c_i32_i8_e32 v205, v199, v4
	v_dot4c_i32_i8_e32 v205, v199, v5
	v_pk_mul_f32 v[154:155], v[142:143], v[154:155] op_sel_hi:[0,1]
	v_pk_fma_f32 v[154:155], v[140:141], v[10:11], v[154:155] op_sel_hi:[0,1,1] neg_lo:[0,0,1] neg_hi:[0,0,1]
	v_mov_b32_e32 v10, v9
	v_mov_b32_e32 v11, v8
	;; [unrolled: 1-line block ×3, first 2 shown]
	v_pk_fma_f32 v[106:107], v[10:11], v[154:155], v[106:107]
	v_dot4c_i32_i8_e32 v9, v179, v4
	v_dot4c_i32_i8_e32 v205, v199, v6
	v_mov_b32_e32 v155, 0
	v_dot4c_i32_i8_e32 v9, v171, v5
	v_dot4c_i32_i8_e32 v205, v199, v7
	;; [unrolled: 1-line block ×11, first 2 shown]
	v_mul_lo_u32 v8, v208, v197
	v_mul_lo_u32 v154, v9, v196
                                        ; kill: def $vgpr9 killed $sgpr0 killed $exec
	v_dot4c_i32_i8_e32 v205, v198, v3
	v_mad_u64_u32 v[154:155], s[16:17], v155, v197, v[154:155]
	v_mad_u64_u32 v[8:9], s[16:17], v206, v196, v[8:9]
	v_cvt_f32_i32_e32 v9, v8
	v_cvt_f32_i32_e32 v8, v154
	;; [unrolled: 1-line block ×4, first 2 shown]
	v_mov_b32_e32 v205, 0
	v_dot4c_i32_i8_e32 v205, v203, v4
	v_dot4c_i32_i8_e32 v205, v203, v5
	v_pk_mul_f32 v[154:155], v[146:147], v[154:155] op_sel_hi:[0,1]
	v_pk_fma_f32 v[8:9], v[144:145], v[8:9], v[154:155] op_sel_hi:[0,1,1] neg_lo:[0,0,1] neg_hi:[0,0,1]
	v_pk_fma_f32 v[112:113], v[10:11], v[8:9], v[112:113]
	v_mov_b32_e32 v9, 0
	v_dot4c_i32_i8_e32 v205, v203, v6
	v_dot4c_i32_i8_e32 v9, v186, v4
	;; [unrolled: 1-line block ×3, first 2 shown]
	v_mov_b32_e32 v155, 0
	v_dot4c_i32_i8_e32 v9, v183, v5
	v_dot4c_i32_i8_e32 v155, v172, v0
	;; [unrolled: 1-line block ×11, first 2 shown]
	v_mul_lo_u32 v8, v209, v201
	v_mul_lo_u32 v154, v9, v200
                                        ; kill: def $vgpr9 killed $sgpr0 killed $exec
	v_mad_u64_u32 v[154:155], s[16:17], v155, v201, v[154:155]
	v_mad_u64_u32 v[8:9], s[16:17], v14, v200, v[8:9]
	v_cvt_f32_i32_e32 v15, v15
	v_cvt_f32_i32_e32 v14, v205
	;; [unrolled: 1-line block ×4, first 2 shown]
	v_mov_b32_e32 v155, 0
	v_pk_mul_f32 v[14:15], v[150:151], v[14:15] op_sel_hi:[0,1]
	v_mov_b32_e32 v206, 0
	v_pk_fma_f32 v[8:9], v[148:149], v[8:9], v[14:15] op_sel_hi:[0,1,1] neg_lo:[0,0,1] neg_hi:[0,0,1]
	v_pk_fma_f32 v[120:121], v[10:11], v[8:9], v[120:121]
	v_mov_b32_e32 v9, 0
	v_dot4c_i32_i8_e32 v9, v204, v4
	v_mov_b32_e32 v8, 0
	v_dot4c_i32_i8_e32 v9, v204, v5
	v_dot4c_i32_i8_e32 v8, v190, v4
	;; [unrolled: 1-line block ×3, first 2 shown]
	v_mov_b32_e32 v4, 0
	v_dot4c_i32_i8_e32 v8, v187, v5
	v_dot4c_i32_i8_e32 v9, v204, v7
	v_dot4c_i32_i8_e32 v4, v159, v0
	v_dot4c_i32_i8_e32 v8, v188, v6
	v_dot4c_i32_i8_e32 v9, v195, v0
	v_dot4c_i32_i8_e32 v4, v160, v1
	v_dot4c_i32_i8_e32 v8, v189, v7
	v_dot4c_i32_i8_e32 v9, v195, v1
	v_dot4c_i32_i8_e32 v4, v161, v2
	v_dot4c_i32_i8_e32 v9, v195, v2
	v_dot4c_i32_i8_e32 v4, v162, v3
	v_mul_lo_u32 v0, v210, v153
	v_mul_lo_u32 v2, v8, v152
                                        ; kill: def $vgpr1 killed $sgpr0 killed $exec
	v_dot4c_i32_i8_e32 v9, v195, v3
	v_mad_u64_u32 v[2:3], s[16:17], v4, v153, v[2:3]
	v_mad_u64_u32 v[0:1], s[16:17], v12, v152, v[0:1]
	v_cvt_f32_i32_e32 v1, v0
	v_cvt_f32_i32_e32 v0, v2
	;; [unrolled: 1-line block ×4, first 2 shown]
	v_mov_b32_e32 v154, 0
	v_mov_b32_e32 v13, 0
	;; [unrolled: 1-line block ×3, first 2 shown]
	v_pk_mul_f32 v[2:3], v[138:139], v[2:3] op_sel_hi:[0,1]
	v_pk_fma_f32 v[0:1], v[136:137], v[0:1], v[2:3] op_sel_hi:[0,1,1] neg_lo:[0,0,1] neg_hi:[0,0,1]
	v_pk_fma_f32 v[128:129], v[10:11], v[0:1], v[128:129]
	ds_read2_b32 v[10:11], v147 offset0:192 offset1:224
	ds_read_b128 v[4:7], v145 offset:6144
	ds_read_b128 v[0:3], v145 offset:6160
	v_mov_b32_e32 v8, 0
	v_mov_b32_e32 v205, 0
	;; [unrolled: 1-line block ×3, first 2 shown]
	s_waitcnt lgkmcnt(1)
	v_dot4c_i32_i8_e32 v155, v194, v4
	v_dot4c_i32_i8_e32 v206, v199, v4
	;; [unrolled: 1-line block ×14, first 2 shown]
	v_mov_b32_e32 v15, 0
	v_dot4c_i32_i8_e32 v154, v203, v7
	v_mov_b32_e32 v208, 0
	v_mov_b32_e32 v12, 0
	v_dot4c_i32_i8_e32 v13, v204, v7
	v_mov_b32_e32 v14, 0
	v_dot4c_i32_i8_e32 v9, v182, v4
	s_waitcnt lgkmcnt(0)
	v_dot4c_i32_i8_e32 v8, v165, v0
	v_dot4c_i32_i8_e32 v155, v193, v0
	;; [unrolled: 1-line block ×47, first 2 shown]
	ds_read_b128 v[4:7], v145 offset:7168
	ds_read_b128 v[0:3], v145 offset:7184
	v_mov_b32_e32 v209, 0
	v_mul_lo_u32 v8, v8, v192
	v_mad_u64_u32 v[8:9], s[16:17], v9, v191, v[8:9]
	s_waitcnt lgkmcnt(1)
	v_dot4c_i32_i8_e32 v209, v182, v4
	v_mov_b32_e32 v182, 0
	v_dot4c_i32_i8_e32 v182, v194, v4
	v_dot4c_i32_i8_e32 v182, v194, v5
	;; [unrolled: 1-line block ×4, first 2 shown]
	v_mov_b32_e32 v178, 0
	v_dot4c_i32_i8_e32 v182, v194, v7
	s_waitcnt lgkmcnt(0)
	v_dot4c_i32_i8_e32 v178, v165, v0
	v_dot4c_i32_i8_e32 v209, v180, v6
	;; [unrolled: 1-line block ×9, first 2 shown]
	v_mul_lo_u32 v166, v209, v191
	v_dot4c_i32_i8_e32 v182, v193, v3
	v_cvt_f32_i32_e32 v9, v8
	v_mad_u64_u32 v[180:181], s[16:17], v178, v192, v[166:167]
	v_cvt_f32_i32_e32 v8, v180
	v_cvt_f32_i32_e32 v181, v155
	;; [unrolled: 1-line block ×3, first 2 shown]
	v_mov_b32_e32 v155, 0
	v_dot4c_i32_i8_e32 v155, v163, v0
	v_dot4c_i32_i8_e32 v155, v164, v1
	v_pk_mul_f32 v[180:181], v[142:143], v[180:181] op_sel_hi:[0,1]
	v_mov_b32_e32 v142, 0
	v_dot4c_i32_i8_e32 v142, v199, v4
	v_pk_fma_f32 v[180:181], v[140:141], v[8:9], v[180:181] op_sel_hi:[0,1,1] neg_lo:[0,0,1] neg_hi:[0,0,1]
	v_mov_b32_e32 v8, v11
	v_mov_b32_e32 v11, 0
	v_dot4c_i32_i8_e32 v142, v199, v5
	v_dot4c_i32_i8_e32 v11, v179, v4
	;; [unrolled: 1-line block ×10, first 2 shown]
	v_mov_b32_e32 v9, v10
	v_dot4c_i32_i8_e32 v142, v198, v2
	v_dot4c_i32_i8_e32 v155, v168, v3
	v_mul_lo_u32 v10, v207, v197
	v_mul_lo_u32 v140, v11, v196
                                        ; kill: def $vgpr11 killed $sgpr0 killed $exec
	v_dot4c_i32_i8_e32 v142, v198, v3
	v_mad_u64_u32 v[164:165], s[16:17], v155, v197, v[140:141]
	v_mad_u64_u32 v[10:11], s[16:17], v205, v196, v[10:11]
	v_cvt_f32_i32_e32 v11, v10
	v_cvt_f32_i32_e32 v10, v164
	;; [unrolled: 1-line block ×4, first 2 shown]
	v_mov_b32_e32 v142, 0
	v_dot4c_i32_i8_e32 v142, v203, v4
	v_dot4c_i32_i8_e32 v142, v203, v5
	v_pk_mul_f32 v[164:165], v[146:147], v[164:165] op_sel_hi:[0,1]
	v_pk_fma_f32 v[10:11], v[144:145], v[10:11], v[164:165] op_sel_hi:[0,1,1] neg_lo:[0,0,1] neg_hi:[0,0,1]
	v_pk_fma_f32 v[108:109], v[8:9], v[10:11], v[108:109]
	v_mov_b32_e32 v11, 0
	v_dot4c_i32_i8_e32 v142, v203, v6
	v_dot4c_i32_i8_e32 v11, v186, v4
	;; [unrolled: 1-line block ×3, first 2 shown]
	v_mov_b32_e32 v144, 0
	v_dot4c_i32_i8_e32 v11, v183, v5
	v_dot4c_i32_i8_e32 v144, v172, v0
	;; [unrolled: 1-line block ×11, first 2 shown]
	v_mul_lo_u32 v10, v208, v201
	v_mul_lo_u32 v140, v11, v200
                                        ; kill: def $vgpr11 killed $sgpr0 killed $exec
	v_mad_u64_u32 v[164:165], s[16:17], v144, v201, v[140:141]
	v_mad_u64_u32 v[10:11], s[16:17], v15, v200, v[10:11]
	v_cvt_f32_i32_e32 v155, v154
	v_cvt_f32_i32_e32 v154, v142
	;; [unrolled: 1-line block ×4, first 2 shown]
	v_pk_fma_f32 v[104:105], v[8:9], v[180:181], v[104:105]
	v_pk_mul_f32 v[154:155], v[150:151], v[154:155] op_sel_hi:[0,1]
	v_add_u32_e32 v147, 4, v147
	v_pk_fma_f32 v[10:11], v[148:149], v[10:11], v[154:155] op_sel_hi:[0,1,1] neg_lo:[0,0,1] neg_hi:[0,0,1]
	v_pk_fma_f32 v[114:115], v[8:9], v[10:11], v[114:115]
	v_mov_b32_e32 v11, 0
	v_dot4c_i32_i8_e32 v11, v204, v4
	v_mov_b32_e32 v10, 0
	v_dot4c_i32_i8_e32 v11, v204, v5
	v_dot4c_i32_i8_e32 v10, v190, v4
	;; [unrolled: 1-line block ×3, first 2 shown]
	v_mov_b32_e32 v4, 0
	v_dot4c_i32_i8_e32 v10, v187, v5
	v_dot4c_i32_i8_e32 v11, v204, v7
	;; [unrolled: 1-line block ×11, first 2 shown]
	v_mul_lo_u32 v0, v14, v153
	v_mul_lo_u32 v2, v10, v152
                                        ; kill: def $vgpr1 killed $sgpr0 killed $exec
	v_dot4c_i32_i8_e32 v11, v195, v3
	v_mad_u64_u32 v[2:3], s[16:17], v4, v153, v[2:3]
	v_mad_u64_u32 v[0:1], s[16:17], v12, v152, v[0:1]
	v_cvt_f32_i32_e32 v1, v0
	v_cvt_f32_i32_e32 v0, v2
	;; [unrolled: 1-line block ×4, first 2 shown]
	v_add_u32_e32 v145, 32, v145
	v_pk_mul_f32 v[2:3], v[138:139], v[2:3] op_sel_hi:[0,1]
	v_pk_fma_f32 v[0:1], v[136:137], v[0:1], v[2:3] op_sel_hi:[0,1,1] neg_lo:[0,0,1] neg_hi:[0,0,1]
	v_pk_fma_f32 v[122:123], v[8:9], v[0:1], v[122:123]
	s_cbranch_scc1 .LBB148_14
; %bb.15:                               ;   in Loop: Header=BB148_6 Depth=1
	s_barrier
	s_branch .LBB148_5
.LBB148_16:
	v_cvt_pk_f16_f32 v21, v58, v59
	v_cvt_pk_f16_f32 v20, v124, v125
	;; [unrolled: 1-line block ×16, first 2 shown]
	v_mov_b32_e32 v5, v61
.LBB148_17:
	v_cmp_gt_u32_e32 vcc, s10, v19
	s_and_saveexec_b64 s[0:1], vcc
	s_cbranch_execz .LBB148_68
; %bb.18:
	v_add_u32_e32 v0, s6, v45
	v_mul_lo_u32 v19, v19, s14
	v_cmp_gt_u32_e32 vcc, s14, v0
	s_and_saveexec_b64 s[0:1], vcc
	s_cbranch_execz .LBB148_20
; %bb.19:
	v_add_u32_e32 v6, v0, v19
	v_mov_b32_e32 v7, 0
	s_waitcnt lgkmcnt(0)
	v_lshl_add_u64 v[6:7], v[6:7], 1, s[12:13]
	global_store_short_d16_hi v[6:7], v21, off
.LBB148_20:
	s_or_b64 exec, exec, s[0:1]
	v_add_u32_e32 v6, 32, v0
	v_cmp_gt_u32_e64 s[0:1], s14, v6
	s_and_saveexec_b64 s[2:3], s[0:1]
	s_cbranch_execz .LBB148_22
; %bb.21:
	v_add_u32_e32 v22, v6, v19
	v_mov_b32_e32 v23, 0
	s_waitcnt lgkmcnt(0)
	v_lshl_add_u64 v[22:23], v[22:23], 1, s[12:13]
	global_store_short_d16_hi v[22:23], v20, off
.LBB148_22:
	s_or_b64 exec, exec, s[2:3]
	v_add_u32_e32 v7, 64, v0
	v_cmp_gt_u32_e64 s[2:3], s14, v7
	s_and_saveexec_b64 s[4:5], s[2:3]
	;; [unrolled: 12-line block ×3, first 2 shown]
	s_cbranch_execz .LBB148_26
; %bb.25:
	v_add_u32_e32 v22, v8, v19
	v_mov_b32_e32 v23, 0
	s_waitcnt lgkmcnt(0)
	v_lshl_add_u64 v[22:23], v[22:23], 1, s[12:13]
	global_store_short_d16_hi v[22:23], v17, off
.LBB148_26:
	s_or_b64 exec, exec, s[6:7]
	v_add3_u32 v19, v5, s15, 8
	v_cmp_gt_u32_e64 s[6:7], s10, v19
	s_and_b64 exec, exec, s[6:7]
	s_cbranch_execz .LBB148_68
; %bb.27:
	v_mul_lo_u32 v19, v19, s14
	s_and_saveexec_b64 s[6:7], vcc
	s_cbranch_execnz .LBB148_69
; %bb.28:
	s_or_b64 exec, exec, s[6:7]
	s_and_saveexec_b64 s[6:7], s[0:1]
	s_cbranch_execnz .LBB148_70
.LBB148_29:
	s_or_b64 exec, exec, s[6:7]
	s_and_saveexec_b64 s[6:7], s[2:3]
	s_cbranch_execnz .LBB148_71
.LBB148_30:
	s_or_b64 exec, exec, s[6:7]
	s_and_saveexec_b64 s[6:7], s[4:5]
	s_cbranch_execz .LBB148_32
.LBB148_31:
	v_add_u32_e32 v18, v19, v8
	v_mov_b32_e32 v19, 0
	s_waitcnt lgkmcnt(0)
	v_lshl_add_u64 v[18:19], v[18:19], 1, s[12:13]
	global_store_short v[18:19], v17, off
.LBB148_32:
	s_or_b64 exec, exec, s[6:7]
	v_add3_u32 v17, v5, s15, 16
	v_cmp_gt_u32_e64 s[6:7], s10, v17
	s_and_b64 exec, exec, s[6:7]
	s_cbranch_execz .LBB148_68
; %bb.33:
	v_mul_lo_u32 v17, v17, s14
	s_and_saveexec_b64 s[6:7], vcc
	s_cbranch_execnz .LBB148_72
; %bb.34:
	s_or_b64 exec, exec, s[6:7]
	s_and_saveexec_b64 s[6:7], s[0:1]
	s_cbranch_execnz .LBB148_73
.LBB148_35:
	s_or_b64 exec, exec, s[6:7]
	s_and_saveexec_b64 s[6:7], s[2:3]
	s_cbranch_execnz .LBB148_74
.LBB148_36:
	s_or_b64 exec, exec, s[6:7]
	s_and_saveexec_b64 s[6:7], s[4:5]
	s_cbranch_execz .LBB148_38
.LBB148_37:
	v_add_u32_e32 v18, v17, v8
	v_mov_b32_e32 v19, 0
	s_waitcnt lgkmcnt(0)
	v_lshl_add_u64 v[18:19], v[18:19], 1, s[12:13]
	global_store_short_d16_hi v[18:19], v13, off
.LBB148_38:
	s_or_b64 exec, exec, s[6:7]
	v_add3_u32 v17, v5, s15, 24
	v_cmp_gt_u32_e64 s[6:7], s10, v17
	s_and_b64 exec, exec, s[6:7]
	s_cbranch_execz .LBB148_68
; %bb.39:
	v_mul_lo_u32 v17, v17, s14
	s_and_saveexec_b64 s[6:7], vcc
	s_cbranch_execnz .LBB148_75
; %bb.40:
	s_or_b64 exec, exec, s[6:7]
	s_and_saveexec_b64 s[6:7], s[0:1]
	s_cbranch_execnz .LBB148_76
.LBB148_41:
	s_or_b64 exec, exec, s[6:7]
	s_and_saveexec_b64 s[6:7], s[2:3]
	s_cbranch_execnz .LBB148_77
.LBB148_42:
	s_or_b64 exec, exec, s[6:7]
	s_and_saveexec_b64 s[6:7], s[4:5]
	s_cbranch_execz .LBB148_44
.LBB148_43:
	v_add_u32_e32 v14, v17, v8
	v_mov_b32_e32 v15, 0
	s_waitcnt lgkmcnt(0)
	v_lshl_add_u64 v[14:15], v[14:15], 1, s[12:13]
	global_store_short v[14:15], v13, off
.LBB148_44:
	s_or_b64 exec, exec, s[6:7]
	v_add3_u32 v13, v5, s15, 32
	v_cmp_gt_u32_e64 s[6:7], s10, v13
	s_and_b64 exec, exec, s[6:7]
	s_cbranch_execz .LBB148_68
; %bb.45:
	v_mul_lo_u32 v13, v13, s14
	s_and_saveexec_b64 s[6:7], vcc
	s_cbranch_execnz .LBB148_78
; %bb.46:
	s_or_b64 exec, exec, s[6:7]
	s_and_saveexec_b64 s[6:7], s[0:1]
	s_cbranch_execnz .LBB148_79
.LBB148_47:
	s_or_b64 exec, exec, s[6:7]
	s_and_saveexec_b64 s[6:7], s[2:3]
	s_cbranch_execnz .LBB148_80
.LBB148_48:
	s_or_b64 exec, exec, s[6:7]
	s_and_saveexec_b64 s[6:7], s[4:5]
	s_cbranch_execz .LBB148_50
.LBB148_49:
	v_add_u32_e32 v14, v13, v8
	v_mov_b32_e32 v15, 0
	s_waitcnt lgkmcnt(0)
	v_lshl_add_u64 v[14:15], v[14:15], 1, s[12:13]
	global_store_short_d16_hi v[14:15], v9, off
.LBB148_50:
	s_or_b64 exec, exec, s[6:7]
	v_add3_u32 v13, v5, s15, 40
	v_cmp_gt_u32_e64 s[6:7], s10, v13
	s_and_b64 exec, exec, s[6:7]
	s_cbranch_execz .LBB148_68
; %bb.51:
	v_mul_lo_u32 v13, v13, s14
	s_and_saveexec_b64 s[6:7], vcc
	s_cbranch_execnz .LBB148_81
; %bb.52:
	s_or_b64 exec, exec, s[6:7]
	s_and_saveexec_b64 s[6:7], s[0:1]
	s_cbranch_execnz .LBB148_82
.LBB148_53:
	s_or_b64 exec, exec, s[6:7]
	s_and_saveexec_b64 s[6:7], s[2:3]
	s_cbranch_execnz .LBB148_83
.LBB148_54:
	s_or_b64 exec, exec, s[6:7]
	s_and_saveexec_b64 s[6:7], s[4:5]
	s_cbranch_execz .LBB148_56
.LBB148_55:
	v_add_u32_e32 v10, v13, v8
	v_mov_b32_e32 v11, 0
	s_waitcnt lgkmcnt(0)
	v_lshl_add_u64 v[10:11], v[10:11], 1, s[12:13]
	global_store_short v[10:11], v9, off
.LBB148_56:
	s_or_b64 exec, exec, s[6:7]
	v_add3_u32 v9, v5, s15, 48
	v_cmp_gt_u32_e64 s[6:7], s10, v9
	s_and_b64 exec, exec, s[6:7]
	s_cbranch_execz .LBB148_68
; %bb.57:
	v_mul_lo_u32 v9, v9, s14
	s_and_saveexec_b64 s[6:7], vcc
	s_cbranch_execnz .LBB148_84
; %bb.58:
	s_or_b64 exec, exec, s[6:7]
	s_and_saveexec_b64 s[6:7], s[0:1]
	s_cbranch_execnz .LBB148_85
.LBB148_59:
	s_or_b64 exec, exec, s[6:7]
	s_and_saveexec_b64 s[6:7], s[2:3]
	s_cbranch_execnz .LBB148_86
.LBB148_60:
	s_or_b64 exec, exec, s[6:7]
	s_and_saveexec_b64 s[6:7], s[4:5]
	s_cbranch_execz .LBB148_62
.LBB148_61:
	v_add_u32_e32 v10, v9, v8
	v_mov_b32_e32 v11, 0
	s_waitcnt lgkmcnt(0)
	v_lshl_add_u64 v[10:11], v[10:11], 1, s[12:13]
	global_store_short_d16_hi v[10:11], v1, off
.LBB148_62:
	s_or_b64 exec, exec, s[6:7]
	v_add3_u32 v5, v5, s15, 56
	v_cmp_gt_u32_e64 s[6:7], s10, v5
	s_and_b64 exec, exec, s[6:7]
	s_cbranch_execz .LBB148_68
; %bb.63:
	v_mul_lo_u32 v5, v5, s14
	s_and_saveexec_b64 s[6:7], vcc
	s_cbranch_execnz .LBB148_87
; %bb.64:
	s_or_b64 exec, exec, s[6:7]
	s_and_saveexec_b64 s[6:7], s[0:1]
	s_cbranch_execnz .LBB148_88
.LBB148_65:
	s_or_b64 exec, exec, s[6:7]
	s_and_saveexec_b64 s[0:1], s[2:3]
	s_cbranch_execnz .LBB148_89
.LBB148_66:
	s_or_b64 exec, exec, s[0:1]
	s_and_b64 exec, exec, s[4:5]
	s_cbranch_execz .LBB148_68
.LBB148_67:
	v_add_u32_e32 v2, v5, v8
	v_mov_b32_e32 v3, 0
	s_waitcnt lgkmcnt(0)
	v_lshl_add_u64 v[2:3], v[2:3], 1, s[12:13]
	global_store_short v[2:3], v1, off
.LBB148_68:
	s_endpgm
.LBB148_69:
	v_add_u32_e32 v22, v19, v0
	v_mov_b32_e32 v23, 0
	s_waitcnt lgkmcnt(0)
	v_lshl_add_u64 v[22:23], v[22:23], 1, s[12:13]
	global_store_short v[22:23], v21, off
	s_or_b64 exec, exec, s[6:7]
	s_and_saveexec_b64 s[6:7], s[0:1]
	s_cbranch_execz .LBB148_29
.LBB148_70:
	v_add_u32_e32 v22, v19, v6
	v_mov_b32_e32 v23, 0
	s_waitcnt lgkmcnt(0)
	v_lshl_add_u64 v[22:23], v[22:23], 1, s[12:13]
	global_store_short v[22:23], v20, off
	s_or_b64 exec, exec, s[6:7]
	s_and_saveexec_b64 s[6:7], s[2:3]
	s_cbranch_execz .LBB148_30
.LBB148_71:
	v_add_u32_e32 v20, v19, v7
	v_mov_b32_e32 v21, 0
	s_waitcnt lgkmcnt(0)
	v_lshl_add_u64 v[20:21], v[20:21], 1, s[12:13]
	global_store_short v[20:21], v18, off
	s_or_b64 exec, exec, s[6:7]
	s_and_saveexec_b64 s[6:7], s[4:5]
	s_cbranch_execnz .LBB148_31
	s_branch .LBB148_32
.LBB148_72:
	v_add_u32_e32 v18, v17, v0
	v_mov_b32_e32 v19, 0
	s_waitcnt lgkmcnt(0)
	v_lshl_add_u64 v[18:19], v[18:19], 1, s[12:13]
	global_store_short_d16_hi v[18:19], v16, off
	s_or_b64 exec, exec, s[6:7]
	s_and_saveexec_b64 s[6:7], s[0:1]
	s_cbranch_execz .LBB148_35
.LBB148_73:
	v_add_u32_e32 v18, v17, v6
	v_mov_b32_e32 v19, 0
	s_waitcnt lgkmcnt(0)
	v_lshl_add_u64 v[18:19], v[18:19], 1, s[12:13]
	global_store_short_d16_hi v[18:19], v15, off
	s_or_b64 exec, exec, s[6:7]
	s_and_saveexec_b64 s[6:7], s[2:3]
	s_cbranch_execz .LBB148_36
.LBB148_74:
	v_add_u32_e32 v18, v17, v7
	v_mov_b32_e32 v19, 0
	s_waitcnt lgkmcnt(0)
	v_lshl_add_u64 v[18:19], v[18:19], 1, s[12:13]
	global_store_short_d16_hi v[18:19], v14, off
	s_or_b64 exec, exec, s[6:7]
	s_and_saveexec_b64 s[6:7], s[4:5]
	s_cbranch_execnz .LBB148_37
	s_branch .LBB148_38
.LBB148_75:
	v_add_u32_e32 v18, v17, v0
	v_mov_b32_e32 v19, 0
	s_waitcnt lgkmcnt(0)
	v_lshl_add_u64 v[18:19], v[18:19], 1, s[12:13]
	global_store_short v[18:19], v16, off
	s_or_b64 exec, exec, s[6:7]
	s_and_saveexec_b64 s[6:7], s[0:1]
	s_cbranch_execz .LBB148_41
.LBB148_76:
	v_add_u32_e32 v18, v17, v6
	v_mov_b32_e32 v19, 0
	s_waitcnt lgkmcnt(0)
	v_lshl_add_u64 v[18:19], v[18:19], 1, s[12:13]
	global_store_short v[18:19], v15, off
	s_or_b64 exec, exec, s[6:7]
	s_and_saveexec_b64 s[6:7], s[2:3]
	s_cbranch_execz .LBB148_42
.LBB148_77:
	v_add_u32_e32 v18, v17, v7
	v_mov_b32_e32 v19, 0
	s_waitcnt lgkmcnt(0)
	v_lshl_add_u64 v[18:19], v[18:19], 1, s[12:13]
	global_store_short v[18:19], v14, off
	s_or_b64 exec, exec, s[6:7]
	s_and_saveexec_b64 s[6:7], s[4:5]
	s_cbranch_execnz .LBB148_43
	s_branch .LBB148_44
.LBB148_78:
	v_add_u32_e32 v14, v13, v0
	v_mov_b32_e32 v15, 0
	s_waitcnt lgkmcnt(0)
	v_lshl_add_u64 v[14:15], v[14:15], 1, s[12:13]
	global_store_short_d16_hi v[14:15], v12, off
	s_or_b64 exec, exec, s[6:7]
	s_and_saveexec_b64 s[6:7], s[0:1]
	s_cbranch_execz .LBB148_47
.LBB148_79:
	v_add_u32_e32 v14, v13, v6
	v_mov_b32_e32 v15, 0
	s_waitcnt lgkmcnt(0)
	v_lshl_add_u64 v[14:15], v[14:15], 1, s[12:13]
	global_store_short_d16_hi v[14:15], v11, off
	s_or_b64 exec, exec, s[6:7]
	s_and_saveexec_b64 s[6:7], s[2:3]
	s_cbranch_execz .LBB148_48
.LBB148_80:
	v_add_u32_e32 v14, v13, v7
	v_mov_b32_e32 v15, 0
	s_waitcnt lgkmcnt(0)
	v_lshl_add_u64 v[14:15], v[14:15], 1, s[12:13]
	global_store_short_d16_hi v[14:15], v10, off
	s_or_b64 exec, exec, s[6:7]
	s_and_saveexec_b64 s[6:7], s[4:5]
	s_cbranch_execnz .LBB148_49
	s_branch .LBB148_50
.LBB148_81:
	v_add_u32_e32 v14, v13, v0
	v_mov_b32_e32 v15, 0
	s_waitcnt lgkmcnt(0)
	v_lshl_add_u64 v[14:15], v[14:15], 1, s[12:13]
	global_store_short v[14:15], v12, off
	s_or_b64 exec, exec, s[6:7]
	s_and_saveexec_b64 s[6:7], s[0:1]
	s_cbranch_execz .LBB148_53
.LBB148_82:
	v_add_u32_e32 v14, v13, v6
	v_mov_b32_e32 v15, 0
	s_waitcnt lgkmcnt(0)
	v_lshl_add_u64 v[14:15], v[14:15], 1, s[12:13]
	global_store_short v[14:15], v11, off
	s_or_b64 exec, exec, s[6:7]
	s_and_saveexec_b64 s[6:7], s[2:3]
	s_cbranch_execz .LBB148_54
.LBB148_83:
	v_add_u32_e32 v14, v13, v7
	v_mov_b32_e32 v15, 0
	s_waitcnt lgkmcnt(0)
	v_lshl_add_u64 v[14:15], v[14:15], 1, s[12:13]
	global_store_short v[14:15], v10, off
	s_or_b64 exec, exec, s[6:7]
	s_and_saveexec_b64 s[6:7], s[4:5]
	s_cbranch_execnz .LBB148_55
	s_branch .LBB148_56
.LBB148_84:
	v_add_u32_e32 v10, v9, v0
	v_mov_b32_e32 v11, 0
	s_waitcnt lgkmcnt(0)
	v_lshl_add_u64 v[10:11], v[10:11], 1, s[12:13]
	global_store_short_d16_hi v[10:11], v4, off
	s_or_b64 exec, exec, s[6:7]
	s_and_saveexec_b64 s[6:7], s[0:1]
	s_cbranch_execz .LBB148_59
.LBB148_85:
	v_add_u32_e32 v10, v9, v6
	v_mov_b32_e32 v11, 0
	s_waitcnt lgkmcnt(0)
	v_lshl_add_u64 v[10:11], v[10:11], 1, s[12:13]
	global_store_short_d16_hi v[10:11], v3, off
	s_or_b64 exec, exec, s[6:7]
	s_and_saveexec_b64 s[6:7], s[2:3]
	s_cbranch_execz .LBB148_60
.LBB148_86:
	v_add_u32_e32 v10, v9, v7
	v_mov_b32_e32 v11, 0
	s_waitcnt lgkmcnt(0)
	v_lshl_add_u64 v[10:11], v[10:11], 1, s[12:13]
	global_store_short_d16_hi v[10:11], v2, off
	s_or_b64 exec, exec, s[6:7]
	s_and_saveexec_b64 s[6:7], s[4:5]
	s_cbranch_execnz .LBB148_61
	s_branch .LBB148_62
.LBB148_87:
	v_add_u32_e32 v10, v5, v0
	v_mov_b32_e32 v11, 0
	s_waitcnt lgkmcnt(0)
	v_lshl_add_u64 v[10:11], v[10:11], 1, s[12:13]
	global_store_short v[10:11], v4, off
	s_or_b64 exec, exec, s[6:7]
	s_and_saveexec_b64 s[6:7], s[0:1]
	s_cbranch_execz .LBB148_65
.LBB148_88:
	v_add_u32_e32 v10, v5, v6
	v_mov_b32_e32 v11, 0
	s_waitcnt lgkmcnt(0)
	v_lshl_add_u64 v[10:11], v[10:11], 1, s[12:13]
	global_store_short v[10:11], v3, off
	s_or_b64 exec, exec, s[6:7]
	s_and_saveexec_b64 s[0:1], s[2:3]
	s_cbranch_execz .LBB148_66
.LBB148_89:
	v_add_u32_e32 v6, v5, v7
	v_mov_b32_e32 v7, 0
	s_waitcnt lgkmcnt(0)
	v_lshl_add_u64 v[6:7], v[6:7], 1, s[12:13]
	global_store_short v[6:7], v2, off
	s_or_b64 exec, exec, s[0:1]
	s_and_b64 exec, exec, s[4:5]
	s_cbranch_execnz .LBB148_67
	s_branch .LBB148_68
	.section	.rodata,"a",@progbits
	.p2align	6, 0x0
	.amdhsa_kernel _ZL12mul_mat_q2_KIN3c104HalfELb1EEvPKvS3_PT_iiiii
		.amdhsa_group_segment_fixed_size 31392
		.amdhsa_private_segment_fixed_size 0
		.amdhsa_kernarg_size 44
		.amdhsa_user_sgpr_count 2
		.amdhsa_user_sgpr_dispatch_ptr 0
		.amdhsa_user_sgpr_queue_ptr 0
		.amdhsa_user_sgpr_kernarg_segment_ptr 1
		.amdhsa_user_sgpr_dispatch_id 0
		.amdhsa_user_sgpr_kernarg_preload_length 0
		.amdhsa_user_sgpr_kernarg_preload_offset 0
		.amdhsa_user_sgpr_private_segment_size 0
		.amdhsa_uses_dynamic_stack 0
		.amdhsa_enable_private_segment 0
		.amdhsa_system_sgpr_workgroup_id_x 1
		.amdhsa_system_sgpr_workgroup_id_y 1
		.amdhsa_system_sgpr_workgroup_id_z 0
		.amdhsa_system_sgpr_workgroup_info 0
		.amdhsa_system_vgpr_workitem_id 1
		.amdhsa_next_free_vgpr 215
		.amdhsa_next_free_sgpr 96
		.amdhsa_accum_offset 216
		.amdhsa_reserve_vcc 1
		.amdhsa_float_round_mode_32 0
		.amdhsa_float_round_mode_16_64 0
		.amdhsa_float_denorm_mode_32 3
		.amdhsa_float_denorm_mode_16_64 3
		.amdhsa_dx10_clamp 1
		.amdhsa_ieee_mode 1
		.amdhsa_fp16_overflow 0
		.amdhsa_tg_split 0
		.amdhsa_exception_fp_ieee_invalid_op 0
		.amdhsa_exception_fp_denorm_src 0
		.amdhsa_exception_fp_ieee_div_zero 0
		.amdhsa_exception_fp_ieee_overflow 0
		.amdhsa_exception_fp_ieee_underflow 0
		.amdhsa_exception_fp_ieee_inexact 0
		.amdhsa_exception_int_div_zero 0
	.end_amdhsa_kernel
	.section	.text._ZL12mul_mat_q2_KIN3c104HalfELb1EEvPKvS3_PT_iiiii,"axG",@progbits,_ZL12mul_mat_q2_KIN3c104HalfELb1EEvPKvS3_PT_iiiii,comdat
.Lfunc_end148:
	.size	_ZL12mul_mat_q2_KIN3c104HalfELb1EEvPKvS3_PT_iiiii, .Lfunc_end148-_ZL12mul_mat_q2_KIN3c104HalfELb1EEvPKvS3_PT_iiiii
                                        ; -- End function
	.set _ZL12mul_mat_q2_KIN3c104HalfELb1EEvPKvS3_PT_iiiii.num_vgpr, 215
	.set _ZL12mul_mat_q2_KIN3c104HalfELb1EEvPKvS3_PT_iiiii.num_agpr, 0
	.set _ZL12mul_mat_q2_KIN3c104HalfELb1EEvPKvS3_PT_iiiii.numbered_sgpr, 19
	.set _ZL12mul_mat_q2_KIN3c104HalfELb1EEvPKvS3_PT_iiiii.num_named_barrier, 0
	.set _ZL12mul_mat_q2_KIN3c104HalfELb1EEvPKvS3_PT_iiiii.private_seg_size, 0
	.set _ZL12mul_mat_q2_KIN3c104HalfELb1EEvPKvS3_PT_iiiii.uses_vcc, 1
	.set _ZL12mul_mat_q2_KIN3c104HalfELb1EEvPKvS3_PT_iiiii.uses_flat_scratch, 0
	.set _ZL12mul_mat_q2_KIN3c104HalfELb1EEvPKvS3_PT_iiiii.has_dyn_sized_stack, 0
	.set _ZL12mul_mat_q2_KIN3c104HalfELb1EEvPKvS3_PT_iiiii.has_recursion, 0
	.set _ZL12mul_mat_q2_KIN3c104HalfELb1EEvPKvS3_PT_iiiii.has_indirect_call, 0
	.section	.AMDGPU.csdata,"",@progbits
; Kernel info:
; codeLenInByte = 25784
; TotalNumSgprs: 25
; NumVgprs: 215
; NumAgprs: 0
; TotalNumVgprs: 215
; ScratchSize: 0
; MemoryBound: 0
; FloatMode: 240
; IeeeMode: 1
; LDSByteSize: 31392 bytes/workgroup (compile time only)
; SGPRBlocks: 12
; VGPRBlocks: 26
; NumSGPRsForWavesPerEU: 102
; NumVGPRsForWavesPerEU: 215
; AccumOffset: 216
; Occupancy: 2
; WaveLimiterHint : 0
; COMPUTE_PGM_RSRC2:SCRATCH_EN: 0
; COMPUTE_PGM_RSRC2:USER_SGPR: 2
; COMPUTE_PGM_RSRC2:TRAP_HANDLER: 0
; COMPUTE_PGM_RSRC2:TGID_X_EN: 1
; COMPUTE_PGM_RSRC2:TGID_Y_EN: 1
; COMPUTE_PGM_RSRC2:TGID_Z_EN: 0
; COMPUTE_PGM_RSRC2:TIDIG_COMP_CNT: 1
; COMPUTE_PGM_RSRC3_GFX90A:ACCUM_OFFSET: 53
; COMPUTE_PGM_RSRC3_GFX90A:TG_SPLIT: 0
	.section	.text._ZL12mul_mat_q3_KIN3c104HalfELb0EEvPKvS3_PT_iiiii,"axG",@progbits,_ZL12mul_mat_q3_KIN3c104HalfELb0EEvPKvS3_PT_iiiii,comdat
	.globl	_ZL12mul_mat_q3_KIN3c104HalfELb0EEvPKvS3_PT_iiiii ; -- Begin function _ZL12mul_mat_q3_KIN3c104HalfELb0EEvPKvS3_PT_iiiii
	.p2align	8
	.type	_ZL12mul_mat_q3_KIN3c104HalfELb0EEvPKvS3_PT_iiiii,@function
_ZL12mul_mat_q3_KIN3c104HalfELb0EEvPKvS3_PT_iiiii: ; @_ZL12mul_mat_q3_KIN3c104HalfELb0EEvPKvS3_PT_iiiii
; %bb.0:
	s_load_dword s14, s[0:1], 0x18
	s_load_dwordx4 s[8:11], s[0:1], 0x20
	s_waitcnt lgkmcnt(0)
	s_lshl_b32 s11, s3, 6
	v_bfe_u32 v13, v0, 10, 10
	s_cmpk_gt_i32 s14, 0xff
	s_cbranch_scc1 .LBB149_2
; %bb.1:
	v_bfe_u32 v5, v0, 10, 10
	v_and_b32_e32 v9, 0x3ff, v0
	v_add_u32_e32 v59, s11, v5
	s_mov_b64 s[4:5], 0
	s_branch .LBB149_3
.LBB149_2:
	s_mov_b64 s[4:5], -1
                                        ; implicit-def: $vgpr5
                                        ; implicit-def: $vgpr9
                                        ; implicit-def: $vgpr59
.LBB149_3:
	s_load_dwordx2 s[12:13], s[0:1], 0x10
	s_lshl_b32 s6, s2, 7
	s_mov_b32 s7, 0
	v_mov_b32_e32 v1, 0
	s_andn2_b64 vcc, exec, s[4:5]
	v_mov_b32_e32 v10, 0
	v_mov_b32_e32 v15, 0
	;; [unrolled: 1-line block ×15, first 2 shown]
	s_cbranch_vccnz .LBB149_17
; %bb.4:
	s_ashr_i32 s4, s14, 31
	s_load_dwordx4 s[0:3], s[0:1], 0x0
	s_lshr_b32 s4, s4, 24
	s_add_i32 s14, s14, s4
	s_ashr_i32 s5, s9, 31
	s_ashr_i32 s4, s14, 8
	s_lshr_b32 s5, s5, 27
	s_add_i32 s5, s9, s5
	s_mul_i32 s9, s4, s6
	s_ashr_i32 s14, s5, 5
	s_mul_hi_i32 s15, s9, 0x6e
	s_mulk_i32 s9, 0x6e
	s_waitcnt lgkmcnt(0)
	s_add_u32 s0, s0, s9
	s_addc_u32 s1, s1, s15
	s_lshl_b32 s17, s4, 3
	v_mov_b32_e32 v2, s17
	v_lshlrev_b32_e32 v48, 4, v13
	v_bfe_u32 v50, v0, 1, 9
	v_and_b32_e32 v9, 0x3ff, v0
	v_mad_i32_i24 v14, s4, v13, v2
	v_and_b32_e32 v28, 1, v0
	v_add_u32_e32 v2, v50, v48
	v_lshlrev_b32_e32 v3, 2, v9
	s_movk_i32 s9, 0x84
	v_and_b32_e32 v4, 0x7f, v2
	v_lshlrev_b32_e32 v5, 2, v28
	v_lshrrev_b32_e32 v2, 2, v2
	v_mad_u32_u24 v15, v13, s9, v3
	v_mul_i32_i24_e32 v30, s4, v4
	v_lshl_or_b32 v4, v4, 3, v5
	v_and_b32_e32 v2, 28, v2
	s_mov_b32 s9, 0x9380
	v_bfe_u32 v8, v0, 4, 6
	v_add3_u32 v57, v4, v2, s9
	v_lshlrev_b32_e32 v2, 1, v13
	v_add_u32_e32 v4, v8, v2
	v_add_u16_e32 v2, v8, v2
	v_and_b32_e32 v1, 15, v0
	v_lshrrev_b16_e32 v2, 1, v2
	v_lshlrev_b32_e32 v10, 2, v1
	v_lshlrev_b32_e32 v2, 2, v2
	s_movk_i32 s9, 0x4200
	s_lshl_b32 s18, s4, 4
	v_add3_u32 v46, v2, v10, s9
	v_add_u32_e32 v2, 16, v4
	v_mov_b32_e32 v5, s18
	v_mad_i32_i24 v36, s4, v4, v5
	v_lshlrev_b32_e32 v5, 1, v2
	v_and_b32_e32 v5, 0xffc, v5
	v_lshlrev_b32_e32 v52, 6, v2
	v_add_u32_e32 v2, 32, v4
	v_add3_u32 v49, v5, v10, s9
	v_lshlrev_b32_e32 v5, 1, v2
	v_and_b32_e32 v5, 0xffc, v5
	v_lshlrev_b32_e32 v56, 6, v2
	v_add_u32_e32 v2, 48, v4
	v_add3_u32 v54, v5, v10, s9
	;; [unrolled: 5-line block ×5, first 2 shown]
	v_lshlrev_b32_e32 v5, 1, v2
	v_lshlrev_b32_e32 v72, 6, v2
	v_add_u32_e32 v2, 0x70, v4
	v_mul_i32_i24_e32 v34, s4, v4
	v_lshlrev_b32_e32 v47, 6, v4
	v_and_b32_e32 v5, 0xffc, v5
	v_lshlrev_b32_e32 v4, 1, v2
	v_lshlrev_b32_e32 v76, 6, v2
	v_and_b32_e32 v2, 3, v0
	v_add3_u32 v71, v5, v10, s9
	v_and_b32_e32 v4, 0xffc, v4
	v_bfe_u32 v61, v0, 3, 7
	v_add_u16_e32 v5, -2, v2
	v_cmp_gt_u32_e32 vcc, 2, v2
	v_and_b32_e32 v70, 7, v0
	v_add3_u32 v74, v4, v10, s9
	v_lshl_add_u32 v4, v13, 2, v61
	v_cndmask_b32_e32 v5, v5, v2, vcc
	v_mov_b32_e32 v6, 2
	v_lshlrev_b32_e32 v32, 2, v70
	v_lshlrev_b32_sdwa v38, v6, v5 dst_sel:DWORD dst_unused:UNUSED_PAD src0_sel:DWORD src1_sel:BYTE_0
	v_and_b32_e32 v5, 0x7fc, v4
	s_mov_b32 s15, 0x8300
	s_lshl_b32 s19, s4, 5
	v_add3_u32 v79, v5, v32, s15
	v_add_u32_e32 v5, 32, v4
	v_mov_b32_e32 v6, s19
	v_mad_i32_i24 v42, s4, v4, v6
	v_and_b32_e32 v6, 0xffc, v5
	v_lshlrev_b32_e32 v82, 5, v5
	v_add_u32_e32 v5, 64, v4
	v_add3_u32 v81, v6, v32, s15
	v_and_b32_e32 v6, 0xffc, v5
	v_add3_u32 v84, v6, v32, s15
	v_and_b32_e32 v44, 31, v0
	v_and_b32_e32 v6, 28, v3
	v_mov_b32_e32 v3, 0x6300
	v_lshl_or_b32 v89, v44, 2, v3
	v_bfe_u32 v3, v0, 2, 8
	v_mul_i32_i24_e32 v40, s4, v4
	v_lshlrev_b32_e32 v80, 5, v4
	v_add_u32_e32 v4, 0x60, v4
	v_lshl_add_u32 v3, v13, 3, v3
	v_lshlrev_b32_e32 v86, 5, v5
	v_and_b32_e32 v5, 0xffc, v4
	v_and_b32_e32 v3, 63, v3
	v_add3_u32 v87, v5, v32, s15
	s_add_i32 s15, s8, -1
	v_or_b32_e32 v44, s11, v3
	v_min_i32_e32 v44, s15, v44
	v_lshlrev_b32_e32 v65, 1, v2
	v_mad_u64_u32 v[44:45], s[20:21], v44, s14, v[2:3]
	v_lshlrev_b32_e32 v2, 2, v2
	v_add_u32_e32 v59, s11, v13
	v_lshl_or_b32 v2, v3, 4, v2
	v_lshlrev_b32_e32 v88, 5, v4
	v_cvt_f64_i32_e32 v[4:5], s15
	v_add_u32_e32 v45, 0x97a0, v2
	v_cvt_f64_u32_e32 v[2:3], v59
	v_min_f64 v[2:3], v[2:3], v[4:5]
	v_cvt_i32_f64_e32 v2, v[2:3]
	v_mul_lo_u32 v67, s14, v2
	v_add_u32_e32 v2, 8, v59
	v_cvt_f64_u32_e32 v[2:3], v2
	v_min_f64 v[2:3], v[2:3], v[4:5]
	v_cvt_i32_f64_e32 v2, v[2:3]
	v_mul_lo_u32 v69, s14, v2
	;; [unrolled: 5-line block ×5, first 2 shown]
	v_add_u32_e32 v2, 40, v59
	v_cvt_f64_u32_e32 v[2:3], v2
	v_min_f64 v[2:3], v[2:3], v[4:5]
	v_add_u32_e32 v16, s17, v14
	v_cvt_i32_f64_e32 v2, v[2:3]
	v_add_u32_e32 v18, s17, v16
	v_mul_lo_u32 v83, s14, v2
	v_add_u32_e32 v2, 48, v59
	v_add_u32_e32 v20, s17, v18
	v_cvt_f64_u32_e32 v[2:3], v2
	v_add_u32_e32 v22, s17, v20
	v_min_f64 v[2:3], v[2:3], v[4:5]
	v_add_u32_e32 v24, s17, v22
	v_cvt_i32_f64_e32 v2, v[2:3]
	v_add_u32_e32 v26, s17, v24
	v_mul_lo_u32 v85, s14, v2
	v_add_u32_e32 v2, 56, v59
	v_cvt_f64_u32_e32 v[2:3], v2
	v_lshlrev_b32_e32 v165, 2, v50
	v_add_u32_e32 v50, s17, v26
	v_min_f64 v[2:3], v[2:3], v[4:5]
	v_add_u32_e32 v133, v49, v52
	v_add_u32_e32 v52, s17, v50
	v_cvt_i32_f64_e32 v2, v[2:3]
	v_lshlrev_b32_e32 v3, 5, v9
	v_add_u32_e32 v4, 32, v9
	v_and_b32_e32 v0, 0xfc, v0
	v_add_u32_e32 v135, v54, v56
	v_add_u32_e32 v144, v66, v68
	;; [unrolled: 1-line block ×6, first 2 shown]
	v_and_b32_e32 v0, 0x1fc, v4
	v_add_u32_e32 v146, v71, v72
	v_add_u32_e32 v56, s17, v54
	;; [unrolled: 1-line block ×3, first 2 shown]
	v_lshlrev_b32_e32 v90, 7, v13
	v_add_u32_e32 v104, 0x60, v9
	v_add_u32_e32 v119, v3, v0
	v_and_b32_e32 v0, 0x1fc, v101
	v_add_u32_e32 v137, v58, v60
	v_add_u32_e32 v148, v74, v76
	;; [unrolled: 1-line block ×4, first 2 shown]
	v_mov_b32_e32 v11, 0
	v_add_u32_e32 v94, 0xc00, v90
	v_add_u32_e32 v121, v3, v0
	v_and_b32_e32 v0, 0x1fc, v104
	v_add_u32_e32 v60, s17, v58
	v_cmp_lt_u32_e32 vcc, 7, v1
	v_add_u32_e32 v76, s18, v74
	v_lshlrev_b32_e32 v78, 1, v9
	v_mov_b32_e32 v7, v11
	v_add_u32_e32 v91, 0x400, v90
	v_add_u32_e32 v92, 0x800, v90
	;; [unrolled: 1-line block ×5, first 2 shown]
	v_mul_lo_u32 v93, s14, v2
	v_add_u32_e32 v2, 0x1c00, v90
	v_lshrrev_b32_e32 v5, 1, v4
	v_lshrrev_b32_e32 v100, 4, v4
	;; [unrolled: 1-line block ×6, first 2 shown]
	v_add_u32_e32 v123, v3, v0
	v_add_u32_e32 v139, v62, v64
	;; [unrolled: 1-line block ×4, first 2 shown]
	v_mov_b32_e32 v48, v11
	v_mov_b32_e32 v49, v11
	v_add_u32_e32 v160, v89, v94
	v_add_u32_e32 v62, s17, v60
	v_cndmask_b32_e64 v66, 0, 1, vcc
	v_add_u32_e32 v82, s18, v76
	v_cmp_lt_u32_e32 vcc, 3, v70
	v_add_u32_e32 v94, s19, v42
	s_movk_i32 s5, 0x6e
	v_mul_i32_i24_e32 v12, s4, v13
	v_add_u32_e32 v17, 0x420, v15
	v_add_u32_e32 v19, 0x840, v15
	;; [unrolled: 1-line block ×15, first 2 shown]
	v_mov_b32_e32 v33, v11
	v_and_b32_e32 v63, 4, v78
	s_movk_i32 s9, 0xff
	v_mov_b32_e32 v39, v11
	v_mul_u32_u24_e32 v95, 0x84, v9
	v_lshlrev_b32_e32 v97, 6, v9
	v_lshlrev_b32_e32 v130, 6, v4
	v_add_u32_e32 v131, v46, v47
	v_lshlrev_b32_e32 v132, 3, v4
	v_lshlrev_b32_e32 v134, 6, v101
	;; [unrolled: 1-line block ×5, first 2 shown]
	v_lshrrev_b32_e32 v141, 3, v4
	v_lshrrev_b32_e32 v142, 3, v101
	;; [unrolled: 1-line block ×3, first 2 shown]
	v_lshl_add_u64 v[46:47], s[2:3], 0, v[6:7]
	v_add_u32_e32 v145, 0x8300, v117
	v_add_u32_e32 v147, 0x8700, v119
	;; [unrolled: 1-line block ×8, first 2 shown]
	s_mov_b32 s14, 0x30303030
	s_movk_i32 s15, 0xe000
	s_movk_i32 s16, 0x3f00
	v_add_u32_e32 v157, v89, v90
	v_add_u32_e32 v158, v89, v91
	;; [unrolled: 1-line block ×7, first 2 shown]
	v_lshlrev_b32_e32 v166, 2, v8
	v_lshlrev_b32_e32 v167, 2, v78
	v_lshlrev_b32_e32 v168, 2, v5
	v_lshlrev_b32_e32 v169, 2, v100
	v_lshlrev_b32_e32 v170, 2, v102
	v_lshlrev_b32_e32 v171, 2, v103
	v_lshlrev_b32_e32 v172, 2, v105
	v_lshlrev_b32_e32 v173, 2, v106
	v_add_u32_e32 v64, s17, v62
	v_add_u32_e32 v84, s18, v82
	v_cndmask_b32_e64 v92, 0, 1, vcc
	v_add_u32_e32 v96, s19, v94
	v_mov_b64_e32 v[86:87], v[48:49]
	v_mov_b64_e32 v[78:79], v[48:49]
	;; [unrolled: 1-line block ×15, first 2 shown]
	s_branch .LBB149_6
.LBB149_5:                              ;   in Loop: Header=BB149_6 Depth=1
	s_add_i32 s7, s7, 2
	s_cmp_ge_i32 s7, s4
	s_cbranch_scc1 .LBB149_16
.LBB149_6:                              ; =>This Loop Header: Depth=1
                                        ;     Child Loop BB149_7 Depth 2
                                        ;     Child Loop BB149_9 Depth 2
	;; [unrolled: 1-line block ×4, first 2 shown]
	s_mul_i32 s18, s7, 0x6e
	s_mul_hi_u32 s17, s7, 0x6e
	s_add_u32 s18, s0, s18
	s_addc_u32 s19, s1, s17
	v_mov_b64_e32 v[0:1], s[18:19]
	v_mad_u64_u32 v[2:3], s[18:19], v8, s5, v[0:1]
	v_mad_u64_u32 v[4:5], s[18:19], v12, s5, v[2:3]
	v_mad_u64_u32 v[6:7], s[18:19], v14, s5, v[2:3]
	v_mad_u64_u32 v[124:125], s[18:19], v16, s5, v[2:3]
	v_mad_u64_u32 v[126:127], s[18:19], v18, s5, v[2:3]
	v_mad_u64_u32 v[128:129], s[18:19], v20, s5, v[2:3]
	v_mad_u64_u32 v[174:175], s[18:19], v22, s5, v[2:3]
	v_mad_u64_u32 v[176:177], s[18:19], v24, s5, v[2:3]
	v_mad_u64_u32 v[178:179], s[18:19], v26, s5, v[2:3]
	v_lshl_add_u64 v[4:5], v[4:5], 0, v[10:11]
	v_lshl_add_u64 v[6:7], v[6:7], 0, v[10:11]
	;; [unrolled: 1-line block ×8, first 2 shown]
	global_load_dword v116, v[4:5], off offset:32
	global_load_dword v118, v[6:7], off offset:32
	;; [unrolled: 1-line block ×7, first 2 shown]
	s_nop 0
	global_load_dword v178, v[178:179], off offset:32
	v_mad_u64_u32 v[4:5], s[18:19], v50, s5, v[2:3]
	v_mad_u64_u32 v[6:7], s[18:19], v52, s5, v[2:3]
	;; [unrolled: 1-line block ×8, first 2 shown]
	v_lshl_add_u64 v[4:5], v[4:5], 0, v[10:11]
	v_lshl_add_u64 v[176:177], v[176:177], 0, v[10:11]
	v_lshl_add_u64 v[2:3], v[2:3], 0, v[10:11]
	v_lshl_add_u64 v[6:7], v[6:7], 0, v[10:11]
	v_lshl_add_u64 v[124:125], v[124:125], 0, v[10:11]
	v_lshl_add_u64 v[126:127], v[126:127], 0, v[10:11]
	v_lshl_add_u64 v[128:129], v[128:129], 0, v[10:11]
	v_lshl_add_u64 v[174:175], v[174:175], 0, v[10:11]
	global_load_dword v179, v[4:5], off offset:32
	global_load_dword v183, v[6:7], off offset:32
	global_load_dword v184, v[124:125], off offset:32
	global_load_dword v185, v[126:127], off offset:32
	global_load_dword v186, v[128:129], off offset:32
	global_load_dword v187, v[174:175], off offset:32
	s_nop 0
	global_load_dword v176, v[176:177], off offset:32
	s_nop 0
	global_load_dword v177, v[2:3], off offset:32
	v_mad_u64_u32 v[2:3], s[18:19], v30, s5, v[0:1]
	v_mad_u64_u32 v[4:5], s[18:19], v66, s5, v[0:1]
	;; [unrolled: 1-line block ×3, first 2 shown]
	v_lshl_add_u64 v[4:5], v[4:5], 0, v[32:33]
	v_mad_u64_u32 v[6:7], s[18:19], v34, s5, v[4:5]
	global_load_ushort v188, v[2:3], off offset:108
	global_load_dword v189, v[6:7], off
	v_mad_u64_u32 v[2:3], s[18:19], v36, s5, v[4:5]
	v_mad_u64_u32 v[124:125], s[18:19], v72, s5, v[4:5]
	;; [unrolled: 1-line block ×6, first 2 shown]
	global_load_dword v190, v[2:3], off
	global_load_dword v191, v[6:7], off
	s_nop 0
	global_load_dword v124, v[124:125], off
	s_nop 0
	;; [unrolled: 2-line block ×3, first 2 shown]
	global_load_dword v126, v[128:129], off
	global_load_dword v127, v[174:175], off
	v_mad_u64_u32 v[2:3], s[18:19], v84, s5, v[4:5]
	global_load_dword v128, v[2:3], off
	v_mad_u64_u32 v[0:1], s[18:19], v92, s5, v[0:1]
	v_mad_u64_u32 v[2:3], s[18:19], v40, s5, v[0:1]
	v_lshl_add_u64 v[4:5], v[2:3], 0, v[38:39]
	global_load_dword v129, v[4:5], off offset:96
	v_mad_u64_u32 v[4:5], s[18:19], v42, s5, v[0:1]
	v_mad_u64_u32 v[6:7], s[18:19], v94, s5, v[0:1]
	;; [unrolled: 1-line block ×3, first 2 shown]
	global_load_dword v175, v[0:1], off offset:104
	global_load_dword v192, v[6:7], off offset:104
	;; [unrolled: 1-line block ×4, first 2 shown]
	v_lshl_add_u64 v[2:3], v[4:5], 0, v[38:39]
	v_lshl_add_u64 v[4:5], v[6:7], 0, v[38:39]
	global_load_dword v195, v[2:3], off offset:96
	global_load_dword v196, v[4:5], off offset:96
	s_waitcnt vmcnt(31)
	ds_write_b32 v15, v116
	s_waitcnt vmcnt(30)
	ds_write_b32 v17, v118
	;; [unrolled: 2-line block ×13, first 2 shown]
	v_lshl_add_u64 v[0:1], v[0:1], 0, v[38:39]
	s_lshl_b32 s17, s7, 3
	v_add_u32_e32 v120, s17, v61
	v_add_u32_e32 v122, v120, v77
	;; [unrolled: 1-line block ×5, first 2 shown]
	v_mad_i64_i32 v[4:5], s[18:19], v4, 36, v[46:47]
	v_mad_i64_i32 v[6:7], s[18:19], v6, 36, v[46:47]
	s_waitcnt vmcnt(15)
	v_cvt_f32_f16_e32 v2, v188
	ds_write_b32 v51, v187
	ds_write_b32 v53, v176
	;; [unrolled: 1-line block ×4, first 2 shown]
	global_load_dword v118, v[0:1], off offset:96
	s_waitcnt vmcnt(15)
	v_not_b32_e32 v2, v189
	ds_write_b32 v131, v2
	v_add_u32_e32 v0, v120, v67
	v_mad_i64_i32 v[0:1], s[18:19], v0, 36, v[46:47]
	v_mov_b32_e32 v176, v152
	s_waitcnt vmcnt(14)
	v_not_b32_e32 v2, v190
	ds_write_b32 v133, v2
	s_waitcnt vmcnt(13)
	v_not_b32_e32 v2, v191
	ds_write_b32 v135, v2
	;; [unrolled: 3-line block ×7, first 2 shown]
	v_add_u32_e32 v2, v120, v69
	v_mad_i64_i32 v[2:3], s[18:19], v2, 36, v[46:47]
	v_mad_i64_i32 v[124:125], s[18:19], v122, 36, v[46:47]
	global_load_dword v122, v[0:1], off offset:4
	global_load_dword v126, v[2:3], off offset:4
	;; [unrolled: 1-line block ×4, first 2 shown]
	s_nop 0
	global_load_dword v124, v[124:125], off offset:4
	v_add_u32_e32 v0, v120, v83
	v_add_u32_e32 v2, v120, v85
	v_mad_i64_i32 v[0:1], s[18:19], v0, 36, v[46:47]
	v_mad_i64_i32 v[2:3], s[18:19], v2, 36, v[46:47]
	v_add_u32_e32 v4, v120, v93
	v_mad_u64_u32 v[6:7], s[18:19], v174, 36, s[2:3]
	v_mad_i64_i32 v[4:5], s[18:19], v4, 36, v[46:47]
	global_load_dword v6, v[6:7], off
	s_nop 0
	global_load_dword v0, v[0:1], off offset:4
	s_nop 0
	global_load_dword v1, v[2:3], off offset:4
	;; [unrolled: 2-line block ×3, first 2 shown]
	s_waitcnt vmcnt(16)
	v_ashrrev_i32_e32 v116, v63, v129
	s_waitcnt vmcnt(12)
	v_ashrrev_i32_e32 v4, v65, v194
	v_and_b32_e32 v3, 0xf0f0f0f, v116
	v_lshlrev_b32_e32 v4, 4, v4
	v_and_or_b32 v3, v4, s14, v3
	v_lshlrev_b16_e32 v5, 8, v3
	v_add_u16_e32 v5, 0xe000, v5
	v_lshrrev_b32_e32 v4, 16, v3
	v_lshrrev_b16_e32 v5, 8, v5
	v_bitop3_b16 v3, v3, v5, s16 bitop3:0xec
	v_lshlrev_b16_e32 v5, 8, v4
	v_add_u16_e32 v5, 0xe000, v5
	v_lshrrev_b16_e32 v5, 8, v5
	v_bitop3_b16 v4, v4, v5, s16 bitop3:0xec
	v_add_u16_e32 v3, 0xe000, v3
	v_add_u16_sdwa v4, v4, s15 dst_sel:WORD_1 dst_unused:UNUSED_PAD src0_sel:DWORD src1_sel:DWORD
	s_mov_b32 s18, 0
	v_or_b32_e32 v3, v3, v4
	ds_write_b32 v150, v3
	s_waitcnt vmcnt(11)
	v_ashrrev_i32_e32 v3, v63, v195
	v_ashrrev_i32_e32 v4, v65, v193
	v_and_b32_e32 v3, 0xf0f0f0f, v3
	v_lshlrev_b32_e32 v4, 4, v4
	v_and_or_b32 v3, v4, s14, v3
	v_lshlrev_b16_e32 v5, 8, v3
	v_add_u16_e32 v5, 0xe000, v5
	v_lshrrev_b32_e32 v4, 16, v3
	v_lshrrev_b16_e32 v5, 8, v5
	v_bitop3_b16 v3, v3, v5, s16 bitop3:0xec
	v_lshlrev_b16_e32 v5, 8, v4
	v_add_u16_e32 v5, 0xe000, v5
	v_lshrrev_b16_e32 v5, 8, v5
	v_bitop3_b16 v4, v4, v5, s16 bitop3:0xec
	v_add_u16_e32 v3, 0xe000, v3
	v_add_u16_sdwa v4, v4, s15 dst_sel:WORD_1 dst_unused:UNUSED_PAD src0_sel:DWORD src1_sel:DWORD
	s_mov_b32 s21, -2
	v_or_b32_e32 v3, v3, v4
	ds_write_b32 v153, v3
	s_waitcnt vmcnt(10)
	v_ashrrev_i32_e32 v3, v63, v196
	v_ashrrev_i32_e32 v4, v65, v192
	v_and_b32_e32 v3, 0xf0f0f0f, v3
	v_lshlrev_b32_e32 v4, 4, v4
	v_and_or_b32 v3, v4, s14, v3
	v_lshlrev_b16_e32 v5, 8, v3
	v_add_u16_e32 v5, 0xe000, v5
	v_lshrrev_b32_e32 v4, 16, v3
	v_lshrrev_b16_e32 v5, 8, v5
	v_bitop3_b16 v3, v3, v5, s16 bitop3:0xec
	v_lshlrev_b16_e32 v5, 8, v4
	v_add_u16_e32 v5, 0xe000, v5
	v_lshrrev_b16_e32 v5, 8, v5
	v_bitop3_b16 v4, v4, v5, s16 bitop3:0xec
	v_add_u16_e32 v3, 0xe000, v3
	v_add_u16_sdwa v4, v4, s15 dst_sel:WORD_1 dst_unused:UNUSED_PAD src0_sel:DWORD src1_sel:DWORD
	s_mov_b32 s19, 0
	v_or_b32_e32 v3, v3, v4
	ds_write_b32 v155, v3
	s_waitcnt vmcnt(9)
	v_ashrrev_i32_e32 v3, v63, v118
	v_ashrrev_i32_e32 v4, v65, v175
	v_and_b32_e32 v3, 0xf0f0f0f, v3
	v_lshlrev_b32_e32 v4, 4, v4
	v_and_or_b32 v3, v4, s14, v3
	v_lshlrev_b16_e32 v5, 8, v3
	v_add_u16_e32 v5, 0xe000, v5
	v_lshrrev_b32_e32 v4, 16, v3
	v_lshrrev_b16_e32 v5, 8, v5
	v_bitop3_b16 v3, v3, v5, s16 bitop3:0xec
	v_lshlrev_b16_e32 v5, 8, v4
	v_add_u16_e32 v5, 0xe000, v5
	v_lshrrev_b16_e32 v5, 8, v5
	v_bitop3_b16 v4, v4, v5, s16 bitop3:0xec
	v_add_u16_e32 v3, 0xe000, v3
	v_add_u16_sdwa v4, v4, s15 dst_sel:WORD_1 dst_unused:UNUSED_PAD src0_sel:DWORD src1_sel:DWORD
	v_mov_b32_e32 v175, v154
	v_or_b32_e32 v3, v3, v4
	ds_write_b32 v156, v3
	s_waitcnt vmcnt(8)
	ds_write_b32 v157, v122
	s_waitcnt vmcnt(7)
	;; [unrolled: 2-line block ×6, first 2 shown]
	v_cvt_f32_f16_e32 v3, v6
	s_waitcnt vmcnt(2)
	ds_write_b32 v162, v0
	s_waitcnt vmcnt(1)
	ds_write_b32 v163, v1
	;; [unrolled: 2-line block ×3, first 2 shown]
	ds_write_b32 v45, v3
	s_waitcnt lgkmcnt(0)
	s_barrier
.LBB149_7:                              ;   Parent Loop BB149_6 Depth=1
                                        ; =>  This Inner Loop Header: Depth=2
	s_add_i32 s20, s21, 2
	s_lshr_b32 s24, s20, 4
	s_and_b32 s22, s20, 0x3ffffff8
	v_lshl_add_u32 v122, s22, 2, v95
	s_lshl_b32 s22, s24, 5
	s_addk_i32 s22, 0x4200
	v_add3_u32 v120, s22, v165, v97
	ds_read2_b32 v[124:125], v176 offset1:32
	ds_read_b128 v[4:7], v175
	ds_read_b128 v[0:3], v175 offset:16
	ds_read2_b32 v[126:127], v122 offset1:1
	ds_read2_b32 v[128:129], v120 offset1:1
	ds_read2_b32 v[178:179], v120 offset0:2 offset1:3
	ds_read2_b32 v[180:181], v120 offset0:4 offset1:5
	v_add3_u32 v204, s22, v172, v138
	s_waitcnt lgkmcnt(3)
	v_ashrrev_i32_e32 v116, s20, v126
	s_waitcnt lgkmcnt(2)
	v_ashrrev_i32_e32 v126, s18, v128
	v_lshlrev_b32_e32 v126, 2, v126
	v_bfe_u32 v118, v116, 24, 2
	v_and_b32_e32 v116, 0x3030303, v116
	v_and_b32_e32 v126, 0x4040404, v126
	v_sub_u16_e32 v128, v116, v126
	v_sub_u16_sdwa v177, v116, v126 dst_sel:BYTE_1 dst_unused:UNUSED_PAD src0_sel:BYTE_1 src1_sel:BYTE_1
	v_sub_u16_sdwa v116, v116, v126 dst_sel:DWORD dst_unused:UNUSED_PAD src0_sel:WORD_1 src1_sel:WORD_1
	v_sub_u16_sdwa v118, v118, v126 dst_sel:BYTE_1 dst_unused:UNUSED_PAD src0_sel:DWORD src1_sel:BYTE_3
	v_bitop3_b16 v128, v128, v177, s9 bitop3:0xec
	v_bitop3_b16 v116, v116, v118, s9 bitop3:0xec
	v_lshlrev_b32_e32 v116, 16, v116
	v_or_b32_sdwa v126, v128, v116 dst_sel:DWORD dst_unused:UNUSED_PAD src0_sel:WORD_0 src1_sel:DWORD
	v_ashrrev_i32_e32 v116, s20, v127
	v_ashrrev_i32_e32 v127, s18, v129
	v_lshlrev_b32_e32 v127, 2, v127
	v_bfe_u32 v118, v116, 24, 2
	v_and_b32_e32 v116, 0x3030303, v116
	v_and_b32_e32 v127, 0x4040404, v127
	v_sub_u16_e32 v128, v116, v127
	v_sub_u16_sdwa v129, v116, v127 dst_sel:BYTE_1 dst_unused:UNUSED_PAD src0_sel:BYTE_1 src1_sel:BYTE_1
	v_sub_u16_sdwa v116, v116, v127 dst_sel:DWORD dst_unused:UNUSED_PAD src0_sel:WORD_1 src1_sel:WORD_1
	v_sub_u16_sdwa v118, v118, v127 dst_sel:BYTE_1 dst_unused:UNUSED_PAD src0_sel:DWORD src1_sel:BYTE_3
	v_bitop3_b16 v128, v128, v129, s9 bitop3:0xec
	v_bitop3_b16 v116, v116, v118, s9 bitop3:0xec
	v_lshlrev_b32_e32 v116, 16, v116
	v_or_b32_sdwa v127, v128, v116 dst_sel:DWORD dst_unused:UNUSED_PAD src0_sel:WORD_0 src1_sel:DWORD
	ds_read2_b32 v[128:129], v122 offset0:2 offset1:3
	ds_read2_b32 v[216:217], v204 offset0:4 offset1:5
	s_and_b32 s23, s19, -16
	s_add_i32 s21, s21, s23
	s_lshl_b32 s23, s24, 2
	s_waitcnt lgkmcnt(1)
	v_ashrrev_i32_e32 v116, s20, v128
	v_ashrrev_i32_e32 v128, s18, v178
	v_lshlrev_b32_e32 v128, 2, v128
	v_bfe_u32 v118, v116, 24, 2
	v_and_b32_e32 v116, 0x3030303, v116
	v_and_b32_e32 v128, 0x4040404, v128
	v_sub_u16_e32 v177, v116, v128
	v_sub_u16_sdwa v178, v116, v128 dst_sel:BYTE_1 dst_unused:UNUSED_PAD src0_sel:BYTE_1 src1_sel:BYTE_1
	v_sub_u16_sdwa v116, v116, v128 dst_sel:DWORD dst_unused:UNUSED_PAD src0_sel:WORD_1 src1_sel:WORD_1
	v_sub_u16_sdwa v118, v118, v128 dst_sel:BYTE_1 dst_unused:UNUSED_PAD src0_sel:DWORD src1_sel:BYTE_3
	v_bitop3_b16 v177, v177, v178, s9 bitop3:0xec
	v_bitop3_b16 v116, v116, v118, s9 bitop3:0xec
	v_lshlrev_b32_e32 v116, 16, v116
	v_or_b32_sdwa v128, v177, v116 dst_sel:DWORD dst_unused:UNUSED_PAD src0_sel:WORD_0 src1_sel:DWORD
	v_ashrrev_i32_e32 v116, s20, v129
	v_ashrrev_i32_e32 v129, s18, v179
	v_lshlrev_b32_e32 v129, 2, v129
	v_bfe_u32 v118, v116, 24, 2
	v_and_b32_e32 v116, 0x3030303, v116
	v_and_b32_e32 v129, 0x4040404, v129
	v_sub_u16_e32 v177, v116, v129
	v_sub_u16_sdwa v178, v116, v129 dst_sel:BYTE_1 dst_unused:UNUSED_PAD src0_sel:BYTE_1 src1_sel:BYTE_1
	v_sub_u16_sdwa v116, v116, v129 dst_sel:DWORD dst_unused:UNUSED_PAD src0_sel:WORD_1 src1_sel:WORD_1
	v_bitop3_b16 v177, v177, v178, s9 bitop3:0xec
	ds_read2_b32 v[178:179], v122 offset0:4 offset1:5
	v_sub_u16_sdwa v118, v118, v129 dst_sel:BYTE_1 dst_unused:UNUSED_PAD src0_sel:DWORD src1_sel:BYTE_3
	s_add_i32 s23, s23, 0x9380
	v_bitop3_b16 v116, v116, v118, s9 bitop3:0xec
	v_lshlrev_b32_e32 v116, 16, v116
	v_or_b32_sdwa v129, v177, v116 dst_sel:DWORD dst_unused:UNUSED_PAD src0_sel:WORD_0 src1_sel:DWORD
	v_ashrrev_i32_e32 v177, s18, v180
	s_waitcnt lgkmcnt(0)
	v_ashrrev_i32_e32 v116, s20, v178
	v_lshlrev_b32_e32 v177, 2, v177
	v_bfe_u32 v118, v116, 24, 2
	v_and_b32_e32 v116, 0x3030303, v116
	v_and_b32_e32 v177, 0x4040404, v177
	v_sub_u16_e32 v178, v116, v177
	v_sub_u16_sdwa v180, v116, v177 dst_sel:BYTE_1 dst_unused:UNUSED_PAD src0_sel:BYTE_1 src1_sel:BYTE_1
	v_sub_u16_sdwa v116, v116, v177 dst_sel:DWORD dst_unused:UNUSED_PAD src0_sel:WORD_1 src1_sel:WORD_1
	v_sub_u16_sdwa v118, v118, v177 dst_sel:BYTE_1 dst_unused:UNUSED_PAD src0_sel:DWORD src1_sel:BYTE_3
	v_bitop3_b16 v178, v178, v180, s9 bitop3:0xec
	v_bitop3_b16 v116, v116, v118, s9 bitop3:0xec
	v_lshlrev_b32_e32 v116, 16, v116
	v_ashrrev_i32_e32 v177, s18, v181
	v_or_b32_sdwa v185, v178, v116 dst_sel:DWORD dst_unused:UNUSED_PAD src0_sel:WORD_0 src1_sel:DWORD
	v_ashrrev_i32_e32 v116, s20, v179
	v_lshlrev_b32_e32 v177, 2, v177
	v_bfe_u32 v118, v116, 24, 2
	v_and_b32_e32 v116, 0x3030303, v116
	v_and_b32_e32 v177, 0x4040404, v177
	v_sub_u16_e32 v178, v116, v177
	v_sub_u16_sdwa v179, v116, v177 dst_sel:BYTE_1 dst_unused:UNUSED_PAD src0_sel:BYTE_1 src1_sel:BYTE_1
	v_sub_u16_sdwa v116, v116, v177 dst_sel:DWORD dst_unused:UNUSED_PAD src0_sel:WORD_1 src1_sel:WORD_1
	v_sub_u16_sdwa v118, v118, v177 dst_sel:BYTE_1 dst_unused:UNUSED_PAD src0_sel:DWORD src1_sel:BYTE_3
	v_bitop3_b16 v178, v178, v179, s9 bitop3:0xec
	v_bitop3_b16 v116, v116, v118, s9 bitop3:0xec
	v_lshlrev_b32_e32 v116, 16, v116
	v_or_b32_sdwa v186, v178, v116 dst_sel:DWORD dst_unused:UNUSED_PAD src0_sel:WORD_0 src1_sel:DWORD
	ds_read2_b32 v[178:179], v122 offset0:6 offset1:7
	ds_read2_b32 v[180:181], v120 offset0:6 offset1:7
	v_add3_u32 v184, s22, v168, v130
	ds_read2_b32 v[182:183], v184 offset0:2 offset1:3
	ds_read2_b32 v[190:191], v184 offset0:4 offset1:5
	s_waitcnt lgkmcnt(3)
	v_ashrrev_i32_e32 v116, s20, v178
	s_waitcnt lgkmcnt(2)
	v_ashrrev_i32_e32 v120, s18, v180
	v_lshlrev_b32_e32 v120, 2, v120
	v_bfe_u32 v118, v116, 24, 2
	v_and_b32_e32 v116, 0x3030303, v116
	v_and_b32_e32 v120, 0x4040404, v120
	v_sub_u16_e32 v177, v116, v120
	v_sub_u16_sdwa v178, v116, v120 dst_sel:BYTE_1 dst_unused:UNUSED_PAD src0_sel:BYTE_1 src1_sel:BYTE_1
	v_sub_u16_sdwa v116, v116, v120 dst_sel:DWORD dst_unused:UNUSED_PAD src0_sel:WORD_1 src1_sel:WORD_1
	v_sub_u16_sdwa v118, v118, v120 dst_sel:BYTE_1 dst_unused:UNUSED_PAD src0_sel:DWORD src1_sel:BYTE_3
	v_bitop3_b16 v177, v177, v178, s9 bitop3:0xec
	v_bitop3_b16 v116, v116, v118, s9 bitop3:0xec
	v_lshlrev_b32_e32 v116, 16, v116
	v_ashrrev_i32_e32 v120, s18, v181
	v_or_b32_sdwa v187, v177, v116 dst_sel:DWORD dst_unused:UNUSED_PAD src0_sel:WORD_0 src1_sel:DWORD
	v_ashrrev_i32_e32 v116, s20, v179
	v_lshlrev_b32_e32 v120, 2, v120
	v_bfe_u32 v118, v116, 24, 2
	v_and_b32_e32 v116, 0x3030303, v116
	v_and_b32_e32 v120, 0x4040404, v120
	v_sub_u16_e32 v177, v116, v120
	v_sub_u16_sdwa v178, v116, v120 dst_sel:BYTE_1 dst_unused:UNUSED_PAD src0_sel:BYTE_1 src1_sel:BYTE_1
	v_sub_u16_sdwa v116, v116, v120 dst_sel:DWORD dst_unused:UNUSED_PAD src0_sel:WORD_1 src1_sel:WORD_1
	v_sub_u16_sdwa v118, v118, v120 dst_sel:BYTE_1 dst_unused:UNUSED_PAD src0_sel:DWORD src1_sel:BYTE_3
	v_bitop3_b16 v177, v177, v178, s9 bitop3:0xec
	v_bitop3_b16 v116, v116, v118, s9 bitop3:0xec
	v_lshlrev_b32_e32 v116, 16, v116
	v_or_b32_sdwa v188, v177, v116 dst_sel:DWORD dst_unused:UNUSED_PAD src0_sel:WORD_0 src1_sel:DWORD
	v_add3_u32 v116, s23, v166, v167
	v_add_u32_e32 v118, 0x1080, v122
	ds_read_b32 v116, v116
	ds_read2_b32 v[178:179], v118 offset1:1
	ds_read2_b32 v[180:181], v184 offset1:1
	ds_read2_b32 v[192:193], v184 offset0:6 offset1:7
	v_add3_u32 v198, s22, v170, v134
	v_mov_b32_e32 v206, 0
	s_waitcnt lgkmcnt(2)
	v_ashrrev_i32_e32 v118, s20, v178
	s_waitcnt lgkmcnt(1)
	v_ashrrev_i32_e32 v177, s18, v180
	v_lshlrev_b32_e32 v177, 2, v177
	v_bfe_u32 v120, v118, 24, 2
	v_and_b32_e32 v118, 0x3030303, v118
	v_and_b32_e32 v177, 0x4040404, v177
	v_sub_u16_e32 v178, v118, v177
	v_sub_u16_sdwa v180, v118, v177 dst_sel:BYTE_1 dst_unused:UNUSED_PAD src0_sel:BYTE_1 src1_sel:BYTE_1
	v_sub_u16_sdwa v118, v118, v177 dst_sel:DWORD dst_unused:UNUSED_PAD src0_sel:WORD_1 src1_sel:WORD_1
	v_sub_u16_sdwa v120, v120, v177 dst_sel:BYTE_1 dst_unused:UNUSED_PAD src0_sel:DWORD src1_sel:BYTE_3
	v_bitop3_b16 v178, v178, v180, s9 bitop3:0xec
	v_bitop3_b16 v118, v118, v120, s9 bitop3:0xec
	v_lshlrev_b32_e32 v118, 16, v118
	v_or_b32_sdwa v177, v178, v118 dst_sel:DWORD dst_unused:UNUSED_PAD src0_sel:WORD_0 src1_sel:DWORD
	v_ashrrev_i32_e32 v178, s18, v181
	v_ashrrev_i32_e32 v118, s20, v179
	v_lshlrev_b32_e32 v178, 2, v178
	v_bfe_u32 v120, v118, 24, 2
	v_and_b32_e32 v118, 0x3030303, v118
	v_and_b32_e32 v178, 0x4040404, v178
	v_sub_u16_e32 v179, v118, v178
	v_sub_u16_sdwa v180, v118, v178 dst_sel:BYTE_1 dst_unused:UNUSED_PAD src0_sel:BYTE_1 src1_sel:BYTE_1
	v_sub_u16_sdwa v118, v118, v178 dst_sel:DWORD dst_unused:UNUSED_PAD src0_sel:WORD_1 src1_sel:WORD_1
	v_sub_u16_sdwa v120, v120, v178 dst_sel:BYTE_1 dst_unused:UNUSED_PAD src0_sel:DWORD src1_sel:BYTE_3
	v_bitop3_b16 v179, v179, v180, s9 bitop3:0xec
	v_bitop3_b16 v118, v118, v120, s9 bitop3:0xec
	v_lshlrev_b32_e32 v118, 16, v118
	v_or_b32_sdwa v178, v179, v118 dst_sel:DWORD dst_unused:UNUSED_PAD src0_sel:WORD_0 src1_sel:DWORD
	v_add_u32_e32 v118, 0x1088, v122
	ds_read2_b32 v[180:181], v118 offset1:1
	v_ashrrev_i32_e32 v179, s18, v182
	v_lshlrev_b32_e32 v179, 2, v179
	v_and_b32_e32 v179, 0x4040404, v179
	v_mov_b32_e32 v207, 0
	s_waitcnt lgkmcnt(0)
	v_ashrrev_i32_e32 v118, s20, v180
	v_bfe_u32 v120, v118, 24, 2
	v_and_b32_e32 v118, 0x3030303, v118
	v_sub_u16_e32 v180, v118, v179
	v_sub_u16_sdwa v182, v118, v179 dst_sel:BYTE_1 dst_unused:UNUSED_PAD src0_sel:BYTE_1 src1_sel:BYTE_1
	v_sub_u16_sdwa v118, v118, v179 dst_sel:DWORD dst_unused:UNUSED_PAD src0_sel:WORD_1 src1_sel:WORD_1
	v_sub_u16_sdwa v120, v120, v179 dst_sel:BYTE_1 dst_unused:UNUSED_PAD src0_sel:DWORD src1_sel:BYTE_3
	v_bitop3_b16 v180, v180, v182, s9 bitop3:0xec
	v_bitop3_b16 v118, v118, v120, s9 bitop3:0xec
	v_lshlrev_b32_e32 v118, 16, v118
	v_or_b32_sdwa v179, v180, v118 dst_sel:DWORD dst_unused:UNUSED_PAD src0_sel:WORD_0 src1_sel:DWORD
	v_ashrrev_i32_e32 v180, s18, v183
	v_ashrrev_i32_e32 v118, s20, v181
	v_lshlrev_b32_e32 v180, 2, v180
	v_bfe_u32 v120, v118, 24, 2
	v_and_b32_e32 v118, 0x3030303, v118
	v_and_b32_e32 v180, 0x4040404, v180
	v_sub_u16_e32 v181, v118, v180
	v_sub_u16_sdwa v182, v118, v180 dst_sel:BYTE_1 dst_unused:UNUSED_PAD src0_sel:BYTE_1 src1_sel:BYTE_1
	v_sub_u16_sdwa v118, v118, v180 dst_sel:DWORD dst_unused:UNUSED_PAD src0_sel:WORD_1 src1_sel:WORD_1
	v_sub_u16_sdwa v120, v120, v180 dst_sel:BYTE_1 dst_unused:UNUSED_PAD src0_sel:DWORD src1_sel:BYTE_3
	v_bitop3_b16 v181, v181, v182, s9 bitop3:0xec
	v_bitop3_b16 v118, v118, v120, s9 bitop3:0xec
	v_lshlrev_b32_e32 v118, 16, v118
	v_or_b32_sdwa v180, v181, v118 dst_sel:DWORD dst_unused:UNUSED_PAD src0_sel:WORD_0 src1_sel:DWORD
	v_add_u32_e32 v118, 0x1090, v122
	ds_read2_b32 v[182:183], v118 offset1:1
	v_ashrrev_i32_e32 v181, s18, v190
	v_lshlrev_b32_e32 v181, 2, v181
	v_and_b32_e32 v181, 0x4040404, v181
	v_mov_b32_e32 v210, 0
	s_waitcnt lgkmcnt(0)
	v_ashrrev_i32_e32 v118, s20, v182
	v_bfe_u32 v120, v118, 24, 2
	v_and_b32_e32 v118, 0x3030303, v118
	v_sub_u16_e32 v182, v118, v181
	v_sub_u16_sdwa v189, v118, v181 dst_sel:BYTE_1 dst_unused:UNUSED_PAD src0_sel:BYTE_1 src1_sel:BYTE_1
	v_sub_u16_sdwa v118, v118, v181 dst_sel:DWORD dst_unused:UNUSED_PAD src0_sel:WORD_1 src1_sel:WORD_1
	v_sub_u16_sdwa v120, v120, v181 dst_sel:BYTE_1 dst_unused:UNUSED_PAD src0_sel:DWORD src1_sel:BYTE_3
	v_bitop3_b16 v182, v182, v189, s9 bitop3:0xec
	v_bitop3_b16 v118, v118, v120, s9 bitop3:0xec
	v_lshlrev_b32_e32 v118, 16, v118
	v_or_b32_sdwa v181, v182, v118 dst_sel:DWORD dst_unused:UNUSED_PAD src0_sel:WORD_0 src1_sel:DWORD
	v_ashrrev_i32_e32 v182, s18, v191
	v_ashrrev_i32_e32 v118, s20, v183
	v_lshlrev_b32_e32 v182, 2, v182
	v_bfe_u32 v120, v118, 24, 2
	v_and_b32_e32 v118, 0x3030303, v118
	v_and_b32_e32 v182, 0x4040404, v182
	v_sub_u16_e32 v183, v118, v182
	v_sub_u16_sdwa v189, v118, v182 dst_sel:BYTE_1 dst_unused:UNUSED_PAD src0_sel:BYTE_1 src1_sel:BYTE_1
	v_sub_u16_sdwa v118, v118, v182 dst_sel:DWORD dst_unused:UNUSED_PAD src0_sel:WORD_1 src1_sel:WORD_1
	v_sub_u16_sdwa v120, v120, v182 dst_sel:BYTE_1 dst_unused:UNUSED_PAD src0_sel:DWORD src1_sel:BYTE_3
	v_bitop3_b16 v183, v183, v189, s9 bitop3:0xec
	v_bitop3_b16 v118, v118, v120, s9 bitop3:0xec
	v_lshlrev_b32_e32 v118, 16, v118
	v_or_b32_sdwa v182, v183, v118 dst_sel:DWORD dst_unused:UNUSED_PAD src0_sel:WORD_0 src1_sel:DWORD
	v_add_u32_e32 v118, 0x1098, v122
	ds_read2_b32 v[190:191], v118 offset1:1
	v_ashrrev_i32_e32 v183, s18, v192
	v_lshlrev_b32_e32 v183, 2, v183
	v_and_b32_e32 v183, 0x4040404, v183
	v_mov_b32_e32 v213, 0
	s_waitcnt lgkmcnt(0)
	v_ashrrev_i32_e32 v118, s20, v190
	v_bfe_u32 v120, v118, 24, 2
	v_and_b32_e32 v118, 0x3030303, v118
	v_sub_u16_e32 v184, v118, v183
	v_sub_u16_sdwa v189, v118, v183 dst_sel:BYTE_1 dst_unused:UNUSED_PAD src0_sel:BYTE_1 src1_sel:BYTE_1
	v_sub_u16_sdwa v118, v118, v183 dst_sel:DWORD dst_unused:UNUSED_PAD src0_sel:WORD_1 src1_sel:WORD_1
	v_sub_u16_sdwa v120, v120, v183 dst_sel:BYTE_1 dst_unused:UNUSED_PAD src0_sel:DWORD src1_sel:BYTE_3
	v_bitop3_b16 v184, v184, v189, s9 bitop3:0xec
	v_bitop3_b16 v118, v118, v120, s9 bitop3:0xec
	v_lshlrev_b32_e32 v118, 16, v118
	v_or_b32_sdwa v183, v184, v118 dst_sel:DWORD dst_unused:UNUSED_PAD src0_sel:WORD_0 src1_sel:DWORD
	v_ashrrev_i32_e32 v184, s18, v193
	v_ashrrev_i32_e32 v118, s20, v191
	v_lshlrev_b32_e32 v184, 2, v184
	v_bfe_u32 v120, v118, 24, 2
	v_and_b32_e32 v118, 0x3030303, v118
	v_and_b32_e32 v184, 0x4040404, v184
	v_sub_u16_e32 v189, v118, v184
	v_sub_u16_sdwa v190, v118, v184 dst_sel:BYTE_1 dst_unused:UNUSED_PAD src0_sel:BYTE_1 src1_sel:BYTE_1
	v_sub_u16_sdwa v118, v118, v184 dst_sel:DWORD dst_unused:UNUSED_PAD src0_sel:WORD_1 src1_sel:WORD_1
	v_sub_u16_sdwa v120, v120, v184 dst_sel:BYTE_1 dst_unused:UNUSED_PAD src0_sel:DWORD src1_sel:BYTE_3
	v_bitop3_b16 v189, v189, v190, s9 bitop3:0xec
	v_bitop3_b16 v118, v118, v120, s9 bitop3:0xec
	v_lshlrev_b32_e32 v118, 16, v118
	v_or_b32_sdwa v184, v189, v118 dst_sel:DWORD dst_unused:UNUSED_PAD src0_sel:WORD_0 src1_sel:DWORD
	v_add3_u32 v118, s23, v169, v132
	v_add_u32_e32 v120, 0x2100, v122
	ds_read_b32 v118, v118
	ds_read2_b32 v[190:191], v120 offset1:1
	ds_read2_b32 v[192:193], v198 offset1:1
	ds_read2_b32 v[218:219], v204 offset0:6 offset1:7
	v_mov_b32_e32 v214, 0
	v_mov_b32_e32 v215, 0
	s_waitcnt lgkmcnt(2)
	v_ashrrev_i32_e32 v120, s20, v190
	s_waitcnt lgkmcnt(1)
	v_ashrrev_i32_e32 v190, s18, v192
	v_lshlrev_b32_e32 v190, 2, v190
	v_bfe_u32 v189, v120, 24, 2
	v_and_b32_e32 v120, 0x3030303, v120
	v_and_b32_e32 v190, 0x4040404, v190
	v_sub_u16_e32 v192, v120, v190
	v_sub_u16_sdwa v194, v120, v190 dst_sel:BYTE_1 dst_unused:UNUSED_PAD src0_sel:BYTE_1 src1_sel:BYTE_1
	v_sub_u16_sdwa v120, v120, v190 dst_sel:DWORD dst_unused:UNUSED_PAD src0_sel:WORD_1 src1_sel:WORD_1
	v_sub_u16_sdwa v189, v189, v190 dst_sel:BYTE_1 dst_unused:UNUSED_PAD src0_sel:DWORD src1_sel:BYTE_3
	v_bitop3_b16 v192, v192, v194, s9 bitop3:0xec
	v_bitop3_b16 v120, v120, v189, s9 bitop3:0xec
	v_lshlrev_b32_e32 v120, 16, v120
	v_or_b32_sdwa v189, v192, v120 dst_sel:DWORD dst_unused:UNUSED_PAD src0_sel:WORD_0 src1_sel:DWORD
	v_ashrrev_i32_e32 v120, s20, v191
	v_ashrrev_i32_e32 v191, s18, v193
	v_lshlrev_b32_e32 v191, 2, v191
	v_bfe_u32 v190, v120, 24, 2
	v_and_b32_e32 v120, 0x3030303, v120
	v_and_b32_e32 v191, 0x4040404, v191
	v_sub_u16_e32 v192, v120, v191
	v_sub_u16_sdwa v193, v120, v191 dst_sel:BYTE_1 dst_unused:UNUSED_PAD src0_sel:BYTE_1 src1_sel:BYTE_1
	v_sub_u16_sdwa v120, v120, v191 dst_sel:DWORD dst_unused:UNUSED_PAD src0_sel:WORD_1 src1_sel:WORD_1
	v_sub_u16_sdwa v190, v190, v191 dst_sel:BYTE_1 dst_unused:UNUSED_PAD src0_sel:DWORD src1_sel:BYTE_3
	v_bitop3_b16 v192, v192, v193, s9 bitop3:0xec
	v_bitop3_b16 v120, v120, v190, s9 bitop3:0xec
	v_lshlrev_b32_e32 v120, 16, v120
	v_or_b32_sdwa v190, v192, v120 dst_sel:DWORD dst_unused:UNUSED_PAD src0_sel:WORD_0 src1_sel:DWORD
	v_add_u32_e32 v120, 0x2108, v122
	ds_read2_b32 v[192:193], v120 offset1:1
	ds_read2_b32 v[194:195], v198 offset0:2 offset1:3
	v_mov_b32_e32 v224, 0
	v_dot4c_i32_i8_e32 v206, v126, v4
	v_dot4c_i32_i8_e32 v207, v185, v0
	s_waitcnt lgkmcnt(1)
	v_ashrrev_i32_e32 v120, s20, v192
	s_waitcnt lgkmcnt(0)
	v_ashrrev_i32_e32 v192, s18, v194
	v_lshlrev_b32_e32 v192, 2, v192
	v_bfe_u32 v191, v120, 24, 2
	v_and_b32_e32 v120, 0x3030303, v120
	v_and_b32_e32 v192, 0x4040404, v192
	v_sub_u16_e32 v194, v120, v192
	v_sub_u16_sdwa v196, v120, v192 dst_sel:BYTE_1 dst_unused:UNUSED_PAD src0_sel:BYTE_1 src1_sel:BYTE_1
	v_sub_u16_sdwa v120, v120, v192 dst_sel:DWORD dst_unused:UNUSED_PAD src0_sel:WORD_1 src1_sel:WORD_1
	v_sub_u16_sdwa v191, v191, v192 dst_sel:BYTE_1 dst_unused:UNUSED_PAD src0_sel:DWORD src1_sel:BYTE_3
	v_bitop3_b16 v194, v194, v196, s9 bitop3:0xec
	v_bitop3_b16 v120, v120, v191, s9 bitop3:0xec
	v_lshlrev_b32_e32 v120, 16, v120
	v_or_b32_sdwa v191, v194, v120 dst_sel:DWORD dst_unused:UNUSED_PAD src0_sel:WORD_0 src1_sel:DWORD
	v_ashrrev_i32_e32 v120, s20, v193
	v_ashrrev_i32_e32 v193, s18, v195
	v_lshlrev_b32_e32 v193, 2, v193
	v_bfe_u32 v192, v120, 24, 2
	v_and_b32_e32 v120, 0x3030303, v120
	v_and_b32_e32 v193, 0x4040404, v193
	v_sub_u16_e32 v194, v120, v193
	v_sub_u16_sdwa v195, v120, v193 dst_sel:BYTE_1 dst_unused:UNUSED_PAD src0_sel:BYTE_1 src1_sel:BYTE_1
	v_sub_u16_sdwa v120, v120, v193 dst_sel:DWORD dst_unused:UNUSED_PAD src0_sel:WORD_1 src1_sel:WORD_1
	v_sub_u16_sdwa v192, v192, v193 dst_sel:BYTE_1 dst_unused:UNUSED_PAD src0_sel:DWORD src1_sel:BYTE_3
	v_bitop3_b16 v194, v194, v195, s9 bitop3:0xec
	v_bitop3_b16 v120, v120, v192, s9 bitop3:0xec
	v_lshlrev_b32_e32 v120, 16, v120
	v_or_b32_sdwa v192, v194, v120 dst_sel:DWORD dst_unused:UNUSED_PAD src0_sel:WORD_0 src1_sel:DWORD
	v_add_u32_e32 v120, 0x2110, v122
	ds_read2_b32 v[194:195], v120 offset1:1
	ds_read2_b32 v[196:197], v198 offset0:4 offset1:5
	v_dot4c_i32_i8_e32 v210, v177, v4
	v_dot4c_i32_i8_e32 v213, v181, v0
	;; [unrolled: 1-line block ×3, first 2 shown]
	s_waitcnt lgkmcnt(1)
	v_ashrrev_i32_e32 v120, s20, v194
	s_waitcnt lgkmcnt(0)
	v_ashrrev_i32_e32 v194, s18, v196
	v_lshlrev_b32_e32 v194, 2, v194
	v_bfe_u32 v193, v120, 24, 2
	v_and_b32_e32 v120, 0x3030303, v120
	v_and_b32_e32 v194, 0x4040404, v194
	v_sub_u16_e32 v196, v120, v194
	v_sub_u16_sdwa v199, v120, v194 dst_sel:BYTE_1 dst_unused:UNUSED_PAD src0_sel:BYTE_1 src1_sel:BYTE_1
	v_sub_u16_sdwa v120, v120, v194 dst_sel:DWORD dst_unused:UNUSED_PAD src0_sel:WORD_1 src1_sel:WORD_1
	v_sub_u16_sdwa v193, v193, v194 dst_sel:BYTE_1 dst_unused:UNUSED_PAD src0_sel:DWORD src1_sel:BYTE_3
	v_bitop3_b16 v196, v196, v199, s9 bitop3:0xec
	v_bitop3_b16 v120, v120, v193, s9 bitop3:0xec
	v_lshlrev_b32_e32 v120, 16, v120
	v_or_b32_sdwa v193, v196, v120 dst_sel:DWORD dst_unused:UNUSED_PAD src0_sel:WORD_0 src1_sel:DWORD
	v_ashrrev_i32_e32 v120, s20, v195
	v_ashrrev_i32_e32 v195, s18, v197
	v_lshlrev_b32_e32 v195, 2, v195
	v_bfe_u32 v194, v120, 24, 2
	v_and_b32_e32 v120, 0x3030303, v120
	v_and_b32_e32 v195, 0x4040404, v195
	v_sub_u16_e32 v196, v120, v195
	v_sub_u16_sdwa v197, v120, v195 dst_sel:BYTE_1 dst_unused:UNUSED_PAD src0_sel:BYTE_1 src1_sel:BYTE_1
	v_sub_u16_sdwa v120, v120, v195 dst_sel:DWORD dst_unused:UNUSED_PAD src0_sel:WORD_1 src1_sel:WORD_1
	v_sub_u16_sdwa v194, v194, v195 dst_sel:BYTE_1 dst_unused:UNUSED_PAD src0_sel:DWORD src1_sel:BYTE_3
	v_bitop3_b16 v196, v196, v197, s9 bitop3:0xec
	v_bitop3_b16 v120, v120, v194, s9 bitop3:0xec
	v_lshlrev_b32_e32 v120, 16, v120
	v_or_b32_sdwa v194, v196, v120 dst_sel:DWORD dst_unused:UNUSED_PAD src0_sel:WORD_0 src1_sel:DWORD
	v_add_u32_e32 v120, 0x2118, v122
	ds_read2_b32 v[196:197], v120 offset1:1
	ds_read2_b32 v[198:199], v198 offset0:6 offset1:7
	v_dot4c_i32_i8_e32 v215, v193, v0
	v_dot4c_i32_i8_e32 v206, v127, v5
	;; [unrolled: 1-line block ×3, first 2 shown]
	s_waitcnt lgkmcnt(1)
	v_ashrrev_i32_e32 v120, s20, v196
	s_waitcnt lgkmcnt(0)
	v_ashrrev_i32_e32 v196, s18, v198
	v_lshlrev_b32_e32 v196, 2, v196
	v_bfe_u32 v195, v120, 24, 2
	v_and_b32_e32 v120, 0x3030303, v120
	v_and_b32_e32 v196, 0x4040404, v196
	v_sub_u16_e32 v198, v120, v196
	v_sub_u16_sdwa v200, v120, v196 dst_sel:BYTE_1 dst_unused:UNUSED_PAD src0_sel:BYTE_1 src1_sel:BYTE_1
	v_sub_u16_sdwa v120, v120, v196 dst_sel:DWORD dst_unused:UNUSED_PAD src0_sel:WORD_1 src1_sel:WORD_1
	v_sub_u16_sdwa v195, v195, v196 dst_sel:BYTE_1 dst_unused:UNUSED_PAD src0_sel:DWORD src1_sel:BYTE_3
	v_bitop3_b16 v198, v198, v200, s9 bitop3:0xec
	v_bitop3_b16 v120, v120, v195, s9 bitop3:0xec
	v_lshlrev_b32_e32 v120, 16, v120
	v_or_b32_sdwa v195, v198, v120 dst_sel:DWORD dst_unused:UNUSED_PAD src0_sel:WORD_0 src1_sel:DWORD
	v_ashrrev_i32_e32 v120, s20, v197
	v_ashrrev_i32_e32 v197, s18, v199
	v_lshlrev_b32_e32 v197, 2, v197
	v_bfe_u32 v196, v120, 24, 2
	v_and_b32_e32 v120, 0x3030303, v120
	v_and_b32_e32 v197, 0x4040404, v197
	v_sub_u16_e32 v198, v120, v197
	v_sub_u16_sdwa v199, v120, v197 dst_sel:BYTE_1 dst_unused:UNUSED_PAD src0_sel:BYTE_1 src1_sel:BYTE_1
	v_sub_u16_sdwa v120, v120, v197 dst_sel:DWORD dst_unused:UNUSED_PAD src0_sel:WORD_1 src1_sel:WORD_1
	v_sub_u16_sdwa v196, v196, v197 dst_sel:BYTE_1 dst_unused:UNUSED_PAD src0_sel:DWORD src1_sel:BYTE_3
	v_bitop3_b16 v198, v198, v199, s9 bitop3:0xec
	v_bitop3_b16 v120, v120, v196, s9 bitop3:0xec
	v_lshlrev_b32_e32 v120, 16, v120
	v_add_u32_e32 v197, 0x3180, v122
	v_or_b32_sdwa v196, v198, v120 dst_sel:DWORD dst_unused:UNUSED_PAD src0_sel:WORD_0 src1_sel:DWORD
	ds_read2_b32 v[198:199], v197 offset1:1
	ds_read2_b32 v[200:201], v204 offset1:1
	v_add3_u32 v120, s23, v171, v136
	ds_read_b32 v120, v120
	v_dot4c_i32_i8_e32 v210, v178, v5
	s_waitcnt lgkmcnt(2)
	v_ashrrev_i32_e32 v197, s20, v198
	s_waitcnt lgkmcnt(1)
	v_ashrrev_i32_e32 v200, s18, v200
	v_lshlrev_b32_e32 v200, 2, v200
	v_bfe_u32 v198, v197, 24, 2
	v_and_b32_e32 v197, 0x3030303, v197
	v_and_b32_e32 v200, 0x4040404, v200
	v_sub_u16_e32 v202, v197, v200
	v_sub_u16_sdwa v203, v197, v200 dst_sel:BYTE_1 dst_unused:UNUSED_PAD src0_sel:BYTE_1 src1_sel:BYTE_1
	v_sub_u16_sdwa v197, v197, v200 dst_sel:DWORD dst_unused:UNUSED_PAD src0_sel:WORD_1 src1_sel:WORD_1
	v_sub_u16_sdwa v198, v198, v200 dst_sel:BYTE_1 dst_unused:UNUSED_PAD src0_sel:DWORD src1_sel:BYTE_3
	v_ashrrev_i32_e32 v200, s18, v201
	v_bitop3_b16 v197, v197, v198, s9 bitop3:0xec
	v_ashrrev_i32_e32 v198, s20, v199
	v_lshlrev_b32_e32 v200, 2, v200
	v_bitop3_b16 v202, v202, v203, s9 bitop3:0xec
	v_lshlrev_b32_e32 v197, 16, v197
	v_bfe_u32 v199, v198, 24, 2
	v_and_b32_e32 v198, 0x3030303, v198
	v_and_b32_e32 v200, 0x4040404, v200
	v_or_b32_sdwa v197, v202, v197 dst_sel:DWORD dst_unused:UNUSED_PAD src0_sel:WORD_0 src1_sel:DWORD
	v_sub_u16_e32 v201, v198, v200
	v_sub_u16_sdwa v202, v198, v200 dst_sel:BYTE_1 dst_unused:UNUSED_PAD src0_sel:BYTE_1 src1_sel:BYTE_1
	v_sub_u16_sdwa v198, v198, v200 dst_sel:DWORD dst_unused:UNUSED_PAD src0_sel:WORD_1 src1_sel:WORD_1
	v_sub_u16_sdwa v199, v199, v200 dst_sel:BYTE_1 dst_unused:UNUSED_PAD src0_sel:DWORD src1_sel:BYTE_3
	v_bitop3_b16 v201, v201, v202, s9 bitop3:0xec
	v_bitop3_b16 v198, v198, v199, s9 bitop3:0xec
	v_lshlrev_b32_e32 v198, 16, v198
	v_add_u32_e32 v199, 0x3188, v122
	v_or_b32_sdwa v198, v201, v198 dst_sel:DWORD dst_unused:UNUSED_PAD src0_sel:WORD_0 src1_sel:DWORD
	ds_read2_b32 v[200:201], v199 offset1:1
	ds_read2_b32 v[202:203], v204 offset0:2 offset1:3
	v_ashrrev_i32_e32 v204, s18, v218
	v_lshlrev_b32_e32 v204, 2, v204
	v_and_b32_e32 v204, 0x4040404, v204
	s_waitcnt lgkmcnt(1)
	v_ashrrev_i32_e32 v199, s20, v200
	s_waitcnt lgkmcnt(0)
	v_ashrrev_i32_e32 v202, s18, v202
	v_lshlrev_b32_e32 v202, 2, v202
	v_bfe_u32 v200, v199, 24, 2
	v_and_b32_e32 v199, 0x3030303, v199
	v_and_b32_e32 v202, 0x4040404, v202
	v_sub_u16_e32 v211, v199, v202
	v_sub_u16_sdwa v212, v199, v202 dst_sel:BYTE_1 dst_unused:UNUSED_PAD src0_sel:BYTE_1 src1_sel:BYTE_1
	v_sub_u16_sdwa v199, v199, v202 dst_sel:DWORD dst_unused:UNUSED_PAD src0_sel:WORD_1 src1_sel:WORD_1
	v_sub_u16_sdwa v200, v200, v202 dst_sel:BYTE_1 dst_unused:UNUSED_PAD src0_sel:DWORD src1_sel:BYTE_3
	v_ashrrev_i32_e32 v202, s18, v203
	v_bitop3_b16 v199, v199, v200, s9 bitop3:0xec
	v_ashrrev_i32_e32 v200, s20, v201
	v_lshlrev_b32_e32 v202, 2, v202
	v_bitop3_b16 v211, v211, v212, s9 bitop3:0xec
	v_lshlrev_b32_e32 v199, 16, v199
	v_bfe_u32 v201, v200, 24, 2
	v_and_b32_e32 v200, 0x3030303, v200
	v_and_b32_e32 v202, 0x4040404, v202
	v_or_b32_sdwa v199, v211, v199 dst_sel:DWORD dst_unused:UNUSED_PAD src0_sel:WORD_0 src1_sel:DWORD
	v_sub_u16_e32 v203, v200, v202
	v_sub_u16_sdwa v211, v200, v202 dst_sel:BYTE_1 dst_unused:UNUSED_PAD src0_sel:BYTE_1 src1_sel:BYTE_1
	v_sub_u16_sdwa v200, v200, v202 dst_sel:DWORD dst_unused:UNUSED_PAD src0_sel:WORD_1 src1_sel:WORD_1
	v_sub_u16_sdwa v201, v201, v202 dst_sel:BYTE_1 dst_unused:UNUSED_PAD src0_sel:DWORD src1_sel:BYTE_3
	v_bitop3_b16 v203, v203, v211, s9 bitop3:0xec
	v_bitop3_b16 v200, v200, v201, s9 bitop3:0xec
	v_lshlrev_b32_e32 v200, 16, v200
	v_add_u32_e32 v201, 0x3190, v122
	v_or_b32_sdwa v200, v203, v200 dst_sel:DWORD dst_unused:UNUSED_PAD src0_sel:WORD_0 src1_sel:DWORD
	ds_read2_b32 v[202:203], v201 offset1:1
	v_ashrrev_i32_e32 v211, s18, v216
	v_lshlrev_b32_e32 v211, 2, v211
	v_and_b32_e32 v211, 0x4040404, v211
	v_add_u32_e32 v122, 0x3198, v122
	s_waitcnt lgkmcnt(0)
	v_ashrrev_i32_e32 v201, s20, v202
	v_bfe_u32 v202, v201, 24, 2
	v_and_b32_e32 v201, 0x3030303, v201
	v_sub_u16_e32 v212, v201, v211
	v_sub_u16_sdwa v216, v201, v211 dst_sel:BYTE_1 dst_unused:UNUSED_PAD src0_sel:BYTE_1 src1_sel:BYTE_1
	v_sub_u16_sdwa v201, v201, v211 dst_sel:DWORD dst_unused:UNUSED_PAD src0_sel:WORD_1 src1_sel:WORD_1
	v_sub_u16_sdwa v202, v202, v211 dst_sel:BYTE_1 dst_unused:UNUSED_PAD src0_sel:DWORD src1_sel:BYTE_3
	v_ashrrev_i32_e32 v211, s18, v217
	v_bitop3_b16 v201, v201, v202, s9 bitop3:0xec
	v_ashrrev_i32_e32 v202, s20, v203
	v_lshlrev_b32_e32 v211, 2, v211
	v_bitop3_b16 v212, v212, v216, s9 bitop3:0xec
	v_lshlrev_b32_e32 v201, 16, v201
	v_bfe_u32 v203, v202, 24, 2
	v_and_b32_e32 v202, 0x3030303, v202
	v_and_b32_e32 v211, 0x4040404, v211
	v_or_b32_sdwa v201, v212, v201 dst_sel:DWORD dst_unused:UNUSED_PAD src0_sel:WORD_0 src1_sel:DWORD
	v_sub_u16_e32 v212, v202, v211
	v_sub_u16_sdwa v216, v202, v211 dst_sel:BYTE_1 dst_unused:UNUSED_PAD src0_sel:BYTE_1 src1_sel:BYTE_1
	v_sub_u16_sdwa v202, v202, v211 dst_sel:DWORD dst_unused:UNUSED_PAD src0_sel:WORD_1 src1_sel:WORD_1
	v_bitop3_b16 v212, v212, v216, s9 bitop3:0xec
	ds_read2_b32 v[216:217], v122 offset1:1
	v_sub_u16_sdwa v203, v203, v211 dst_sel:BYTE_1 dst_unused:UNUSED_PAD src0_sel:DWORD src1_sel:BYTE_3
	v_dot4c_i32_i8_e32 v224, v201, v0
	v_bitop3_b16 v202, v202, v203, s9 bitop3:0xec
	v_lshlrev_b32_e32 v202, 16, v202
	s_waitcnt lgkmcnt(0)
	v_ashrrev_i32_e32 v122, s20, v216
	v_bfe_u32 v203, v122, 24, 2
	v_and_b32_e32 v122, 0x3030303, v122
	v_or_b32_sdwa v202, v212, v202 dst_sel:DWORD dst_unused:UNUSED_PAD src0_sel:WORD_0 src1_sel:DWORD
	v_sub_u16_e32 v211, v122, v204
	v_sub_u16_sdwa v212, v122, v204 dst_sel:BYTE_1 dst_unused:UNUSED_PAD src0_sel:BYTE_1 src1_sel:BYTE_1
	v_sub_u16_sdwa v122, v122, v204 dst_sel:DWORD dst_unused:UNUSED_PAD src0_sel:WORD_1 src1_sel:WORD_1
	v_sub_u16_sdwa v203, v203, v204 dst_sel:BYTE_1 dst_unused:UNUSED_PAD src0_sel:DWORD src1_sel:BYTE_3
	v_bitop3_b16 v211, v211, v212, s9 bitop3:0xec
	v_bitop3_b16 v122, v122, v203, s9 bitop3:0xec
	v_lshlrev_b32_e32 v122, 16, v122
	v_or_b32_sdwa v203, v211, v122 dst_sel:DWORD dst_unused:UNUSED_PAD src0_sel:WORD_0 src1_sel:DWORD
	v_ashrrev_i32_e32 v211, s18, v219
	v_ashrrev_i32_e32 v122, s20, v217
	v_lshlrev_b32_e32 v211, 2, v211
	v_bfe_u32 v204, v122, 24, 2
	v_and_b32_e32 v122, 0x3030303, v122
	v_and_b32_e32 v211, 0x4040404, v211
	v_sub_u16_e32 v212, v122, v211
	v_sub_u16_sdwa v216, v122, v211 dst_sel:BYTE_1 dst_unused:UNUSED_PAD src0_sel:BYTE_1 src1_sel:BYTE_1
	v_sub_u16_sdwa v122, v122, v211 dst_sel:DWORD dst_unused:UNUSED_PAD src0_sel:WORD_1 src1_sel:WORD_1
	v_sub_u16_sdwa v204, v204, v211 dst_sel:BYTE_1 dst_unused:UNUSED_PAD src0_sel:DWORD src1_sel:BYTE_3
	v_mov_b32_e32 v217, 0
	v_bitop3_b16 v122, v122, v204, s9 bitop3:0xec
	v_dot4c_i32_i8_e32 v217, v197, v4
	v_dot4c_i32_i8_e32 v213, v182, v1
	;; [unrolled: 1-line block ×4, first 2 shown]
	v_bitop3_b16 v212, v212, v216, s9 bitop3:0xec
	v_lshlrev_b32_e32 v122, 16, v122
	v_dot4c_i32_i8_e32 v217, v198, v5
	v_dot4c_i32_i8_e32 v224, v202, v1
	;; [unrolled: 1-line block ×8, first 2 shown]
	v_or_b32_sdwa v204, v212, v122 dst_sel:DWORD dst_unused:UNUSED_PAD src0_sel:WORD_0 src1_sel:DWORD
	v_add3_u32 v122, s23, v173, v140
	v_dot4c_i32_i8_e32 v217, v199, v6
	v_dot4c_i32_i8_e32 v224, v203, v2
	v_add_u32_e32 v205, s21, v145
	v_dot4c_i32_i8_e32 v206, v129, v7
	v_dot4c_i32_i8_e32 v207, v188, v3
	;; [unrolled: 1-line block ×6, first 2 shown]
	ds_read_b32 v122, v122
	v_dot4c_i32_i8_e32 v217, v200, v7
	v_dot4c_i32_i8_e32 v224, v204, v3
	ds_read_b128 v[4:7], v175 offset:1024
	ds_read_b128 v[0:3], v175 offset:1040
	ds_read_u16 v205, v205 offset:2
	v_mov_b32_e32 v218, 0
	v_mov_b32_e32 v219, 0
	s_waitcnt lgkmcnt(2)
	v_dot4c_i32_i8_e32 v218, v126, v4
	v_dot4c_i32_i8_e32 v218, v127, v5
	s_waitcnt lgkmcnt(1)
	v_dot4c_i32_i8_e32 v219, v185, v0
	v_dot4c_i32_i8_e32 v218, v128, v6
	;; [unrolled: 1-line block ×3, first 2 shown]
	s_waitcnt lgkmcnt(0)
	v_lshrrev_b16_e32 v211, 8, v205
	v_dot4c_i32_i8_e32 v218, v129, v7
	v_dot4c_i32_i8_e32 v219, v187, v2
	v_bfe_i32 v211, v211, 0, 8
	v_bfe_i32 v212, v205, 0, 8
	v_dot4c_i32_i8_e32 v219, v188, v3
	v_mul_lo_u32 v218, v218, v212
	v_mul_lo_u32 v220, v207, v211
	v_mad_u64_u32 v[206:207], s[22:23], v206, v212, v[220:221]
	v_mad_u64_u32 v[218:219], s[22:23], v219, v211, v[218:219]
	v_cvt_f32_i32_e32 v207, v218
	v_cvt_f32_i32_e32 v206, v206
	v_add_u32_e32 v208, s21, v147
	v_pk_mul_f32 v[220:221], v[116:117], v[124:125] op_sel_hi:[0,1]
	v_add_u32_e32 v209, s21, v149
	v_pk_fma_f32 v[48:49], v[220:221], v[206:207], v[48:49]
	ds_read_u16 v206, v208 offset:2
	v_mov_b32_e32 v207, 0
	v_dot4c_i32_i8_e32 v207, v177, v4
	v_mov_b32_e32 v220, 0
	v_dot4c_i32_i8_e32 v207, v178, v5
	v_dot4c_i32_i8_e32 v220, v181, v0
	;; [unrolled: 1-line block ×6, first 2 shown]
	s_waitcnt lgkmcnt(0)
	v_lshrrev_b16_e32 v205, 8, v206
	v_bfe_i32 v206, v206, 0, 8
	v_dot4c_i32_i8_e32 v220, v184, v3
	v_bfe_i32 v205, v205, 0, 8
	v_mul_lo_u32 v208, v207, v206
	v_mul_lo_u32 v218, v213, v205
	v_mad_u64_u32 v[220:221], s[22:23], v220, v205, v[208:209]
	ds_read_u16 v208, v209 offset:2
	v_mad_u64_u32 v[218:219], s[22:23], v210, v206, v[218:219]
	v_mov_b32_e32 v207, 0
	v_cvt_f32_i32_e32 v219, v220
	v_cvt_f32_i32_e32 v218, v218
	v_dot4c_i32_i8_e32 v207, v189, v4
	v_mov_b32_e32 v213, 0
	v_dot4c_i32_i8_e32 v207, v190, v5
	v_dot4c_i32_i8_e32 v213, v193, v0
	;; [unrolled: 1-line block ×4, first 2 shown]
	s_waitcnt lgkmcnt(0)
	v_lshrrev_b16_e32 v209, 8, v208
	v_pk_mul_f32 v[222:223], v[118:119], v[124:125] op_sel_hi:[0,1]
	v_dot4c_i32_i8_e32 v207, v192, v7
	v_dot4c_i32_i8_e32 v213, v195, v2
	v_bfe_i32 v209, v209, 0, 8
	v_bfe_i32 v210, v208, 0, 8
	v_pk_fma_f32 v[104:105], v[222:223], v[218:219], v[104:105]
	v_dot4c_i32_i8_e32 v213, v196, v3
	v_mul_lo_u32 v208, v207, v210
	v_mul_lo_u32 v218, v215, v209
	v_mad_u64_u32 v[214:215], s[22:23], v214, v210, v[218:219]
	v_mad_u64_u32 v[218:219], s[22:23], v213, v209, v[208:209]
	v_mov_b32_e32 v213, 0
	v_add_u32_e32 v216, s21, v151
	v_dot4c_i32_i8_e32 v213, v197, v4
	v_mov_b32_e32 v4, 0
	v_dot4c_i32_i8_e32 v4, v201, v0
	ds_read_u16 v0, v216 offset:2
	v_dot4c_i32_i8_e32 v213, v198, v5
	v_dot4c_i32_i8_e32 v213, v199, v6
	;; [unrolled: 1-line block ×4, first 2 shown]
	s_waitcnt lgkmcnt(0)
	v_lshrrev_b16_e32 v1, 8, v0
	v_dot4c_i32_i8_e32 v4, v203, v2
	v_bfe_i32 v207, v1, 0, 8
	v_bfe_i32 v208, v0, 0, 8
	v_dot4c_i32_i8_e32 v4, v204, v3
	v_mul_lo_u32 v0, v213, v208
	v_mul_lo_u32 v2, v224, v207
	v_mad_u64_u32 v[2:3], s[22:23], v217, v208, v[2:3]
	v_mad_u64_u32 v[0:1], s[22:23], v4, v207, v[0:1]
	v_cvt_f32_i32_e32 v1, v0
	v_cvt_f32_i32_e32 v0, v2
	v_pk_mul_f32 v[4:5], v[122:123], v[124:125] op_sel_hi:[0,1]
	v_pk_mul_f32 v[220:221], v[120:121], v[124:125] op_sel_hi:[0,1]
	v_cvt_f32_i32_e32 v215, v218
	v_cvt_f32_i32_e32 v214, v214
	v_pk_fma_f32 v[114:115], v[4:5], v[0:1], v[114:115]
	ds_read2_b32 v[124:125], v176 offset0:64 offset1:96
	ds_read_b128 v[0:3], v175 offset:2048
	ds_read_b128 v[4:7], v175 offset:2064
	v_mov_b32_e32 v213, 0
	v_pk_fma_f32 v[110:111], v[220:221], v[214:215], v[110:111]
	v_mov_b32_e32 v215, 0
	v_mov_b32_e32 v220, 0
	;; [unrolled: 1-line block ×7, first 2 shown]
	s_waitcnt lgkmcnt(1)
	v_dot4c_i32_i8_e32 v213, v126, v0
	s_waitcnt lgkmcnt(0)
	v_dot4c_i32_i8_e32 v215, v185, v4
	v_dot4c_i32_i8_e32 v220, v177, v0
	v_dot4c_i32_i8_e32 v221, v181, v4
	v_dot4c_i32_i8_e32 v222, v189, v0
	v_dot4c_i32_i8_e32 v223, v193, v4
	v_dot4c_i32_i8_e32 v224, v197, v0
	v_dot4c_i32_i8_e32 v225, v201, v4
	v_dot4c_i32_i8_e32 v213, v127, v1
	v_dot4c_i32_i8_e32 v215, v186, v5
	v_dot4c_i32_i8_e32 v220, v178, v1
	v_dot4c_i32_i8_e32 v221, v182, v5
	v_dot4c_i32_i8_e32 v222, v190, v1
	v_dot4c_i32_i8_e32 v223, v194, v5
	v_dot4c_i32_i8_e32 v224, v198, v1
	v_dot4c_i32_i8_e32 v225, v202, v5
	v_dot4c_i32_i8_e32 v213, v128, v2
	v_dot4c_i32_i8_e32 v215, v187, v6
	v_dot4c_i32_i8_e32 v220, v179, v2
	v_dot4c_i32_i8_e32 v221, v183, v6
	v_dot4c_i32_i8_e32 v222, v191, v2
	v_dot4c_i32_i8_e32 v223, v195, v6
	v_dot4c_i32_i8_e32 v224, v199, v2
	v_dot4c_i32_i8_e32 v225, v203, v6
	v_dot4c_i32_i8_e32 v213, v129, v3
	v_dot4c_i32_i8_e32 v215, v188, v7
	v_dot4c_i32_i8_e32 v220, v180, v3
	v_dot4c_i32_i8_e32 v221, v184, v7
	v_dot4c_i32_i8_e32 v222, v192, v3
	v_dot4c_i32_i8_e32 v223, v196, v7
	v_dot4c_i32_i8_e32 v224, v200, v3
	v_dot4c_i32_i8_e32 v225, v204, v7
	ds_read_b128 v[0:3], v175 offset:3072
	ds_read_b128 v[4:7], v175 offset:3088
	v_mov_b32_e32 v214, 0
	v_mov_b32_e32 v218, 0
	v_mul_lo_u32 v216, v215, v211
	s_waitcnt lgkmcnt(1)
	v_dot4c_i32_i8_e32 v214, v126, v0
	v_dot4c_i32_i8_e32 v214, v127, v1
	s_waitcnt lgkmcnt(0)
	v_dot4c_i32_i8_e32 v218, v185, v4
	v_dot4c_i32_i8_e32 v214, v128, v2
	;; [unrolled: 1-line block ×6, first 2 shown]
	v_mad_u64_u32 v[216:217], s[22:23], v213, v212, v[216:217]
	v_mul_lo_u32 v214, v214, v212
	s_nop 0
	v_mad_u64_u32 v[214:215], s[22:23], v218, v211, v[214:215]
	v_cvt_f32_i32_e32 v215, v214
	v_cvt_f32_i32_e32 v214, v216
	v_pk_mul_f32 v[218:219], v[116:117], v[124:125] op_sel_hi:[0,1]
	v_mov_b32_e32 v213, 0
	v_dot4c_i32_i8_e32 v213, v177, v0
	v_pk_fma_f32 v[86:87], v[218:219], v[214:215], v[86:87]
	v_mov_b32_e32 v215, 0
	v_dot4c_i32_i8_e32 v213, v178, v1
	v_dot4c_i32_i8_e32 v215, v181, v4
	;; [unrolled: 1-line block ×7, first 2 shown]
	v_mul_lo_u32 v216, v221, v205
	v_mul_lo_u32 v214, v213, v206
	v_mad_u64_u32 v[216:217], s[22:23], v220, v206, v[216:217]
	v_mad_u64_u32 v[214:215], s[22:23], v215, v205, v[214:215]
	v_mov_b32_e32 v213, 0
	v_cvt_f32_i32_e32 v215, v214
	v_cvt_f32_i32_e32 v214, v216
	v_dot4c_i32_i8_e32 v213, v189, v0
	v_dot4c_i32_i8_e32 v213, v190, v1
	;; [unrolled: 1-line block ×3, first 2 shown]
	v_pk_mul_f32 v[218:219], v[118:119], v[124:125] op_sel_hi:[0,1]
	v_dot4c_i32_i8_e32 v213, v192, v3
	v_pk_fma_f32 v[98:99], v[218:219], v[214:215], v[98:99]
	v_mov_b32_e32 v215, 0
	v_dot4c_i32_i8_e32 v215, v193, v4
	v_mul_lo_u32 v214, v213, v210
	v_mov_b32_e32 v213, 0
	v_dot4c_i32_i8_e32 v213, v197, v0
	v_dot4c_i32_i8_e32 v213, v198, v1
	v_mov_b32_e32 v1, 0
	v_dot4c_i32_i8_e32 v1, v201, v4
	v_dot4c_i32_i8_e32 v213, v199, v2
	;; [unrolled: 1-line block ×6, first 2 shown]
	v_mul_lo_u32 v2, v225, v207
	v_mul_lo_u32 v0, v213, v208
	v_mad_u64_u32 v[2:3], s[22:23], v224, v208, v[2:3]
	v_mad_u64_u32 v[0:1], s[22:23], v1, v207, v[0:1]
	v_dot4c_i32_i8_e32 v215, v194, v5
	v_cvt_f32_i32_e32 v1, v0
	v_cvt_f32_i32_e32 v0, v2
	v_dot4c_i32_i8_e32 v215, v195, v6
	v_dot4c_i32_i8_e32 v215, v196, v7
	v_mul_lo_u32 v216, v223, v209
	v_mad_u64_u32 v[216:217], s[22:23], v222, v210, v[216:217]
	s_nop 0
	v_mad_u64_u32 v[214:215], s[22:23], v215, v209, v[214:215]
	v_pk_mul_f32 v[4:5], v[122:123], v[124:125] op_sel_hi:[0,1]
	v_pk_mul_f32 v[218:219], v[120:121], v[124:125] op_sel_hi:[0,1]
	v_cvt_f32_i32_e32 v215, v214
	v_cvt_f32_i32_e32 v214, v216
	v_pk_fma_f32 v[112:113], v[4:5], v[0:1], v[112:113]
	ds_read2_b32 v[124:125], v176 offset0:128 offset1:160
	ds_read_b128 v[0:3], v175 offset:4096
	ds_read_b128 v[4:7], v175 offset:4112
	v_mov_b32_e32 v213, 0
	v_pk_fma_f32 v[106:107], v[218:219], v[214:215], v[106:107]
	v_mov_b32_e32 v215, 0
	v_mov_b32_e32 v220, 0
	;; [unrolled: 1-line block ×7, first 2 shown]
	s_waitcnt lgkmcnt(1)
	v_dot4c_i32_i8_e32 v213, v126, v0
	s_waitcnt lgkmcnt(0)
	v_dot4c_i32_i8_e32 v215, v185, v4
	v_dot4c_i32_i8_e32 v220, v177, v0
	v_dot4c_i32_i8_e32 v221, v181, v4
	v_dot4c_i32_i8_e32 v222, v189, v0
	v_dot4c_i32_i8_e32 v223, v193, v4
	v_dot4c_i32_i8_e32 v224, v197, v0
	v_dot4c_i32_i8_e32 v225, v201, v4
	v_dot4c_i32_i8_e32 v213, v127, v1
	v_dot4c_i32_i8_e32 v215, v186, v5
	v_dot4c_i32_i8_e32 v220, v178, v1
	v_dot4c_i32_i8_e32 v221, v182, v5
	v_dot4c_i32_i8_e32 v222, v190, v1
	v_dot4c_i32_i8_e32 v223, v194, v5
	v_dot4c_i32_i8_e32 v224, v198, v1
	v_dot4c_i32_i8_e32 v225, v202, v5
	v_dot4c_i32_i8_e32 v213, v128, v2
	v_dot4c_i32_i8_e32 v215, v187, v6
	v_dot4c_i32_i8_e32 v220, v179, v2
	v_dot4c_i32_i8_e32 v221, v183, v6
	v_dot4c_i32_i8_e32 v222, v191, v2
	v_dot4c_i32_i8_e32 v223, v195, v6
	v_dot4c_i32_i8_e32 v224, v199, v2
	v_dot4c_i32_i8_e32 v225, v203, v6
	v_dot4c_i32_i8_e32 v213, v129, v3
	v_dot4c_i32_i8_e32 v215, v188, v7
	v_dot4c_i32_i8_e32 v220, v180, v3
	v_dot4c_i32_i8_e32 v221, v184, v7
	v_dot4c_i32_i8_e32 v222, v192, v3
	v_dot4c_i32_i8_e32 v223, v196, v7
	v_dot4c_i32_i8_e32 v224, v200, v3
	v_dot4c_i32_i8_e32 v225, v204, v7
	ds_read_b128 v[0:3], v175 offset:5120
	ds_read_b128 v[4:7], v175 offset:5136
	v_mov_b32_e32 v214, 0
	v_mov_b32_e32 v218, 0
	v_mul_lo_u32 v216, v215, v211
	s_waitcnt lgkmcnt(1)
	v_dot4c_i32_i8_e32 v214, v126, v0
	v_dot4c_i32_i8_e32 v214, v127, v1
	s_waitcnt lgkmcnt(0)
	v_dot4c_i32_i8_e32 v218, v185, v4
	v_dot4c_i32_i8_e32 v214, v128, v2
	;; [unrolled: 1-line block ×6, first 2 shown]
	v_mad_u64_u32 v[216:217], s[22:23], v213, v212, v[216:217]
	v_mul_lo_u32 v214, v214, v212
	s_nop 0
	v_mad_u64_u32 v[214:215], s[22:23], v218, v211, v[214:215]
	v_cvt_f32_i32_e32 v215, v214
	v_cvt_f32_i32_e32 v214, v216
	v_pk_mul_f32 v[218:219], v[116:117], v[124:125] op_sel_hi:[0,1]
	v_mov_b32_e32 v213, 0
	v_dot4c_i32_i8_e32 v213, v177, v0
	v_pk_fma_f32 v[78:79], v[218:219], v[214:215], v[78:79]
	v_mov_b32_e32 v215, 0
	v_dot4c_i32_i8_e32 v213, v178, v1
	v_dot4c_i32_i8_e32 v215, v181, v4
	;; [unrolled: 1-line block ×7, first 2 shown]
	v_mul_lo_u32 v216, v221, v205
	v_mul_lo_u32 v214, v213, v206
	v_mad_u64_u32 v[216:217], s[22:23], v220, v206, v[216:217]
	v_mad_u64_u32 v[214:215], s[22:23], v215, v205, v[214:215]
	v_mov_b32_e32 v213, 0
	v_cvt_f32_i32_e32 v215, v214
	v_cvt_f32_i32_e32 v214, v216
	v_dot4c_i32_i8_e32 v213, v189, v0
	v_dot4c_i32_i8_e32 v213, v190, v1
	;; [unrolled: 1-line block ×3, first 2 shown]
	v_pk_mul_f32 v[218:219], v[118:119], v[124:125] op_sel_hi:[0,1]
	v_dot4c_i32_i8_e32 v213, v192, v3
	v_pk_fma_f32 v[88:89], v[218:219], v[214:215], v[88:89]
	v_mov_b32_e32 v215, 0
	v_dot4c_i32_i8_e32 v215, v193, v4
	v_mul_lo_u32 v214, v213, v210
	v_mov_b32_e32 v213, 0
	v_dot4c_i32_i8_e32 v213, v197, v0
	v_dot4c_i32_i8_e32 v213, v198, v1
	v_mov_b32_e32 v1, 0
	v_dot4c_i32_i8_e32 v1, v201, v4
	v_dot4c_i32_i8_e32 v213, v199, v2
	;; [unrolled: 1-line block ×6, first 2 shown]
	v_mul_lo_u32 v2, v225, v207
	v_mul_lo_u32 v0, v213, v208
	v_mad_u64_u32 v[2:3], s[22:23], v224, v208, v[2:3]
	v_mad_u64_u32 v[0:1], s[22:23], v1, v207, v[0:1]
	v_dot4c_i32_i8_e32 v215, v194, v5
	v_cvt_f32_i32_e32 v1, v0
	v_cvt_f32_i32_e32 v0, v2
	v_dot4c_i32_i8_e32 v215, v195, v6
	v_dot4c_i32_i8_e32 v215, v196, v7
	v_mul_lo_u32 v216, v223, v209
	v_mad_u64_u32 v[216:217], s[22:23], v222, v210, v[216:217]
	s_nop 0
	v_mad_u64_u32 v[214:215], s[22:23], v215, v209, v[214:215]
	v_pk_mul_f32 v[4:5], v[122:123], v[124:125] op_sel_hi:[0,1]
	v_pk_mul_f32 v[218:219], v[120:121], v[124:125] op_sel_hi:[0,1]
	v_cvt_f32_i32_e32 v215, v214
	v_cvt_f32_i32_e32 v214, v216
	v_pk_fma_f32 v[108:109], v[4:5], v[0:1], v[108:109]
	ds_read2_b32 v[124:125], v176 offset0:192 offset1:224
	ds_read_b128 v[0:3], v175 offset:6144
	ds_read_b128 v[4:7], v175 offset:6160
	v_mov_b32_e32 v220, 0
	v_pk_fma_f32 v[100:101], v[218:219], v[214:215], v[100:101]
	v_mov_b32_e32 v219, 0
	v_mov_b32_e32 v217, 0
	;; [unrolled: 1-line block ×7, first 2 shown]
	s_waitcnt lgkmcnt(1)
	v_dot4c_i32_i8_e32 v219, v126, v0
	s_waitcnt lgkmcnt(0)
	v_dot4c_i32_i8_e32 v220, v185, v4
	v_dot4c_i32_i8_e32 v217, v177, v0
	;; [unrolled: 1-line block ×31, first 2 shown]
	ds_read_b128 v[4:7], v175 offset:7168
	ds_read_b128 v[0:3], v175 offset:7184
	v_mov_b32_e32 v221, 0
	s_add_i32 s19, s19, 2
	s_add_i32 s18, s18, 1
	s_waitcnt lgkmcnt(1)
	v_dot4c_i32_i8_e32 v221, v126, v4
	v_dot4c_i32_i8_e32 v221, v127, v5
	;; [unrolled: 1-line block ×4, first 2 shown]
	v_mov_b32_e32 v129, 0
	s_waitcnt lgkmcnt(0)
	v_dot4c_i32_i8_e32 v129, v185, v0
	v_dot4c_i32_i8_e32 v129, v186, v1
	;; [unrolled: 1-line block ×4, first 2 shown]
	v_mul_lo_u32 v128, v221, v212
	v_mul_lo_u32 v126, v220, v211
	v_mad_u64_u32 v[126:127], s[22:23], v219, v212, v[126:127]
	v_mad_u64_u32 v[128:129], s[22:23], v129, v211, v[128:129]
	v_pk_mul_f32 v[186:187], v[116:117], v[124:125] op_sel_hi:[0,1]
	v_mov_b32_e32 v116, 0
	v_cvt_f32_i32_e32 v127, v128
	v_cvt_f32_i32_e32 v126, v126
	v_dot4c_i32_i8_e32 v116, v177, v4
	v_mov_b32_e32 v128, 0
	v_dot4c_i32_i8_e32 v116, v178, v5
	v_dot4c_i32_i8_e32 v128, v181, v0
	;; [unrolled: 1-line block ×6, first 2 shown]
	v_pk_fma_f32 v[70:71], v[186:187], v[126:127], v[70:71]
	v_dot4c_i32_i8_e32 v128, v184, v3
	v_mul_lo_u32 v116, v116, v206
	v_mul_lo_u32 v126, v218, v205
	v_mad_u64_u32 v[126:127], s[22:23], v217, v206, v[126:127]
	v_mad_u64_u32 v[128:129], s[22:23], v128, v205, v[116:117]
	v_mov_b32_e32 v116, 0
	v_cvt_f32_i32_e32 v127, v128
	v_dot4c_i32_i8_e32 v116, v189, v4
	v_mov_b32_e32 v128, 0
	v_dot4c_i32_i8_e32 v116, v190, v5
	v_dot4c_i32_i8_e32 v128, v193, v0
	;; [unrolled: 1-line block ×7, first 2 shown]
	v_cvt_f32_i32_e32 v126, v126
	v_mul_lo_u32 v116, v116, v210
	v_pk_mul_f32 v[178:179], v[118:119], v[124:125] op_sel_hi:[0,1]
	v_mad_u64_u32 v[128:129], s[22:23], v128, v209, v[116:117]
	v_mov_b32_e32 v116, 0
	v_dot4c_i32_i8_e32 v116, v197, v4
	v_mov_b32_e32 v4, 0
	v_dot4c_i32_i8_e32 v116, v198, v5
	v_dot4c_i32_i8_e32 v4, v201, v0
	;; [unrolled: 1-line block ×6, first 2 shown]
	v_mul_lo_u32 v118, v216, v209
	v_dot4c_i32_i8_e32 v4, v204, v3
	v_mul_lo_u32 v0, v116, v208
	v_mul_lo_u32 v2, v214, v207
                                        ; kill: def $vgpr1 killed $sgpr0 killed $exec
	v_pk_fma_f32 v[80:81], v[178:179], v[126:127], v[80:81]
	v_mad_u64_u32 v[126:127], s[22:23], v215, v210, v[118:119]
	v_mad_u64_u32 v[2:3], s[22:23], v213, v208, v[2:3]
	;; [unrolled: 1-line block ×3, first 2 shown]
	v_cvt_f32_i32_e32 v127, v128
	v_cvt_f32_i32_e32 v126, v126
	;; [unrolled: 1-line block ×4, first 2 shown]
	v_pk_mul_f32 v[178:179], v[120:121], v[124:125] op_sel_hi:[0,1]
	v_pk_mul_f32 v[4:5], v[122:123], v[124:125] op_sel_hi:[0,1]
	v_pk_fma_f32 v[90:91], v[178:179], v[126:127], v[90:91]
	v_pk_fma_f32 v[102:103], v[4:5], v[0:1], v[102:103]
	v_add_u32_e32 v176, 4, v176
	v_add_u32_e32 v175, 32, v175
	s_cmp_lt_u32 s20, 6
	s_mov_b32 s21, s20
	s_cbranch_scc1 .LBB149_7
; %bb.8:                                ;   in Loop: Header=BB149_6 Depth=1
	v_add_u32_e32 v116, s17, v141
	v_add_u32_e32 v118, v116, v77
	v_mad_i64_i32 v[124:125], s[18:19], v118, 36, v[46:47]
	v_add_u32_e32 v118, v116, v83
	v_add_u32_e32 v0, v116, v67
	;; [unrolled: 1-line block ×5, first 2 shown]
	v_mad_i64_i32 v[126:127], s[18:19], v118, 36, v[46:47]
	v_add_u32_e32 v118, v116, v85
	v_add_u32_e32 v116, v116, v93
	v_mad_i64_i32 v[176:177], s[18:19], v116, 36, v[46:47]
	v_add_u32_e32 v116, 4, v174
	v_mad_i64_i32 v[0:1], s[18:19], v0, 36, v[46:47]
	v_mad_i64_i32 v[2:3], s[18:19], v2, 36, v[46:47]
	;; [unrolled: 1-line block ×4, first 2 shown]
	v_mad_u64_u32 v[178:179], s[18:19], v116, 36, s[2:3]
	s_barrier
	v_mad_i64_i32 v[128:129], s[18:19], v118, 36, v[46:47]
	global_load_dword v116, v[178:179], off
	s_nop 0
	global_load_dword v0, v[0:1], off offset:4
	s_nop 0
	global_load_dword v1, v[2:3], off offset:4
	;; [unrolled: 2-line block ×3, first 2 shown]
	global_load_dword v3, v[6:7], off offset:4
	s_nop 0
	global_load_dword v4, v[124:125], off offset:4
	global_load_dword v5, v[126:127], off offset:4
	;; [unrolled: 1-line block ×4, first 2 shown]
	s_mov_b32 s18, 4
	s_mov_b32 s19, 8
	;; [unrolled: 1-line block ×3, first 2 shown]
	v_mov_b32_e32 v175, v154
	v_mov_b32_e32 v176, v152
	s_waitcnt vmcnt(8)
	v_cvt_f32_f16_e32 v116, v116
	s_waitcnt vmcnt(7)
	ds_write_b32 v157, v0
	s_waitcnt vmcnt(6)
	ds_write_b32 v158, v1
	;; [unrolled: 2-line block ×8, first 2 shown]
	ds_write_b32 v45, v116
	s_waitcnt lgkmcnt(0)
	s_barrier
.LBB149_9:                              ;   Parent Loop BB149_6 Depth=1
                                        ; =>  This Inner Loop Header: Depth=2
	s_add_i32 s20, s22, 2
	s_lshr_b32 s25, s20, 4
	s_and_b32 s23, s20, 0x3ffffff8
	v_lshl_add_u32 v122, s23, 2, v95
	s_lshl_b32 s23, s25, 5
	s_addk_i32 s23, 0x4200
	v_add3_u32 v120, s23, v165, v97
	ds_read2_b32 v[124:125], v176 offset1:32
	ds_read_b128 v[4:7], v175
	ds_read_b128 v[0:3], v175 offset:16
	ds_read2_b32 v[126:127], v122 offset1:1
	ds_read2_b32 v[128:129], v120 offset1:1
	ds_read2_b32 v[178:179], v120 offset0:2 offset1:3
	ds_read2_b32 v[180:181], v120 offset0:4 offset1:5
	s_add_i32 s21, s22, -6
	s_waitcnt lgkmcnt(3)
	v_ashrrev_i32_e32 v116, s21, v126
	s_waitcnt lgkmcnt(2)
	v_ashrrev_i32_e32 v126, s18, v128
	v_lshlrev_b32_e32 v126, 2, v126
	v_bfe_u32 v118, v116, 24, 2
	v_and_b32_e32 v116, 0x3030303, v116
	v_and_b32_e32 v126, 0x4040404, v126
	v_sub_u16_e32 v128, v116, v126
	v_sub_u16_sdwa v177, v116, v126 dst_sel:BYTE_1 dst_unused:UNUSED_PAD src0_sel:BYTE_1 src1_sel:BYTE_1
	v_sub_u16_sdwa v116, v116, v126 dst_sel:DWORD dst_unused:UNUSED_PAD src0_sel:WORD_1 src1_sel:WORD_1
	v_sub_u16_sdwa v118, v118, v126 dst_sel:BYTE_1 dst_unused:UNUSED_PAD src0_sel:DWORD src1_sel:BYTE_3
	v_bitop3_b16 v128, v128, v177, s9 bitop3:0xec
	v_bitop3_b16 v116, v116, v118, s9 bitop3:0xec
	v_lshlrev_b32_e32 v116, 16, v116
	v_or_b32_sdwa v126, v128, v116 dst_sel:DWORD dst_unused:UNUSED_PAD src0_sel:WORD_0 src1_sel:DWORD
	v_ashrrev_i32_e32 v116, s21, v127
	v_ashrrev_i32_e32 v127, s18, v129
	v_lshlrev_b32_e32 v127, 2, v127
	v_bfe_u32 v118, v116, 24, 2
	v_and_b32_e32 v116, 0x3030303, v116
	v_and_b32_e32 v127, 0x4040404, v127
	v_sub_u16_e32 v128, v116, v127
	v_sub_u16_sdwa v129, v116, v127 dst_sel:BYTE_1 dst_unused:UNUSED_PAD src0_sel:BYTE_1 src1_sel:BYTE_1
	v_sub_u16_sdwa v116, v116, v127 dst_sel:DWORD dst_unused:UNUSED_PAD src0_sel:WORD_1 src1_sel:WORD_1
	v_sub_u16_sdwa v118, v118, v127 dst_sel:BYTE_1 dst_unused:UNUSED_PAD src0_sel:DWORD src1_sel:BYTE_3
	v_bitop3_b16 v128, v128, v129, s9 bitop3:0xec
	v_bitop3_b16 v116, v116, v118, s9 bitop3:0xec
	v_lshlrev_b32_e32 v116, 16, v116
	v_or_b32_sdwa v127, v128, v116 dst_sel:DWORD dst_unused:UNUSED_PAD src0_sel:WORD_0 src1_sel:DWORD
	ds_read2_b32 v[128:129], v122 offset0:2 offset1:3
	s_and_b32 s24, s19, -16
	s_add_i32 s22, s22, s24
	s_lshl_b32 s24, s25, 2
	s_add_i32 s24, s24, 0x9380
	s_waitcnt lgkmcnt(0)
	v_ashrrev_i32_e32 v116, s21, v128
	v_ashrrev_i32_e32 v128, s18, v178
	v_lshlrev_b32_e32 v128, 2, v128
	v_bfe_u32 v118, v116, 24, 2
	v_and_b32_e32 v116, 0x3030303, v116
	v_and_b32_e32 v128, 0x4040404, v128
	v_sub_u16_e32 v177, v116, v128
	v_sub_u16_sdwa v178, v116, v128 dst_sel:BYTE_1 dst_unused:UNUSED_PAD src0_sel:BYTE_1 src1_sel:BYTE_1
	v_sub_u16_sdwa v116, v116, v128 dst_sel:DWORD dst_unused:UNUSED_PAD src0_sel:WORD_1 src1_sel:WORD_1
	v_sub_u16_sdwa v118, v118, v128 dst_sel:BYTE_1 dst_unused:UNUSED_PAD src0_sel:DWORD src1_sel:BYTE_3
	v_bitop3_b16 v177, v177, v178, s9 bitop3:0xec
	v_bitop3_b16 v116, v116, v118, s9 bitop3:0xec
	v_lshlrev_b32_e32 v116, 16, v116
	v_or_b32_sdwa v128, v177, v116 dst_sel:DWORD dst_unused:UNUSED_PAD src0_sel:WORD_0 src1_sel:DWORD
	v_ashrrev_i32_e32 v116, s21, v129
	v_ashrrev_i32_e32 v129, s18, v179
	v_lshlrev_b32_e32 v129, 2, v129
	v_bfe_u32 v118, v116, 24, 2
	v_and_b32_e32 v116, 0x3030303, v116
	v_and_b32_e32 v129, 0x4040404, v129
	v_sub_u16_e32 v177, v116, v129
	v_sub_u16_sdwa v178, v116, v129 dst_sel:BYTE_1 dst_unused:UNUSED_PAD src0_sel:BYTE_1 src1_sel:BYTE_1
	v_sub_u16_sdwa v116, v116, v129 dst_sel:DWORD dst_unused:UNUSED_PAD src0_sel:WORD_1 src1_sel:WORD_1
	v_bitop3_b16 v177, v177, v178, s9 bitop3:0xec
	ds_read2_b32 v[178:179], v122 offset0:4 offset1:5
	v_sub_u16_sdwa v118, v118, v129 dst_sel:BYTE_1 dst_unused:UNUSED_PAD src0_sel:DWORD src1_sel:BYTE_3
	v_add3_u32 v184, s23, v168, v130
	v_bitop3_b16 v116, v116, v118, s9 bitop3:0xec
	v_lshlrev_b32_e32 v116, 16, v116
	v_or_b32_sdwa v129, v177, v116 dst_sel:DWORD dst_unused:UNUSED_PAD src0_sel:WORD_0 src1_sel:DWORD
	v_ashrrev_i32_e32 v177, s18, v180
	s_waitcnt lgkmcnt(0)
	v_ashrrev_i32_e32 v116, s21, v178
	v_lshlrev_b32_e32 v177, 2, v177
	v_bfe_u32 v118, v116, 24, 2
	v_and_b32_e32 v116, 0x3030303, v116
	v_and_b32_e32 v177, 0x4040404, v177
	v_sub_u16_e32 v178, v116, v177
	v_sub_u16_sdwa v180, v116, v177 dst_sel:BYTE_1 dst_unused:UNUSED_PAD src0_sel:BYTE_1 src1_sel:BYTE_1
	v_sub_u16_sdwa v116, v116, v177 dst_sel:DWORD dst_unused:UNUSED_PAD src0_sel:WORD_1 src1_sel:WORD_1
	v_sub_u16_sdwa v118, v118, v177 dst_sel:BYTE_1 dst_unused:UNUSED_PAD src0_sel:DWORD src1_sel:BYTE_3
	v_bitop3_b16 v178, v178, v180, s9 bitop3:0xec
	v_bitop3_b16 v116, v116, v118, s9 bitop3:0xec
	v_lshlrev_b32_e32 v116, 16, v116
	v_ashrrev_i32_e32 v177, s18, v181
	v_or_b32_sdwa v185, v178, v116 dst_sel:DWORD dst_unused:UNUSED_PAD src0_sel:WORD_0 src1_sel:DWORD
	v_ashrrev_i32_e32 v116, s21, v179
	v_lshlrev_b32_e32 v177, 2, v177
	v_bfe_u32 v118, v116, 24, 2
	v_and_b32_e32 v116, 0x3030303, v116
	v_and_b32_e32 v177, 0x4040404, v177
	v_sub_u16_e32 v178, v116, v177
	v_sub_u16_sdwa v179, v116, v177 dst_sel:BYTE_1 dst_unused:UNUSED_PAD src0_sel:BYTE_1 src1_sel:BYTE_1
	v_sub_u16_sdwa v116, v116, v177 dst_sel:DWORD dst_unused:UNUSED_PAD src0_sel:WORD_1 src1_sel:WORD_1
	v_sub_u16_sdwa v118, v118, v177 dst_sel:BYTE_1 dst_unused:UNUSED_PAD src0_sel:DWORD src1_sel:BYTE_3
	v_bitop3_b16 v178, v178, v179, s9 bitop3:0xec
	v_bitop3_b16 v116, v116, v118, s9 bitop3:0xec
	v_lshlrev_b32_e32 v116, 16, v116
	v_or_b32_sdwa v186, v178, v116 dst_sel:DWORD dst_unused:UNUSED_PAD src0_sel:WORD_0 src1_sel:DWORD
	ds_read2_b32 v[178:179], v122 offset0:6 offset1:7
	ds_read2_b32 v[180:181], v120 offset0:6 offset1:7
	;; [unrolled: 1-line block ×4, first 2 shown]
	v_add3_u32 v198, s23, v170, v134
	s_waitcnt lgkmcnt(3)
	v_ashrrev_i32_e32 v116, s21, v178
	s_waitcnt lgkmcnt(2)
	v_ashrrev_i32_e32 v120, s18, v180
	v_lshlrev_b32_e32 v120, 2, v120
	v_bfe_u32 v118, v116, 24, 2
	v_and_b32_e32 v116, 0x3030303, v116
	v_and_b32_e32 v120, 0x4040404, v120
	v_sub_u16_e32 v177, v116, v120
	v_sub_u16_sdwa v178, v116, v120 dst_sel:BYTE_1 dst_unused:UNUSED_PAD src0_sel:BYTE_1 src1_sel:BYTE_1
	v_sub_u16_sdwa v116, v116, v120 dst_sel:DWORD dst_unused:UNUSED_PAD src0_sel:WORD_1 src1_sel:WORD_1
	v_sub_u16_sdwa v118, v118, v120 dst_sel:BYTE_1 dst_unused:UNUSED_PAD src0_sel:DWORD src1_sel:BYTE_3
	v_bitop3_b16 v177, v177, v178, s9 bitop3:0xec
	v_bitop3_b16 v116, v116, v118, s9 bitop3:0xec
	v_lshlrev_b32_e32 v116, 16, v116
	v_ashrrev_i32_e32 v120, s18, v181
	v_or_b32_sdwa v187, v177, v116 dst_sel:DWORD dst_unused:UNUSED_PAD src0_sel:WORD_0 src1_sel:DWORD
	v_ashrrev_i32_e32 v116, s21, v179
	v_lshlrev_b32_e32 v120, 2, v120
	v_bfe_u32 v118, v116, 24, 2
	v_and_b32_e32 v116, 0x3030303, v116
	v_and_b32_e32 v120, 0x4040404, v120
	v_sub_u16_e32 v177, v116, v120
	v_sub_u16_sdwa v178, v116, v120 dst_sel:BYTE_1 dst_unused:UNUSED_PAD src0_sel:BYTE_1 src1_sel:BYTE_1
	v_sub_u16_sdwa v116, v116, v120 dst_sel:DWORD dst_unused:UNUSED_PAD src0_sel:WORD_1 src1_sel:WORD_1
	v_sub_u16_sdwa v118, v118, v120 dst_sel:BYTE_1 dst_unused:UNUSED_PAD src0_sel:DWORD src1_sel:BYTE_3
	v_bitop3_b16 v177, v177, v178, s9 bitop3:0xec
	v_bitop3_b16 v116, v116, v118, s9 bitop3:0xec
	v_lshlrev_b32_e32 v116, 16, v116
	v_or_b32_sdwa v188, v177, v116 dst_sel:DWORD dst_unused:UNUSED_PAD src0_sel:WORD_0 src1_sel:DWORD
	v_add3_u32 v116, s24, v166, v167
	v_add_u32_e32 v118, 0x1080, v122
	ds_read_b32 v116, v116
	ds_read2_b32 v[178:179], v118 offset1:1
	ds_read2_b32 v[180:181], v184 offset1:1
	ds_read2_b32 v[192:193], v184 offset0:6 offset1:7
	v_add3_u32 v204, s23, v172, v138
	v_mov_b32_e32 v206, 0
	s_waitcnt lgkmcnt(2)
	v_ashrrev_i32_e32 v118, s21, v178
	s_waitcnt lgkmcnt(1)
	v_ashrrev_i32_e32 v177, s18, v180
	v_lshlrev_b32_e32 v177, 2, v177
	v_bfe_u32 v120, v118, 24, 2
	v_and_b32_e32 v118, 0x3030303, v118
	v_and_b32_e32 v177, 0x4040404, v177
	v_sub_u16_e32 v178, v118, v177
	v_sub_u16_sdwa v180, v118, v177 dst_sel:BYTE_1 dst_unused:UNUSED_PAD src0_sel:BYTE_1 src1_sel:BYTE_1
	v_sub_u16_sdwa v118, v118, v177 dst_sel:DWORD dst_unused:UNUSED_PAD src0_sel:WORD_1 src1_sel:WORD_1
	v_sub_u16_sdwa v120, v120, v177 dst_sel:BYTE_1 dst_unused:UNUSED_PAD src0_sel:DWORD src1_sel:BYTE_3
	v_bitop3_b16 v178, v178, v180, s9 bitop3:0xec
	v_bitop3_b16 v118, v118, v120, s9 bitop3:0xec
	v_lshlrev_b32_e32 v118, 16, v118
	v_or_b32_sdwa v177, v178, v118 dst_sel:DWORD dst_unused:UNUSED_PAD src0_sel:WORD_0 src1_sel:DWORD
	v_ashrrev_i32_e32 v178, s18, v181
	v_ashrrev_i32_e32 v118, s21, v179
	v_lshlrev_b32_e32 v178, 2, v178
	v_bfe_u32 v120, v118, 24, 2
	v_and_b32_e32 v118, 0x3030303, v118
	v_and_b32_e32 v178, 0x4040404, v178
	v_sub_u16_e32 v179, v118, v178
	v_sub_u16_sdwa v180, v118, v178 dst_sel:BYTE_1 dst_unused:UNUSED_PAD src0_sel:BYTE_1 src1_sel:BYTE_1
	v_sub_u16_sdwa v118, v118, v178 dst_sel:DWORD dst_unused:UNUSED_PAD src0_sel:WORD_1 src1_sel:WORD_1
	v_sub_u16_sdwa v120, v120, v178 dst_sel:BYTE_1 dst_unused:UNUSED_PAD src0_sel:DWORD src1_sel:BYTE_3
	v_bitop3_b16 v179, v179, v180, s9 bitop3:0xec
	v_bitop3_b16 v118, v118, v120, s9 bitop3:0xec
	v_lshlrev_b32_e32 v118, 16, v118
	v_or_b32_sdwa v178, v179, v118 dst_sel:DWORD dst_unused:UNUSED_PAD src0_sel:WORD_0 src1_sel:DWORD
	v_add_u32_e32 v118, 0x1088, v122
	ds_read2_b32 v[180:181], v118 offset1:1
	v_ashrrev_i32_e32 v179, s18, v182
	v_lshlrev_b32_e32 v179, 2, v179
	v_and_b32_e32 v179, 0x4040404, v179
	v_mov_b32_e32 v207, 0
	s_waitcnt lgkmcnt(0)
	v_ashrrev_i32_e32 v118, s21, v180
	v_bfe_u32 v120, v118, 24, 2
	v_and_b32_e32 v118, 0x3030303, v118
	v_sub_u16_e32 v180, v118, v179
	v_sub_u16_sdwa v182, v118, v179 dst_sel:BYTE_1 dst_unused:UNUSED_PAD src0_sel:BYTE_1 src1_sel:BYTE_1
	v_sub_u16_sdwa v118, v118, v179 dst_sel:DWORD dst_unused:UNUSED_PAD src0_sel:WORD_1 src1_sel:WORD_1
	v_sub_u16_sdwa v120, v120, v179 dst_sel:BYTE_1 dst_unused:UNUSED_PAD src0_sel:DWORD src1_sel:BYTE_3
	v_bitop3_b16 v180, v180, v182, s9 bitop3:0xec
	v_bitop3_b16 v118, v118, v120, s9 bitop3:0xec
	v_lshlrev_b32_e32 v118, 16, v118
	v_or_b32_sdwa v179, v180, v118 dst_sel:DWORD dst_unused:UNUSED_PAD src0_sel:WORD_0 src1_sel:DWORD
	v_ashrrev_i32_e32 v180, s18, v183
	v_ashrrev_i32_e32 v118, s21, v181
	v_lshlrev_b32_e32 v180, 2, v180
	v_bfe_u32 v120, v118, 24, 2
	v_and_b32_e32 v118, 0x3030303, v118
	v_and_b32_e32 v180, 0x4040404, v180
	v_sub_u16_e32 v181, v118, v180
	v_sub_u16_sdwa v182, v118, v180 dst_sel:BYTE_1 dst_unused:UNUSED_PAD src0_sel:BYTE_1 src1_sel:BYTE_1
	v_sub_u16_sdwa v118, v118, v180 dst_sel:DWORD dst_unused:UNUSED_PAD src0_sel:WORD_1 src1_sel:WORD_1
	v_sub_u16_sdwa v120, v120, v180 dst_sel:BYTE_1 dst_unused:UNUSED_PAD src0_sel:DWORD src1_sel:BYTE_3
	v_bitop3_b16 v181, v181, v182, s9 bitop3:0xec
	v_bitop3_b16 v118, v118, v120, s9 bitop3:0xec
	v_lshlrev_b32_e32 v118, 16, v118
	v_or_b32_sdwa v180, v181, v118 dst_sel:DWORD dst_unused:UNUSED_PAD src0_sel:WORD_0 src1_sel:DWORD
	v_add_u32_e32 v118, 0x1090, v122
	ds_read2_b32 v[182:183], v118 offset1:1
	v_ashrrev_i32_e32 v181, s18, v190
	v_lshlrev_b32_e32 v181, 2, v181
	v_and_b32_e32 v181, 0x4040404, v181
	v_mov_b32_e32 v209, 0
	s_waitcnt lgkmcnt(0)
	v_ashrrev_i32_e32 v118, s21, v182
	v_bfe_u32 v120, v118, 24, 2
	;; [unrolled: 32-line block ×3, first 2 shown]
	v_and_b32_e32 v118, 0x3030303, v118
	v_sub_u16_e32 v184, v118, v183
	v_sub_u16_sdwa v189, v118, v183 dst_sel:BYTE_1 dst_unused:UNUSED_PAD src0_sel:BYTE_1 src1_sel:BYTE_1
	v_sub_u16_sdwa v118, v118, v183 dst_sel:DWORD dst_unused:UNUSED_PAD src0_sel:WORD_1 src1_sel:WORD_1
	v_sub_u16_sdwa v120, v120, v183 dst_sel:BYTE_1 dst_unused:UNUSED_PAD src0_sel:DWORD src1_sel:BYTE_3
	v_bitop3_b16 v184, v184, v189, s9 bitop3:0xec
	v_bitop3_b16 v118, v118, v120, s9 bitop3:0xec
	v_lshlrev_b32_e32 v118, 16, v118
	v_or_b32_sdwa v183, v184, v118 dst_sel:DWORD dst_unused:UNUSED_PAD src0_sel:WORD_0 src1_sel:DWORD
	v_ashrrev_i32_e32 v184, s18, v193
	v_ashrrev_i32_e32 v118, s21, v191
	v_lshlrev_b32_e32 v184, 2, v184
	v_bfe_u32 v120, v118, 24, 2
	v_and_b32_e32 v118, 0x3030303, v118
	v_and_b32_e32 v184, 0x4040404, v184
	v_sub_u16_e32 v189, v118, v184
	v_sub_u16_sdwa v190, v118, v184 dst_sel:BYTE_1 dst_unused:UNUSED_PAD src0_sel:BYTE_1 src1_sel:BYTE_1
	v_sub_u16_sdwa v118, v118, v184 dst_sel:DWORD dst_unused:UNUSED_PAD src0_sel:WORD_1 src1_sel:WORD_1
	v_sub_u16_sdwa v120, v120, v184 dst_sel:BYTE_1 dst_unused:UNUSED_PAD src0_sel:DWORD src1_sel:BYTE_3
	v_bitop3_b16 v189, v189, v190, s9 bitop3:0xec
	v_bitop3_b16 v118, v118, v120, s9 bitop3:0xec
	v_lshlrev_b32_e32 v118, 16, v118
	v_or_b32_sdwa v184, v189, v118 dst_sel:DWORD dst_unused:UNUSED_PAD src0_sel:WORD_0 src1_sel:DWORD
	v_add3_u32 v118, s24, v169, v132
	v_add_u32_e32 v120, 0x2100, v122
	ds_read_b32 v118, v118
	ds_read2_b32 v[190:191], v120 offset1:1
	ds_read2_b32 v[192:193], v198 offset1:1
	ds_read2_b32 v[218:219], v204 offset0:6 offset1:7
	v_mov_b32_e32 v215, 0
	v_mov_b32_e32 v216, 0
	s_waitcnt lgkmcnt(2)
	v_ashrrev_i32_e32 v120, s21, v190
	s_waitcnt lgkmcnt(1)
	v_ashrrev_i32_e32 v190, s18, v192
	v_lshlrev_b32_e32 v190, 2, v190
	v_bfe_u32 v189, v120, 24, 2
	v_and_b32_e32 v120, 0x3030303, v120
	v_and_b32_e32 v190, 0x4040404, v190
	v_sub_u16_e32 v192, v120, v190
	v_sub_u16_sdwa v194, v120, v190 dst_sel:BYTE_1 dst_unused:UNUSED_PAD src0_sel:BYTE_1 src1_sel:BYTE_1
	v_sub_u16_sdwa v120, v120, v190 dst_sel:DWORD dst_unused:UNUSED_PAD src0_sel:WORD_1 src1_sel:WORD_1
	v_sub_u16_sdwa v189, v189, v190 dst_sel:BYTE_1 dst_unused:UNUSED_PAD src0_sel:DWORD src1_sel:BYTE_3
	v_bitop3_b16 v192, v192, v194, s9 bitop3:0xec
	v_bitop3_b16 v120, v120, v189, s9 bitop3:0xec
	v_lshlrev_b32_e32 v120, 16, v120
	v_or_b32_sdwa v189, v192, v120 dst_sel:DWORD dst_unused:UNUSED_PAD src0_sel:WORD_0 src1_sel:DWORD
	v_ashrrev_i32_e32 v120, s21, v191
	v_ashrrev_i32_e32 v191, s18, v193
	v_lshlrev_b32_e32 v191, 2, v191
	v_bfe_u32 v190, v120, 24, 2
	v_and_b32_e32 v120, 0x3030303, v120
	v_and_b32_e32 v191, 0x4040404, v191
	v_sub_u16_e32 v192, v120, v191
	v_sub_u16_sdwa v193, v120, v191 dst_sel:BYTE_1 dst_unused:UNUSED_PAD src0_sel:BYTE_1 src1_sel:BYTE_1
	v_sub_u16_sdwa v120, v120, v191 dst_sel:DWORD dst_unused:UNUSED_PAD src0_sel:WORD_1 src1_sel:WORD_1
	v_sub_u16_sdwa v190, v190, v191 dst_sel:BYTE_1 dst_unused:UNUSED_PAD src0_sel:DWORD src1_sel:BYTE_3
	v_bitop3_b16 v192, v192, v193, s9 bitop3:0xec
	v_bitop3_b16 v120, v120, v190, s9 bitop3:0xec
	v_lshlrev_b32_e32 v120, 16, v120
	v_or_b32_sdwa v190, v192, v120 dst_sel:DWORD dst_unused:UNUSED_PAD src0_sel:WORD_0 src1_sel:DWORD
	v_add_u32_e32 v120, 0x2108, v122
	ds_read2_b32 v[192:193], v120 offset1:1
	ds_read2_b32 v[194:195], v198 offset0:2 offset1:3
	v_mov_b32_e32 v222, 0
	v_mov_b32_e32 v223, 0
	v_dot4c_i32_i8_e32 v206, v126, v4
	s_waitcnt lgkmcnt(1)
	v_ashrrev_i32_e32 v120, s21, v192
	s_waitcnt lgkmcnt(0)
	v_ashrrev_i32_e32 v192, s18, v194
	v_lshlrev_b32_e32 v192, 2, v192
	v_bfe_u32 v191, v120, 24, 2
	v_and_b32_e32 v120, 0x3030303, v120
	v_and_b32_e32 v192, 0x4040404, v192
	v_sub_u16_e32 v194, v120, v192
	v_sub_u16_sdwa v196, v120, v192 dst_sel:BYTE_1 dst_unused:UNUSED_PAD src0_sel:BYTE_1 src1_sel:BYTE_1
	v_sub_u16_sdwa v120, v120, v192 dst_sel:DWORD dst_unused:UNUSED_PAD src0_sel:WORD_1 src1_sel:WORD_1
	v_sub_u16_sdwa v191, v191, v192 dst_sel:BYTE_1 dst_unused:UNUSED_PAD src0_sel:DWORD src1_sel:BYTE_3
	v_bitop3_b16 v194, v194, v196, s9 bitop3:0xec
	v_bitop3_b16 v120, v120, v191, s9 bitop3:0xec
	v_lshlrev_b32_e32 v120, 16, v120
	v_or_b32_sdwa v191, v194, v120 dst_sel:DWORD dst_unused:UNUSED_PAD src0_sel:WORD_0 src1_sel:DWORD
	v_ashrrev_i32_e32 v120, s21, v193
	v_ashrrev_i32_e32 v193, s18, v195
	v_lshlrev_b32_e32 v193, 2, v193
	v_bfe_u32 v192, v120, 24, 2
	v_and_b32_e32 v120, 0x3030303, v120
	v_and_b32_e32 v193, 0x4040404, v193
	v_sub_u16_e32 v194, v120, v193
	v_sub_u16_sdwa v195, v120, v193 dst_sel:BYTE_1 dst_unused:UNUSED_PAD src0_sel:BYTE_1 src1_sel:BYTE_1
	v_sub_u16_sdwa v120, v120, v193 dst_sel:DWORD dst_unused:UNUSED_PAD src0_sel:WORD_1 src1_sel:WORD_1
	v_sub_u16_sdwa v192, v192, v193 dst_sel:BYTE_1 dst_unused:UNUSED_PAD src0_sel:DWORD src1_sel:BYTE_3
	v_bitop3_b16 v194, v194, v195, s9 bitop3:0xec
	v_bitop3_b16 v120, v120, v192, s9 bitop3:0xec
	v_lshlrev_b32_e32 v120, 16, v120
	v_or_b32_sdwa v192, v194, v120 dst_sel:DWORD dst_unused:UNUSED_PAD src0_sel:WORD_0 src1_sel:DWORD
	v_add_u32_e32 v120, 0x2110, v122
	ds_read2_b32 v[194:195], v120 offset1:1
	ds_read2_b32 v[196:197], v198 offset0:4 offset1:5
	v_dot4c_i32_i8_e32 v207, v185, v0
	v_dot4c_i32_i8_e32 v209, v177, v4
	;; [unrolled: 1-line block ×3, first 2 shown]
	s_waitcnt lgkmcnt(1)
	v_ashrrev_i32_e32 v120, s21, v194
	s_waitcnt lgkmcnt(0)
	v_ashrrev_i32_e32 v194, s18, v196
	v_lshlrev_b32_e32 v194, 2, v194
	v_bfe_u32 v193, v120, 24, 2
	v_and_b32_e32 v120, 0x3030303, v120
	v_and_b32_e32 v194, 0x4040404, v194
	v_sub_u16_e32 v196, v120, v194
	v_sub_u16_sdwa v199, v120, v194 dst_sel:BYTE_1 dst_unused:UNUSED_PAD src0_sel:BYTE_1 src1_sel:BYTE_1
	v_sub_u16_sdwa v120, v120, v194 dst_sel:DWORD dst_unused:UNUSED_PAD src0_sel:WORD_1 src1_sel:WORD_1
	v_sub_u16_sdwa v193, v193, v194 dst_sel:BYTE_1 dst_unused:UNUSED_PAD src0_sel:DWORD src1_sel:BYTE_3
	v_bitop3_b16 v196, v196, v199, s9 bitop3:0xec
	v_bitop3_b16 v120, v120, v193, s9 bitop3:0xec
	v_lshlrev_b32_e32 v120, 16, v120
	v_or_b32_sdwa v193, v196, v120 dst_sel:DWORD dst_unused:UNUSED_PAD src0_sel:WORD_0 src1_sel:DWORD
	v_ashrrev_i32_e32 v120, s21, v195
	v_ashrrev_i32_e32 v195, s18, v197
	v_lshlrev_b32_e32 v195, 2, v195
	v_bfe_u32 v194, v120, 24, 2
	v_and_b32_e32 v120, 0x3030303, v120
	v_and_b32_e32 v195, 0x4040404, v195
	v_sub_u16_e32 v196, v120, v195
	v_sub_u16_sdwa v197, v120, v195 dst_sel:BYTE_1 dst_unused:UNUSED_PAD src0_sel:BYTE_1 src1_sel:BYTE_1
	v_sub_u16_sdwa v120, v120, v195 dst_sel:DWORD dst_unused:UNUSED_PAD src0_sel:WORD_1 src1_sel:WORD_1
	v_sub_u16_sdwa v194, v194, v195 dst_sel:BYTE_1 dst_unused:UNUSED_PAD src0_sel:DWORD src1_sel:BYTE_3
	v_bitop3_b16 v196, v196, v197, s9 bitop3:0xec
	v_bitop3_b16 v120, v120, v194, s9 bitop3:0xec
	v_lshlrev_b32_e32 v120, 16, v120
	v_or_b32_sdwa v194, v196, v120 dst_sel:DWORD dst_unused:UNUSED_PAD src0_sel:WORD_0 src1_sel:DWORD
	v_add_u32_e32 v120, 0x2118, v122
	ds_read2_b32 v[196:197], v120 offset1:1
	ds_read2_b32 v[198:199], v198 offset0:6 offset1:7
	v_dot4c_i32_i8_e32 v215, v189, v4
	v_dot4c_i32_i8_e32 v216, v193, v0
	;; [unrolled: 1-line block ×3, first 2 shown]
	s_waitcnt lgkmcnt(1)
	v_ashrrev_i32_e32 v120, s21, v196
	s_waitcnt lgkmcnt(0)
	v_ashrrev_i32_e32 v196, s18, v198
	v_lshlrev_b32_e32 v196, 2, v196
	v_bfe_u32 v195, v120, 24, 2
	v_and_b32_e32 v120, 0x3030303, v120
	v_and_b32_e32 v196, 0x4040404, v196
	v_sub_u16_e32 v198, v120, v196
	v_sub_u16_sdwa v200, v120, v196 dst_sel:BYTE_1 dst_unused:UNUSED_PAD src0_sel:BYTE_1 src1_sel:BYTE_1
	v_sub_u16_sdwa v120, v120, v196 dst_sel:DWORD dst_unused:UNUSED_PAD src0_sel:WORD_1 src1_sel:WORD_1
	v_sub_u16_sdwa v195, v195, v196 dst_sel:BYTE_1 dst_unused:UNUSED_PAD src0_sel:DWORD src1_sel:BYTE_3
	v_bitop3_b16 v198, v198, v200, s9 bitop3:0xec
	v_bitop3_b16 v120, v120, v195, s9 bitop3:0xec
	v_lshlrev_b32_e32 v120, 16, v120
	v_or_b32_sdwa v195, v198, v120 dst_sel:DWORD dst_unused:UNUSED_PAD src0_sel:WORD_0 src1_sel:DWORD
	v_ashrrev_i32_e32 v120, s21, v197
	v_ashrrev_i32_e32 v197, s18, v199
	v_lshlrev_b32_e32 v197, 2, v197
	v_bfe_u32 v196, v120, 24, 2
	v_and_b32_e32 v120, 0x3030303, v120
	v_and_b32_e32 v197, 0x4040404, v197
	v_sub_u16_e32 v198, v120, v197
	v_sub_u16_sdwa v199, v120, v197 dst_sel:BYTE_1 dst_unused:UNUSED_PAD src0_sel:BYTE_1 src1_sel:BYTE_1
	v_sub_u16_sdwa v120, v120, v197 dst_sel:DWORD dst_unused:UNUSED_PAD src0_sel:WORD_1 src1_sel:WORD_1
	v_sub_u16_sdwa v196, v196, v197 dst_sel:BYTE_1 dst_unused:UNUSED_PAD src0_sel:DWORD src1_sel:BYTE_3
	v_bitop3_b16 v198, v198, v199, s9 bitop3:0xec
	v_bitop3_b16 v120, v120, v196, s9 bitop3:0xec
	v_lshlrev_b32_e32 v120, 16, v120
	v_add_u32_e32 v197, 0x3180, v122
	v_or_b32_sdwa v196, v198, v120 dst_sel:DWORD dst_unused:UNUSED_PAD src0_sel:WORD_0 src1_sel:DWORD
	ds_read2_b32 v[198:199], v197 offset1:1
	ds_read2_b32 v[200:201], v204 offset1:1
	v_add3_u32 v120, s24, v171, v136
	ds_read_b32 v120, v120
	v_dot4c_i32_i8_e32 v207, v186, v1
	s_waitcnt lgkmcnt(2)
	v_ashrrev_i32_e32 v197, s21, v198
	s_waitcnt lgkmcnt(1)
	v_ashrrev_i32_e32 v200, s18, v200
	v_lshlrev_b32_e32 v200, 2, v200
	v_bfe_u32 v198, v197, 24, 2
	v_and_b32_e32 v197, 0x3030303, v197
	v_and_b32_e32 v200, 0x4040404, v200
	v_sub_u16_e32 v202, v197, v200
	v_sub_u16_sdwa v203, v197, v200 dst_sel:BYTE_1 dst_unused:UNUSED_PAD src0_sel:BYTE_1 src1_sel:BYTE_1
	v_sub_u16_sdwa v197, v197, v200 dst_sel:DWORD dst_unused:UNUSED_PAD src0_sel:WORD_1 src1_sel:WORD_1
	v_sub_u16_sdwa v198, v198, v200 dst_sel:BYTE_1 dst_unused:UNUSED_PAD src0_sel:DWORD src1_sel:BYTE_3
	v_ashrrev_i32_e32 v200, s18, v201
	v_bitop3_b16 v197, v197, v198, s9 bitop3:0xec
	v_ashrrev_i32_e32 v198, s21, v199
	v_lshlrev_b32_e32 v200, 2, v200
	v_bitop3_b16 v202, v202, v203, s9 bitop3:0xec
	v_lshlrev_b32_e32 v197, 16, v197
	v_bfe_u32 v199, v198, 24, 2
	v_and_b32_e32 v198, 0x3030303, v198
	v_and_b32_e32 v200, 0x4040404, v200
	v_or_b32_sdwa v197, v202, v197 dst_sel:DWORD dst_unused:UNUSED_PAD src0_sel:WORD_0 src1_sel:DWORD
	v_sub_u16_e32 v201, v198, v200
	v_sub_u16_sdwa v202, v198, v200 dst_sel:BYTE_1 dst_unused:UNUSED_PAD src0_sel:BYTE_1 src1_sel:BYTE_1
	v_sub_u16_sdwa v198, v198, v200 dst_sel:DWORD dst_unused:UNUSED_PAD src0_sel:WORD_1 src1_sel:WORD_1
	v_sub_u16_sdwa v199, v199, v200 dst_sel:BYTE_1 dst_unused:UNUSED_PAD src0_sel:DWORD src1_sel:BYTE_3
	v_bitop3_b16 v201, v201, v202, s9 bitop3:0xec
	v_bitop3_b16 v198, v198, v199, s9 bitop3:0xec
	v_lshlrev_b32_e32 v198, 16, v198
	v_add_u32_e32 v199, 0x3188, v122
	v_or_b32_sdwa v198, v201, v198 dst_sel:DWORD dst_unused:UNUSED_PAD src0_sel:WORD_0 src1_sel:DWORD
	ds_read2_b32 v[200:201], v199 offset1:1
	ds_read2_b32 v[202:203], v204 offset0:2 offset1:3
	v_dot4c_i32_i8_e32 v222, v197, v4
	v_dot4c_i32_i8_e32 v209, v178, v5
	;; [unrolled: 1-line block ×3, first 2 shown]
	s_waitcnt lgkmcnt(1)
	v_ashrrev_i32_e32 v199, s21, v200
	s_waitcnt lgkmcnt(0)
	v_ashrrev_i32_e32 v202, s18, v202
	v_lshlrev_b32_e32 v202, 2, v202
	v_bfe_u32 v200, v199, 24, 2
	v_and_b32_e32 v199, 0x3030303, v199
	v_and_b32_e32 v202, 0x4040404, v202
	v_sub_u16_e32 v210, v199, v202
	v_sub_u16_sdwa v211, v199, v202 dst_sel:BYTE_1 dst_unused:UNUSED_PAD src0_sel:BYTE_1 src1_sel:BYTE_1
	v_sub_u16_sdwa v199, v199, v202 dst_sel:DWORD dst_unused:UNUSED_PAD src0_sel:WORD_1 src1_sel:WORD_1
	v_sub_u16_sdwa v200, v200, v202 dst_sel:BYTE_1 dst_unused:UNUSED_PAD src0_sel:DWORD src1_sel:BYTE_3
	v_ashrrev_i32_e32 v202, s18, v203
	v_bitop3_b16 v199, v199, v200, s9 bitop3:0xec
	v_ashrrev_i32_e32 v200, s21, v201
	v_lshlrev_b32_e32 v202, 2, v202
	v_bitop3_b16 v210, v210, v211, s9 bitop3:0xec
	v_lshlrev_b32_e32 v199, 16, v199
	v_bfe_u32 v201, v200, 24, 2
	v_and_b32_e32 v200, 0x3030303, v200
	v_and_b32_e32 v202, 0x4040404, v202
	v_or_b32_sdwa v199, v210, v199 dst_sel:DWORD dst_unused:UNUSED_PAD src0_sel:WORD_0 src1_sel:DWORD
	v_sub_u16_e32 v203, v200, v202
	v_sub_u16_sdwa v210, v200, v202 dst_sel:BYTE_1 dst_unused:UNUSED_PAD src0_sel:BYTE_1 src1_sel:BYTE_1
	v_sub_u16_sdwa v200, v200, v202 dst_sel:DWORD dst_unused:UNUSED_PAD src0_sel:WORD_1 src1_sel:WORD_1
	v_sub_u16_sdwa v201, v201, v202 dst_sel:BYTE_1 dst_unused:UNUSED_PAD src0_sel:DWORD src1_sel:BYTE_3
	v_bitop3_b16 v203, v203, v210, s9 bitop3:0xec
	v_bitop3_b16 v200, v200, v201, s9 bitop3:0xec
	v_lshlrev_b32_e32 v200, 16, v200
	v_add_u32_e32 v201, 0x3190, v122
	v_or_b32_sdwa v200, v203, v200 dst_sel:DWORD dst_unused:UNUSED_PAD src0_sel:WORD_0 src1_sel:DWORD
	ds_read2_b32 v[202:203], v201 offset1:1
	ds_read2_b32 v[210:211], v204 offset0:4 offset1:5
	v_add_u32_e32 v122, 0x3198, v122
	v_ashrrev_i32_e32 v204, s18, v218
	v_lshlrev_b32_e32 v204, 2, v204
	s_waitcnt lgkmcnt(1)
	v_ashrrev_i32_e32 v201, s21, v202
	s_waitcnt lgkmcnt(0)
	v_ashrrev_i32_e32 v210, s18, v210
	v_lshlrev_b32_e32 v210, 2, v210
	v_bfe_u32 v202, v201, 24, 2
	v_and_b32_e32 v201, 0x3030303, v201
	v_and_b32_e32 v210, 0x4040404, v210
	v_sub_u16_e32 v212, v201, v210
	v_sub_u16_sdwa v217, v201, v210 dst_sel:BYTE_1 dst_unused:UNUSED_PAD src0_sel:BYTE_1 src1_sel:BYTE_1
	v_sub_u16_sdwa v201, v201, v210 dst_sel:DWORD dst_unused:UNUSED_PAD src0_sel:WORD_1 src1_sel:WORD_1
	v_sub_u16_sdwa v202, v202, v210 dst_sel:BYTE_1 dst_unused:UNUSED_PAD src0_sel:DWORD src1_sel:BYTE_3
	v_ashrrev_i32_e32 v210, s18, v211
	v_bitop3_b16 v201, v201, v202, s9 bitop3:0xec
	v_ashrrev_i32_e32 v202, s21, v203
	v_lshlrev_b32_e32 v210, 2, v210
	v_bitop3_b16 v212, v212, v217, s9 bitop3:0xec
	v_lshlrev_b32_e32 v201, 16, v201
	v_bfe_u32 v203, v202, 24, 2
	v_and_b32_e32 v202, 0x3030303, v202
	v_and_b32_e32 v210, 0x4040404, v210
	v_or_b32_sdwa v201, v212, v201 dst_sel:DWORD dst_unused:UNUSED_PAD src0_sel:WORD_0 src1_sel:DWORD
	v_sub_u16_e32 v211, v202, v210
	v_sub_u16_sdwa v212, v202, v210 dst_sel:BYTE_1 dst_unused:UNUSED_PAD src0_sel:BYTE_1 src1_sel:BYTE_1
	v_sub_u16_sdwa v202, v202, v210 dst_sel:DWORD dst_unused:UNUSED_PAD src0_sel:WORD_1 src1_sel:WORD_1
	v_sub_u16_sdwa v203, v203, v210 dst_sel:BYTE_1 dst_unused:UNUSED_PAD src0_sel:DWORD src1_sel:BYTE_3
	v_bitop3_b16 v211, v211, v212, s9 bitop3:0xec
	v_bitop3_b16 v202, v202, v203, s9 bitop3:0xec
	v_lshlrev_b32_e32 v202, 16, v202
	v_or_b32_sdwa v202, v211, v202 dst_sel:DWORD dst_unused:UNUSED_PAD src0_sel:WORD_0 src1_sel:DWORD
	ds_read2_b32 v[210:211], v122 offset1:1
	v_and_b32_e32 v204, 0x4040404, v204
	v_dot4c_i32_i8_e32 v223, v201, v0
	v_dot4c_i32_i8_e32 v215, v190, v5
	;; [unrolled: 1-line block ×3, first 2 shown]
	s_waitcnt lgkmcnt(0)
	v_ashrrev_i32_e32 v122, s21, v210
	v_bfe_u32 v203, v122, 24, 2
	v_and_b32_e32 v122, 0x3030303, v122
	v_sub_u16_e32 v210, v122, v204
	v_sub_u16_sdwa v212, v122, v204 dst_sel:BYTE_1 dst_unused:UNUSED_PAD src0_sel:BYTE_1 src1_sel:BYTE_1
	v_sub_u16_sdwa v122, v122, v204 dst_sel:DWORD dst_unused:UNUSED_PAD src0_sel:WORD_1 src1_sel:WORD_1
	v_sub_u16_sdwa v203, v203, v204 dst_sel:BYTE_1 dst_unused:UNUSED_PAD src0_sel:DWORD src1_sel:BYTE_3
	v_bitop3_b16 v210, v210, v212, s9 bitop3:0xec
	v_bitop3_b16 v122, v122, v203, s9 bitop3:0xec
	v_lshlrev_b32_e32 v122, 16, v122
	v_or_b32_sdwa v203, v210, v122 dst_sel:DWORD dst_unused:UNUSED_PAD src0_sel:WORD_0 src1_sel:DWORD
	v_ashrrev_i32_e32 v210, s18, v219
	v_ashrrev_i32_e32 v122, s21, v211
	v_lshlrev_b32_e32 v210, 2, v210
	v_bfe_u32 v204, v122, 24, 2
	v_and_b32_e32 v122, 0x3030303, v122
	v_and_b32_e32 v210, 0x4040404, v210
	v_sub_u16_e32 v211, v122, v210
	v_sub_u16_sdwa v212, v122, v210 dst_sel:BYTE_1 dst_unused:UNUSED_PAD src0_sel:BYTE_1 src1_sel:BYTE_1
	v_sub_u16_sdwa v122, v122, v210 dst_sel:DWORD dst_unused:UNUSED_PAD src0_sel:WORD_1 src1_sel:WORD_1
	v_sub_u16_sdwa v204, v204, v210 dst_sel:BYTE_1 dst_unused:UNUSED_PAD src0_sel:DWORD src1_sel:BYTE_3
	v_bitop3_b16 v211, v211, v212, s9 bitop3:0xec
	v_bitop3_b16 v122, v122, v204, s9 bitop3:0xec
	v_lshlrev_b32_e32 v122, 16, v122
	v_dot4c_i32_i8_e32 v222, v198, v5
	v_dot4c_i32_i8_e32 v223, v202, v1
	;; [unrolled: 1-line block ×8, first 2 shown]
	v_or_b32_sdwa v204, v211, v122 dst_sel:DWORD dst_unused:UNUSED_PAD src0_sel:WORD_0 src1_sel:DWORD
	v_add3_u32 v122, s24, v173, v140
	v_dot4c_i32_i8_e32 v222, v199, v6
	v_dot4c_i32_i8_e32 v223, v203, v2
	v_add_u32_e32 v205, s22, v117
	v_dot4c_i32_i8_e32 v206, v129, v7
	v_dot4c_i32_i8_e32 v207, v188, v3
	v_dot4c_i32_i8_e32 v209, v180, v7
	v_dot4c_i32_i8_e32 v213, v184, v3
	v_dot4c_i32_i8_e32 v215, v192, v7
	v_dot4c_i32_i8_e32 v216, v196, v3
	ds_read_b32 v122, v122
	v_dot4c_i32_i8_e32 v222, v200, v7
	v_dot4c_i32_i8_e32 v223, v204, v3
	ds_read_b128 v[0:3], v175 offset:1024
	ds_read_b128 v[4:7], v175 offset:1040
	ds_read_u16 v205, v205 offset:33538
	v_mov_b32_e32 v210, 0
	v_mov_b32_e32 v219, 0
	s_waitcnt lgkmcnt(2)
	v_dot4c_i32_i8_e32 v210, v126, v0
	v_dot4c_i32_i8_e32 v210, v127, v1
	s_waitcnt lgkmcnt(1)
	v_dot4c_i32_i8_e32 v219, v185, v4
	v_dot4c_i32_i8_e32 v210, v128, v2
	;; [unrolled: 1-line block ×3, first 2 shown]
	s_waitcnt lgkmcnt(0)
	v_lshrrev_b16_e32 v211, 8, v205
	v_dot4c_i32_i8_e32 v210, v129, v3
	v_dot4c_i32_i8_e32 v219, v187, v6
	v_bfe_i32 v211, v211, 0, 8
	v_bfe_i32 v212, v205, 0, 8
	v_dot4c_i32_i8_e32 v219, v188, v7
	v_mul_lo_u32 v210, v210, v212
	v_mul_lo_u32 v218, v207, v211
	v_add_u32_e32 v208, s22, v119
	v_add_u32_e32 v214, s22, v121
	;; [unrolled: 1-line block ×3, first 2 shown]
	v_mad_u64_u32 v[206:207], s[22:23], v206, v212, v[218:219]
	v_mad_u64_u32 v[218:219], s[22:23], v219, v211, v[210:211]
	v_cvt_f32_i32_e32 v207, v218
	v_cvt_f32_i32_e32 v206, v206
	v_pk_mul_f32 v[220:221], v[116:117], v[124:125] op_sel_hi:[0,1]
	v_mov_b32_e32 v205, 0
	v_dot4c_i32_i8_e32 v205, v177, v0
	v_pk_fma_f32 v[48:49], v[220:221], v[206:207], v[48:49]
	ds_read_u16 v206, v208 offset:34562
	v_mov_b32_e32 v207, 0
	v_dot4c_i32_i8_e32 v205, v178, v1
	v_dot4c_i32_i8_e32 v207, v181, v4
	;; [unrolled: 1-line block ×4, first 2 shown]
	s_waitcnt lgkmcnt(0)
	v_lshrrev_b16_e32 v208, 8, v206
	v_dot4c_i32_i8_e32 v205, v180, v3
	v_dot4c_i32_i8_e32 v207, v183, v6
	v_bfe_i32 v208, v208, 0, 8
	v_bfe_i32 v210, v206, 0, 8
	v_dot4c_i32_i8_e32 v207, v184, v7
	v_mul_lo_u32 v206, v205, v210
	v_mul_lo_u32 v218, v213, v208
	v_mad_u64_u32 v[218:219], s[22:23], v209, v210, v[218:219]
	v_mad_u64_u32 v[206:207], s[22:23], v207, v208, v[206:207]
	v_cvt_f32_i32_e32 v207, v206
	v_cvt_f32_i32_e32 v206, v218
	v_pk_mul_f32 v[220:221], v[118:119], v[124:125] op_sel_hi:[0,1]
	v_mov_b32_e32 v205, 0
	v_dot4c_i32_i8_e32 v205, v189, v0
	v_pk_fma_f32 v[104:105], v[220:221], v[206:207], v[104:105]
	ds_read_u16 v206, v214 offset:35586
	v_mov_b32_e32 v213, 0
	v_dot4c_i32_i8_e32 v205, v190, v1
	v_dot4c_i32_i8_e32 v213, v193, v4
	;; [unrolled: 1-line block ×6, first 2 shown]
	s_waitcnt lgkmcnt(0)
	v_lshrrev_b16_e32 v207, 8, v206
	v_bfe_i32 v209, v206, 0, 8
	v_dot4c_i32_i8_e32 v213, v196, v7
	v_bfe_i32 v207, v207, 0, 8
	v_mul_lo_u32 v206, v205, v209
	v_mul_lo_u32 v214, v216, v207
	v_mad_u64_u32 v[218:219], s[22:23], v213, v207, v[206:207]
	v_mov_b32_e32 v213, 0
	v_dot4c_i32_i8_e32 v213, v197, v0
	ds_read_u16 v0, v217 offset:36610
	v_dot4c_i32_i8_e32 v213, v198, v1
	v_mov_b32_e32 v1, 0
	v_dot4c_i32_i8_e32 v1, v201, v4
	v_dot4c_i32_i8_e32 v213, v199, v2
	;; [unrolled: 1-line block ×3, first 2 shown]
	s_waitcnt lgkmcnt(0)
	v_lshrrev_b16_e32 v2, 8, v0
	v_dot4c_i32_i8_e32 v213, v200, v3
	v_dot4c_i32_i8_e32 v1, v203, v6
	v_bfe_i32 v205, v2, 0, 8
	v_bfe_i32 v206, v0, 0, 8
	v_dot4c_i32_i8_e32 v1, v204, v7
	v_mul_lo_u32 v0, v213, v206
	v_mul_lo_u32 v2, v223, v205
                                        ; kill: def $vgpr3 killed $sgpr0 killed $exec
	v_mad_u64_u32 v[214:215], s[22:23], v215, v209, v[214:215]
	v_mad_u64_u32 v[2:3], s[22:23], v222, v206, v[2:3]
	;; [unrolled: 1-line block ×3, first 2 shown]
	v_cvt_f32_i32_e32 v1, v0
	v_cvt_f32_i32_e32 v0, v2
	v_pk_mul_f32 v[4:5], v[122:123], v[124:125] op_sel_hi:[0,1]
	v_pk_mul_f32 v[220:221], v[120:121], v[124:125] op_sel_hi:[0,1]
	v_cvt_f32_i32_e32 v215, v218
	v_cvt_f32_i32_e32 v214, v214
	v_pk_fma_f32 v[114:115], v[4:5], v[0:1], v[114:115]
	ds_read2_b32 v[124:125], v176 offset0:64 offset1:96
	ds_read_b128 v[0:3], v175 offset:2048
	ds_read_b128 v[4:7], v175 offset:2064
	v_mov_b32_e32 v213, 0
	v_pk_fma_f32 v[110:111], v[220:221], v[214:215], v[110:111]
	v_mov_b32_e32 v215, 0
	v_mov_b32_e32 v220, 0
	;; [unrolled: 1-line block ×7, first 2 shown]
	s_waitcnt lgkmcnt(1)
	v_dot4c_i32_i8_e32 v213, v126, v0
	s_waitcnt lgkmcnt(0)
	v_dot4c_i32_i8_e32 v215, v185, v4
	v_dot4c_i32_i8_e32 v220, v177, v0
	;; [unrolled: 1-line block ×31, first 2 shown]
	ds_read_b128 v[0:3], v175 offset:3072
	ds_read_b128 v[4:7], v175 offset:3088
	v_mov_b32_e32 v214, 0
	v_mov_b32_e32 v218, 0
	v_mul_lo_u32 v216, v215, v211
	s_waitcnt lgkmcnt(1)
	v_dot4c_i32_i8_e32 v214, v126, v0
	v_dot4c_i32_i8_e32 v214, v127, v1
	s_waitcnt lgkmcnt(0)
	v_dot4c_i32_i8_e32 v218, v185, v4
	v_dot4c_i32_i8_e32 v214, v128, v2
	;; [unrolled: 1-line block ×6, first 2 shown]
                                        ; kill: def $vgpr215 killed $sgpr0 killed $exec
	v_mad_u64_u32 v[216:217], s[22:23], v213, v212, v[216:217]
	v_mul_lo_u32 v214, v214, v212
	s_nop 0
	v_mad_u64_u32 v[214:215], s[22:23], v218, v211, v[214:215]
	v_cvt_f32_i32_e32 v215, v214
	v_cvt_f32_i32_e32 v214, v216
	v_pk_mul_f32 v[218:219], v[116:117], v[124:125] op_sel_hi:[0,1]
	v_mov_b32_e32 v213, 0
	v_dot4c_i32_i8_e32 v213, v177, v0
	v_pk_fma_f32 v[86:87], v[218:219], v[214:215], v[86:87]
	v_mov_b32_e32 v215, 0
	v_dot4c_i32_i8_e32 v213, v178, v1
	v_dot4c_i32_i8_e32 v215, v181, v4
	;; [unrolled: 1-line block ×7, first 2 shown]
	v_mul_lo_u32 v216, v221, v208
	v_mul_lo_u32 v214, v213, v210
	v_mad_u64_u32 v[216:217], s[22:23], v220, v210, v[216:217]
	v_mad_u64_u32 v[214:215], s[22:23], v215, v208, v[214:215]
	v_mov_b32_e32 v213, 0
	v_cvt_f32_i32_e32 v215, v214
	v_cvt_f32_i32_e32 v214, v216
	v_dot4c_i32_i8_e32 v213, v189, v0
	v_dot4c_i32_i8_e32 v213, v190, v1
	;; [unrolled: 1-line block ×3, first 2 shown]
	v_pk_mul_f32 v[218:219], v[118:119], v[124:125] op_sel_hi:[0,1]
	v_dot4c_i32_i8_e32 v213, v192, v3
	v_pk_fma_f32 v[98:99], v[218:219], v[214:215], v[98:99]
	v_mov_b32_e32 v215, 0
	v_dot4c_i32_i8_e32 v215, v193, v4
	v_mul_lo_u32 v214, v213, v209
	v_mov_b32_e32 v213, 0
	v_dot4c_i32_i8_e32 v213, v197, v0
	v_dot4c_i32_i8_e32 v213, v198, v1
	v_mov_b32_e32 v1, 0
	v_dot4c_i32_i8_e32 v1, v201, v4
	v_dot4c_i32_i8_e32 v213, v199, v2
	;; [unrolled: 1-line block ×6, first 2 shown]
	v_mul_lo_u32 v2, v225, v205
	v_mul_lo_u32 v0, v213, v206
                                        ; kill: def $vgpr3 killed $sgpr0 killed $exec
	v_dot4c_i32_i8_e32 v215, v194, v5
	v_mad_u64_u32 v[2:3], s[22:23], v224, v206, v[2:3]
	v_mad_u64_u32 v[0:1], s[22:23], v1, v205, v[0:1]
	v_cvt_f32_i32_e32 v1, v0
	v_cvt_f32_i32_e32 v0, v2
	v_dot4c_i32_i8_e32 v215, v195, v6
	v_dot4c_i32_i8_e32 v215, v196, v7
	v_mul_lo_u32 v216, v223, v207
	v_mad_u64_u32 v[216:217], s[22:23], v222, v209, v[216:217]
	s_nop 0
	v_mad_u64_u32 v[214:215], s[22:23], v215, v207, v[214:215]
	v_pk_mul_f32 v[4:5], v[122:123], v[124:125] op_sel_hi:[0,1]
	v_pk_mul_f32 v[218:219], v[120:121], v[124:125] op_sel_hi:[0,1]
	v_cvt_f32_i32_e32 v215, v214
	v_cvt_f32_i32_e32 v214, v216
	v_pk_fma_f32 v[112:113], v[4:5], v[0:1], v[112:113]
	ds_read2_b32 v[124:125], v176 offset0:128 offset1:160
	ds_read_b128 v[0:3], v175 offset:4096
	ds_read_b128 v[4:7], v175 offset:4112
	v_mov_b32_e32 v213, 0
	v_pk_fma_f32 v[106:107], v[218:219], v[214:215], v[106:107]
	v_mov_b32_e32 v215, 0
	v_mov_b32_e32 v220, 0
	;; [unrolled: 1-line block ×7, first 2 shown]
	s_waitcnt lgkmcnt(1)
	v_dot4c_i32_i8_e32 v213, v126, v0
	s_waitcnt lgkmcnt(0)
	v_dot4c_i32_i8_e32 v215, v185, v4
	v_dot4c_i32_i8_e32 v220, v177, v0
	;; [unrolled: 1-line block ×31, first 2 shown]
	ds_read_b128 v[0:3], v175 offset:5120
	ds_read_b128 v[4:7], v175 offset:5136
	v_mov_b32_e32 v214, 0
	v_mov_b32_e32 v218, 0
	v_mul_lo_u32 v216, v215, v211
	s_waitcnt lgkmcnt(1)
	v_dot4c_i32_i8_e32 v214, v126, v0
	v_dot4c_i32_i8_e32 v214, v127, v1
	s_waitcnt lgkmcnt(0)
	v_dot4c_i32_i8_e32 v218, v185, v4
	v_dot4c_i32_i8_e32 v214, v128, v2
	;; [unrolled: 1-line block ×6, first 2 shown]
                                        ; kill: def $vgpr215 killed $sgpr0 killed $exec
	v_mad_u64_u32 v[216:217], s[22:23], v213, v212, v[216:217]
	v_mul_lo_u32 v214, v214, v212
	s_nop 0
	v_mad_u64_u32 v[214:215], s[22:23], v218, v211, v[214:215]
	v_cvt_f32_i32_e32 v215, v214
	v_cvt_f32_i32_e32 v214, v216
	v_pk_mul_f32 v[218:219], v[116:117], v[124:125] op_sel_hi:[0,1]
	v_mov_b32_e32 v213, 0
	v_dot4c_i32_i8_e32 v213, v177, v0
	v_pk_fma_f32 v[78:79], v[218:219], v[214:215], v[78:79]
	v_mov_b32_e32 v215, 0
	v_dot4c_i32_i8_e32 v213, v178, v1
	v_dot4c_i32_i8_e32 v215, v181, v4
	;; [unrolled: 1-line block ×7, first 2 shown]
	v_mul_lo_u32 v216, v221, v208
	v_mul_lo_u32 v214, v213, v210
	v_mad_u64_u32 v[216:217], s[22:23], v220, v210, v[216:217]
	v_mad_u64_u32 v[214:215], s[22:23], v215, v208, v[214:215]
	v_mov_b32_e32 v213, 0
	v_cvt_f32_i32_e32 v215, v214
	v_cvt_f32_i32_e32 v214, v216
	v_dot4c_i32_i8_e32 v213, v189, v0
	v_dot4c_i32_i8_e32 v213, v190, v1
	;; [unrolled: 1-line block ×3, first 2 shown]
	v_pk_mul_f32 v[218:219], v[118:119], v[124:125] op_sel_hi:[0,1]
	v_dot4c_i32_i8_e32 v213, v192, v3
	v_pk_fma_f32 v[88:89], v[218:219], v[214:215], v[88:89]
	v_mov_b32_e32 v215, 0
	v_dot4c_i32_i8_e32 v215, v193, v4
	v_mul_lo_u32 v214, v213, v209
	v_mov_b32_e32 v213, 0
	v_dot4c_i32_i8_e32 v213, v197, v0
	v_dot4c_i32_i8_e32 v213, v198, v1
	v_mov_b32_e32 v1, 0
	v_dot4c_i32_i8_e32 v1, v201, v4
	v_dot4c_i32_i8_e32 v213, v199, v2
	;; [unrolled: 1-line block ×6, first 2 shown]
	v_mul_lo_u32 v2, v225, v205
	v_mul_lo_u32 v0, v213, v206
                                        ; kill: def $vgpr3 killed $sgpr0 killed $exec
	v_dot4c_i32_i8_e32 v215, v194, v5
	v_mad_u64_u32 v[2:3], s[22:23], v224, v206, v[2:3]
	v_mad_u64_u32 v[0:1], s[22:23], v1, v205, v[0:1]
	v_cvt_f32_i32_e32 v1, v0
	v_cvt_f32_i32_e32 v0, v2
	v_dot4c_i32_i8_e32 v215, v195, v6
	v_dot4c_i32_i8_e32 v215, v196, v7
	v_mul_lo_u32 v216, v223, v207
	v_mad_u64_u32 v[216:217], s[22:23], v222, v209, v[216:217]
	s_nop 0
	v_mad_u64_u32 v[214:215], s[22:23], v215, v207, v[214:215]
	v_pk_mul_f32 v[4:5], v[122:123], v[124:125] op_sel_hi:[0,1]
	v_pk_mul_f32 v[218:219], v[120:121], v[124:125] op_sel_hi:[0,1]
	v_cvt_f32_i32_e32 v215, v214
	v_cvt_f32_i32_e32 v214, v216
	v_pk_fma_f32 v[108:109], v[4:5], v[0:1], v[108:109]
	ds_read2_b32 v[124:125], v176 offset0:192 offset1:224
	ds_read_b128 v[0:3], v175 offset:6144
	ds_read_b128 v[4:7], v175 offset:6160
	v_mov_b32_e32 v220, 0
	v_pk_fma_f32 v[100:101], v[218:219], v[214:215], v[100:101]
	v_mov_b32_e32 v219, 0
	v_mov_b32_e32 v217, 0
	;; [unrolled: 1-line block ×7, first 2 shown]
	s_waitcnt lgkmcnt(1)
	v_dot4c_i32_i8_e32 v219, v126, v0
	s_waitcnt lgkmcnt(0)
	v_dot4c_i32_i8_e32 v220, v185, v4
	v_dot4c_i32_i8_e32 v217, v177, v0
	;; [unrolled: 1-line block ×31, first 2 shown]
	ds_read_b128 v[4:7], v175 offset:7168
	ds_read_b128 v[0:3], v175 offset:7184
	v_mov_b32_e32 v221, 0
	s_add_i32 s19, s19, 2
	s_add_i32 s18, s18, 1
	s_waitcnt lgkmcnt(1)
	v_dot4c_i32_i8_e32 v221, v126, v4
	v_dot4c_i32_i8_e32 v221, v127, v5
	;; [unrolled: 1-line block ×4, first 2 shown]
	v_mov_b32_e32 v129, 0
	s_waitcnt lgkmcnt(0)
	v_dot4c_i32_i8_e32 v129, v185, v0
	v_dot4c_i32_i8_e32 v129, v186, v1
	v_dot4c_i32_i8_e32 v129, v187, v2
	v_dot4c_i32_i8_e32 v129, v188, v3
	v_mul_lo_u32 v128, v221, v212
	v_mul_lo_u32 v126, v220, v211
                                        ; kill: def $vgpr127 killed $sgpr0 killed $exec
	v_pk_mul_f32 v[186:187], v[116:117], v[124:125] op_sel_hi:[0,1]
	v_mad_u64_u32 v[126:127], s[22:23], v219, v212, v[126:127]
	v_mad_u64_u32 v[128:129], s[22:23], v129, v211, v[128:129]
	v_mov_b32_e32 v116, 0
	v_cvt_f32_i32_e32 v127, v128
	v_cvt_f32_i32_e32 v126, v126
	v_dot4c_i32_i8_e32 v116, v177, v4
	v_mov_b32_e32 v128, 0
	v_dot4c_i32_i8_e32 v116, v178, v5
	v_dot4c_i32_i8_e32 v128, v181, v0
	;; [unrolled: 1-line block ×6, first 2 shown]
	v_pk_fma_f32 v[70:71], v[186:187], v[126:127], v[70:71]
	v_dot4c_i32_i8_e32 v128, v184, v3
	v_mul_lo_u32 v116, v116, v210
	v_mul_lo_u32 v126, v218, v208
                                        ; kill: def $vgpr127 killed $sgpr0 killed $exec
	v_pk_mul_f32 v[178:179], v[118:119], v[124:125] op_sel_hi:[0,1]
	v_mad_u64_u32 v[126:127], s[22:23], v217, v210, v[126:127]
	v_mad_u64_u32 v[128:129], s[22:23], v128, v208, v[116:117]
	v_mov_b32_e32 v116, 0
	v_cvt_f32_i32_e32 v127, v128
	v_dot4c_i32_i8_e32 v116, v189, v4
	v_mov_b32_e32 v128, 0
	v_dot4c_i32_i8_e32 v116, v190, v5
	v_dot4c_i32_i8_e32 v128, v193, v0
	;; [unrolled: 1-line block ×7, first 2 shown]
	v_cvt_f32_i32_e32 v126, v126
	v_mul_lo_u32 v116, v116, v209
	v_mul_lo_u32 v118, v216, v207
	v_mad_u64_u32 v[128:129], s[22:23], v128, v207, v[116:117]
	v_mov_b32_e32 v116, 0
	v_dot4c_i32_i8_e32 v116, v197, v4
	v_mov_b32_e32 v4, 0
	v_dot4c_i32_i8_e32 v116, v198, v5
	v_dot4c_i32_i8_e32 v4, v201, v0
	;; [unrolled: 1-line block ×7, first 2 shown]
	v_mul_lo_u32 v2, v214, v205
	v_mul_lo_u32 v0, v116, v206
                                        ; kill: def $vgpr1 killed $sgpr0 killed $exec
	v_pk_fma_f32 v[80:81], v[178:179], v[126:127], v[80:81]
	v_mad_u64_u32 v[126:127], s[22:23], v215, v209, v[118:119]
	v_mad_u64_u32 v[2:3], s[22:23], v213, v206, v[2:3]
	;; [unrolled: 1-line block ×3, first 2 shown]
	v_cvt_f32_i32_e32 v127, v128
	v_cvt_f32_i32_e32 v126, v126
	;; [unrolled: 1-line block ×4, first 2 shown]
	v_pk_mul_f32 v[178:179], v[120:121], v[124:125] op_sel_hi:[0,1]
	v_pk_mul_f32 v[4:5], v[122:123], v[124:125] op_sel_hi:[0,1]
	v_pk_fma_f32 v[90:91], v[178:179], v[126:127], v[90:91]
	v_pk_fma_f32 v[102:103], v[4:5], v[0:1], v[102:103]
	v_add_u32_e32 v176, 4, v176
	v_add_u32_e32 v175, 32, v175
	s_cmp_lt_u32 s20, 14
	s_mov_b32 s22, s20
	s_cbranch_scc1 .LBB149_9
; %bb.10:                               ;   in Loop: Header=BB149_6 Depth=1
	s_or_b32 s18, s7, 1
	s_cmp_ge_i32 s18, s4
	s_barrier
	s_cbranch_scc1 .LBB149_5
; %bb.11:                               ;   in Loop: Header=BB149_6 Depth=1
	v_add_u32_e32 v116, s17, v142
	v_add_u32_e32 v118, v116, v77
	v_mad_i64_i32 v[124:125], s[18:19], v118, 36, v[46:47]
	v_add_u32_e32 v118, v116, v83
	v_add_u32_e32 v0, v116, v67
	;; [unrolled: 1-line block ×5, first 2 shown]
	v_mad_i64_i32 v[126:127], s[18:19], v118, 36, v[46:47]
	v_add_u32_e32 v118, v116, v85
	v_add_u32_e32 v116, v116, v93
	v_mad_i64_i32 v[176:177], s[18:19], v116, 36, v[46:47]
	v_add_u32_e32 v116, 8, v174
	v_mad_i64_i32 v[0:1], s[18:19], v0, 36, v[46:47]
	v_mad_i64_i32 v[2:3], s[18:19], v2, 36, v[46:47]
	v_mad_i64_i32 v[4:5], s[18:19], v4, 36, v[46:47]
	v_mad_i64_i32 v[6:7], s[18:19], v6, 36, v[46:47]
	v_mad_u64_u32 v[178:179], s[18:19], v116, 36, s[2:3]
	v_mad_i64_i32 v[128:129], s[18:19], v118, 36, v[46:47]
	global_load_dword v116, v[178:179], off
	s_nop 0
	global_load_dword v0, v[0:1], off offset:4
	s_nop 0
	global_load_dword v1, v[2:3], off offset:4
	;; [unrolled: 2-line block ×3, first 2 shown]
	global_load_dword v3, v[6:7], off offset:4
	s_nop 0
	global_load_dword v4, v[124:125], off offset:4
	global_load_dword v5, v[126:127], off offset:4
	;; [unrolled: 1-line block ×4, first 2 shown]
	s_mov_b32 s18, 16
	s_mov_b32 s22, 14
	;; [unrolled: 1-line block ×3, first 2 shown]
	v_mov_b32_e32 v175, v154
	v_mov_b32_e32 v176, v152
	s_waitcnt vmcnt(8)
	v_cvt_f32_f16_e32 v116, v116
	s_waitcnt vmcnt(7)
	ds_write_b32 v157, v0
	s_waitcnt vmcnt(6)
	ds_write_b32 v158, v1
	;; [unrolled: 2-line block ×8, first 2 shown]
	ds_write_b32 v45, v116
	s_waitcnt lgkmcnt(0)
	s_barrier
.LBB149_12:                             ;   Parent Loop BB149_6 Depth=1
                                        ; =>  This Inner Loop Header: Depth=2
	s_add_i32 s20, s22, 2
	s_lshr_b32 s25, s20, 4
	s_and_b32 s23, s20, 0x3ffffff8
	v_lshl_add_u32 v122, s23, 2, v95
	s_lshl_b32 s23, s25, 5
	s_addk_i32 s23, 0x4200
	v_add3_u32 v120, s23, v165, v97
	ds_read2_b32 v[124:125], v176 offset1:32
	ds_read_b128 v[4:7], v175
	ds_read_b128 v[0:3], v175 offset:16
	ds_read2_b32 v[126:127], v122 offset1:1
	ds_read2_b32 v[128:129], v120 offset1:1
	ds_read2_b32 v[178:179], v120 offset0:2 offset1:3
	ds_read2_b32 v[180:181], v120 offset0:4 offset1:5
	s_add_i32 s21, s22, -14
	s_waitcnt lgkmcnt(3)
	v_ashrrev_i32_e32 v116, s21, v126
	s_waitcnt lgkmcnt(2)
	v_ashrrev_i32_e32 v126, s19, v128
	v_lshlrev_b32_e32 v126, 2, v126
	v_bfe_u32 v118, v116, 24, 2
	v_and_b32_e32 v116, 0x3030303, v116
	v_and_b32_e32 v126, 0x4040404, v126
	v_sub_u16_e32 v128, v116, v126
	v_sub_u16_sdwa v177, v116, v126 dst_sel:BYTE_1 dst_unused:UNUSED_PAD src0_sel:BYTE_1 src1_sel:BYTE_1
	v_sub_u16_sdwa v116, v116, v126 dst_sel:DWORD dst_unused:UNUSED_PAD src0_sel:WORD_1 src1_sel:WORD_1
	v_sub_u16_sdwa v118, v118, v126 dst_sel:BYTE_1 dst_unused:UNUSED_PAD src0_sel:DWORD src1_sel:BYTE_3
	v_bitop3_b16 v128, v128, v177, s9 bitop3:0xec
	v_bitop3_b16 v116, v116, v118, s9 bitop3:0xec
	v_lshlrev_b32_e32 v116, 16, v116
	v_or_b32_sdwa v126, v128, v116 dst_sel:DWORD dst_unused:UNUSED_PAD src0_sel:WORD_0 src1_sel:DWORD
	v_ashrrev_i32_e32 v116, s21, v127
	v_ashrrev_i32_e32 v127, s19, v129
	v_lshlrev_b32_e32 v127, 2, v127
	v_bfe_u32 v118, v116, 24, 2
	v_and_b32_e32 v116, 0x3030303, v116
	v_and_b32_e32 v127, 0x4040404, v127
	v_sub_u16_e32 v128, v116, v127
	v_sub_u16_sdwa v129, v116, v127 dst_sel:BYTE_1 dst_unused:UNUSED_PAD src0_sel:BYTE_1 src1_sel:BYTE_1
	v_sub_u16_sdwa v116, v116, v127 dst_sel:DWORD dst_unused:UNUSED_PAD src0_sel:WORD_1 src1_sel:WORD_1
	v_sub_u16_sdwa v118, v118, v127 dst_sel:BYTE_1 dst_unused:UNUSED_PAD src0_sel:DWORD src1_sel:BYTE_3
	v_bitop3_b16 v128, v128, v129, s9 bitop3:0xec
	v_bitop3_b16 v116, v116, v118, s9 bitop3:0xec
	v_lshlrev_b32_e32 v116, 16, v116
	v_or_b32_sdwa v127, v128, v116 dst_sel:DWORD dst_unused:UNUSED_PAD src0_sel:WORD_0 src1_sel:DWORD
	ds_read2_b32 v[128:129], v122 offset0:2 offset1:3
	s_and_b32 s24, s18, -16
	s_add_i32 s22, s22, s24
	s_lshl_b32 s24, s25, 2
	s_add_i32 s24, s24, 0x9380
	s_waitcnt lgkmcnt(0)
	v_ashrrev_i32_e32 v116, s21, v128
	v_ashrrev_i32_e32 v128, s19, v178
	v_lshlrev_b32_e32 v128, 2, v128
	v_bfe_u32 v118, v116, 24, 2
	v_and_b32_e32 v116, 0x3030303, v116
	v_and_b32_e32 v128, 0x4040404, v128
	v_sub_u16_e32 v177, v116, v128
	v_sub_u16_sdwa v178, v116, v128 dst_sel:BYTE_1 dst_unused:UNUSED_PAD src0_sel:BYTE_1 src1_sel:BYTE_1
	v_sub_u16_sdwa v116, v116, v128 dst_sel:DWORD dst_unused:UNUSED_PAD src0_sel:WORD_1 src1_sel:WORD_1
	v_sub_u16_sdwa v118, v118, v128 dst_sel:BYTE_1 dst_unused:UNUSED_PAD src0_sel:DWORD src1_sel:BYTE_3
	v_bitop3_b16 v177, v177, v178, s9 bitop3:0xec
	v_bitop3_b16 v116, v116, v118, s9 bitop3:0xec
	v_lshlrev_b32_e32 v116, 16, v116
	v_or_b32_sdwa v128, v177, v116 dst_sel:DWORD dst_unused:UNUSED_PAD src0_sel:WORD_0 src1_sel:DWORD
	v_ashrrev_i32_e32 v116, s21, v129
	v_ashrrev_i32_e32 v129, s19, v179
	v_lshlrev_b32_e32 v129, 2, v129
	v_bfe_u32 v118, v116, 24, 2
	v_and_b32_e32 v116, 0x3030303, v116
	v_and_b32_e32 v129, 0x4040404, v129
	v_sub_u16_e32 v177, v116, v129
	v_sub_u16_sdwa v178, v116, v129 dst_sel:BYTE_1 dst_unused:UNUSED_PAD src0_sel:BYTE_1 src1_sel:BYTE_1
	v_sub_u16_sdwa v116, v116, v129 dst_sel:DWORD dst_unused:UNUSED_PAD src0_sel:WORD_1 src1_sel:WORD_1
	v_bitop3_b16 v177, v177, v178, s9 bitop3:0xec
	ds_read2_b32 v[178:179], v122 offset0:4 offset1:5
	v_sub_u16_sdwa v118, v118, v129 dst_sel:BYTE_1 dst_unused:UNUSED_PAD src0_sel:DWORD src1_sel:BYTE_3
	v_add3_u32 v184, s23, v168, v130
	v_bitop3_b16 v116, v116, v118, s9 bitop3:0xec
	v_lshlrev_b32_e32 v116, 16, v116
	v_or_b32_sdwa v129, v177, v116 dst_sel:DWORD dst_unused:UNUSED_PAD src0_sel:WORD_0 src1_sel:DWORD
	v_ashrrev_i32_e32 v177, s19, v180
	s_waitcnt lgkmcnt(0)
	v_ashrrev_i32_e32 v116, s21, v178
	v_lshlrev_b32_e32 v177, 2, v177
	v_bfe_u32 v118, v116, 24, 2
	v_and_b32_e32 v116, 0x3030303, v116
	v_and_b32_e32 v177, 0x4040404, v177
	v_sub_u16_e32 v178, v116, v177
	v_sub_u16_sdwa v180, v116, v177 dst_sel:BYTE_1 dst_unused:UNUSED_PAD src0_sel:BYTE_1 src1_sel:BYTE_1
	v_sub_u16_sdwa v116, v116, v177 dst_sel:DWORD dst_unused:UNUSED_PAD src0_sel:WORD_1 src1_sel:WORD_1
	v_sub_u16_sdwa v118, v118, v177 dst_sel:BYTE_1 dst_unused:UNUSED_PAD src0_sel:DWORD src1_sel:BYTE_3
	v_bitop3_b16 v178, v178, v180, s9 bitop3:0xec
	v_bitop3_b16 v116, v116, v118, s9 bitop3:0xec
	v_lshlrev_b32_e32 v116, 16, v116
	v_ashrrev_i32_e32 v177, s19, v181
	v_or_b32_sdwa v185, v178, v116 dst_sel:DWORD dst_unused:UNUSED_PAD src0_sel:WORD_0 src1_sel:DWORD
	v_ashrrev_i32_e32 v116, s21, v179
	v_lshlrev_b32_e32 v177, 2, v177
	v_bfe_u32 v118, v116, 24, 2
	v_and_b32_e32 v116, 0x3030303, v116
	v_and_b32_e32 v177, 0x4040404, v177
	v_sub_u16_e32 v178, v116, v177
	v_sub_u16_sdwa v179, v116, v177 dst_sel:BYTE_1 dst_unused:UNUSED_PAD src0_sel:BYTE_1 src1_sel:BYTE_1
	v_sub_u16_sdwa v116, v116, v177 dst_sel:DWORD dst_unused:UNUSED_PAD src0_sel:WORD_1 src1_sel:WORD_1
	v_sub_u16_sdwa v118, v118, v177 dst_sel:BYTE_1 dst_unused:UNUSED_PAD src0_sel:DWORD src1_sel:BYTE_3
	v_bitop3_b16 v178, v178, v179, s9 bitop3:0xec
	v_bitop3_b16 v116, v116, v118, s9 bitop3:0xec
	v_lshlrev_b32_e32 v116, 16, v116
	v_or_b32_sdwa v186, v178, v116 dst_sel:DWORD dst_unused:UNUSED_PAD src0_sel:WORD_0 src1_sel:DWORD
	ds_read2_b32 v[178:179], v122 offset0:6 offset1:7
	ds_read2_b32 v[180:181], v120 offset0:6 offset1:7
	;; [unrolled: 1-line block ×4, first 2 shown]
	v_add3_u32 v198, s23, v170, v134
	s_waitcnt lgkmcnt(3)
	v_ashrrev_i32_e32 v116, s21, v178
	s_waitcnt lgkmcnt(2)
	v_ashrrev_i32_e32 v120, s19, v180
	v_lshlrev_b32_e32 v120, 2, v120
	v_bfe_u32 v118, v116, 24, 2
	v_and_b32_e32 v116, 0x3030303, v116
	v_and_b32_e32 v120, 0x4040404, v120
	v_sub_u16_e32 v177, v116, v120
	v_sub_u16_sdwa v178, v116, v120 dst_sel:BYTE_1 dst_unused:UNUSED_PAD src0_sel:BYTE_1 src1_sel:BYTE_1
	v_sub_u16_sdwa v116, v116, v120 dst_sel:DWORD dst_unused:UNUSED_PAD src0_sel:WORD_1 src1_sel:WORD_1
	v_sub_u16_sdwa v118, v118, v120 dst_sel:BYTE_1 dst_unused:UNUSED_PAD src0_sel:DWORD src1_sel:BYTE_3
	v_bitop3_b16 v177, v177, v178, s9 bitop3:0xec
	v_bitop3_b16 v116, v116, v118, s9 bitop3:0xec
	v_lshlrev_b32_e32 v116, 16, v116
	v_ashrrev_i32_e32 v120, s19, v181
	v_or_b32_sdwa v187, v177, v116 dst_sel:DWORD dst_unused:UNUSED_PAD src0_sel:WORD_0 src1_sel:DWORD
	v_ashrrev_i32_e32 v116, s21, v179
	v_lshlrev_b32_e32 v120, 2, v120
	v_bfe_u32 v118, v116, 24, 2
	v_and_b32_e32 v116, 0x3030303, v116
	v_and_b32_e32 v120, 0x4040404, v120
	v_sub_u16_e32 v177, v116, v120
	v_sub_u16_sdwa v178, v116, v120 dst_sel:BYTE_1 dst_unused:UNUSED_PAD src0_sel:BYTE_1 src1_sel:BYTE_1
	v_sub_u16_sdwa v116, v116, v120 dst_sel:DWORD dst_unused:UNUSED_PAD src0_sel:WORD_1 src1_sel:WORD_1
	v_sub_u16_sdwa v118, v118, v120 dst_sel:BYTE_1 dst_unused:UNUSED_PAD src0_sel:DWORD src1_sel:BYTE_3
	v_bitop3_b16 v177, v177, v178, s9 bitop3:0xec
	v_bitop3_b16 v116, v116, v118, s9 bitop3:0xec
	v_lshlrev_b32_e32 v116, 16, v116
	v_or_b32_sdwa v188, v177, v116 dst_sel:DWORD dst_unused:UNUSED_PAD src0_sel:WORD_0 src1_sel:DWORD
	v_add3_u32 v116, s24, v166, v167
	v_add_u32_e32 v118, 0x1080, v122
	ds_read_b32 v116, v116
	ds_read2_b32 v[178:179], v118 offset1:1
	ds_read2_b32 v[180:181], v184 offset1:1
	ds_read2_b32 v[192:193], v184 offset0:6 offset1:7
	v_add3_u32 v204, s23, v172, v138
	v_mov_b32_e32 v206, 0
	s_waitcnt lgkmcnt(2)
	v_ashrrev_i32_e32 v118, s21, v178
	s_waitcnt lgkmcnt(1)
	v_ashrrev_i32_e32 v177, s19, v180
	v_lshlrev_b32_e32 v177, 2, v177
	v_bfe_u32 v120, v118, 24, 2
	v_and_b32_e32 v118, 0x3030303, v118
	v_and_b32_e32 v177, 0x4040404, v177
	v_sub_u16_e32 v178, v118, v177
	v_sub_u16_sdwa v180, v118, v177 dst_sel:BYTE_1 dst_unused:UNUSED_PAD src0_sel:BYTE_1 src1_sel:BYTE_1
	v_sub_u16_sdwa v118, v118, v177 dst_sel:DWORD dst_unused:UNUSED_PAD src0_sel:WORD_1 src1_sel:WORD_1
	v_sub_u16_sdwa v120, v120, v177 dst_sel:BYTE_1 dst_unused:UNUSED_PAD src0_sel:DWORD src1_sel:BYTE_3
	v_bitop3_b16 v178, v178, v180, s9 bitop3:0xec
	v_bitop3_b16 v118, v118, v120, s9 bitop3:0xec
	v_lshlrev_b32_e32 v118, 16, v118
	v_or_b32_sdwa v177, v178, v118 dst_sel:DWORD dst_unused:UNUSED_PAD src0_sel:WORD_0 src1_sel:DWORD
	v_ashrrev_i32_e32 v178, s19, v181
	v_ashrrev_i32_e32 v118, s21, v179
	v_lshlrev_b32_e32 v178, 2, v178
	v_bfe_u32 v120, v118, 24, 2
	v_and_b32_e32 v118, 0x3030303, v118
	v_and_b32_e32 v178, 0x4040404, v178
	v_sub_u16_e32 v179, v118, v178
	v_sub_u16_sdwa v180, v118, v178 dst_sel:BYTE_1 dst_unused:UNUSED_PAD src0_sel:BYTE_1 src1_sel:BYTE_1
	v_sub_u16_sdwa v118, v118, v178 dst_sel:DWORD dst_unused:UNUSED_PAD src0_sel:WORD_1 src1_sel:WORD_1
	v_sub_u16_sdwa v120, v120, v178 dst_sel:BYTE_1 dst_unused:UNUSED_PAD src0_sel:DWORD src1_sel:BYTE_3
	v_bitop3_b16 v179, v179, v180, s9 bitop3:0xec
	v_bitop3_b16 v118, v118, v120, s9 bitop3:0xec
	v_lshlrev_b32_e32 v118, 16, v118
	v_or_b32_sdwa v178, v179, v118 dst_sel:DWORD dst_unused:UNUSED_PAD src0_sel:WORD_0 src1_sel:DWORD
	v_add_u32_e32 v118, 0x1088, v122
	ds_read2_b32 v[180:181], v118 offset1:1
	v_ashrrev_i32_e32 v179, s19, v182
	v_lshlrev_b32_e32 v179, 2, v179
	v_and_b32_e32 v179, 0x4040404, v179
	v_mov_b32_e32 v207, 0
	s_waitcnt lgkmcnt(0)
	v_ashrrev_i32_e32 v118, s21, v180
	v_bfe_u32 v120, v118, 24, 2
	v_and_b32_e32 v118, 0x3030303, v118
	v_sub_u16_e32 v180, v118, v179
	v_sub_u16_sdwa v182, v118, v179 dst_sel:BYTE_1 dst_unused:UNUSED_PAD src0_sel:BYTE_1 src1_sel:BYTE_1
	v_sub_u16_sdwa v118, v118, v179 dst_sel:DWORD dst_unused:UNUSED_PAD src0_sel:WORD_1 src1_sel:WORD_1
	v_sub_u16_sdwa v120, v120, v179 dst_sel:BYTE_1 dst_unused:UNUSED_PAD src0_sel:DWORD src1_sel:BYTE_3
	v_bitop3_b16 v180, v180, v182, s9 bitop3:0xec
	v_bitop3_b16 v118, v118, v120, s9 bitop3:0xec
	v_lshlrev_b32_e32 v118, 16, v118
	v_or_b32_sdwa v179, v180, v118 dst_sel:DWORD dst_unused:UNUSED_PAD src0_sel:WORD_0 src1_sel:DWORD
	v_ashrrev_i32_e32 v180, s19, v183
	v_ashrrev_i32_e32 v118, s21, v181
	v_lshlrev_b32_e32 v180, 2, v180
	v_bfe_u32 v120, v118, 24, 2
	v_and_b32_e32 v118, 0x3030303, v118
	v_and_b32_e32 v180, 0x4040404, v180
	v_sub_u16_e32 v181, v118, v180
	v_sub_u16_sdwa v182, v118, v180 dst_sel:BYTE_1 dst_unused:UNUSED_PAD src0_sel:BYTE_1 src1_sel:BYTE_1
	v_sub_u16_sdwa v118, v118, v180 dst_sel:DWORD dst_unused:UNUSED_PAD src0_sel:WORD_1 src1_sel:WORD_1
	v_sub_u16_sdwa v120, v120, v180 dst_sel:BYTE_1 dst_unused:UNUSED_PAD src0_sel:DWORD src1_sel:BYTE_3
	v_bitop3_b16 v181, v181, v182, s9 bitop3:0xec
	v_bitop3_b16 v118, v118, v120, s9 bitop3:0xec
	v_lshlrev_b32_e32 v118, 16, v118
	v_or_b32_sdwa v180, v181, v118 dst_sel:DWORD dst_unused:UNUSED_PAD src0_sel:WORD_0 src1_sel:DWORD
	v_add_u32_e32 v118, 0x1090, v122
	ds_read2_b32 v[182:183], v118 offset1:1
	v_ashrrev_i32_e32 v181, s19, v190
	v_lshlrev_b32_e32 v181, 2, v181
	v_and_b32_e32 v181, 0x4040404, v181
	v_mov_b32_e32 v209, 0
	s_waitcnt lgkmcnt(0)
	v_ashrrev_i32_e32 v118, s21, v182
	v_bfe_u32 v120, v118, 24, 2
	;; [unrolled: 32-line block ×3, first 2 shown]
	v_and_b32_e32 v118, 0x3030303, v118
	v_sub_u16_e32 v184, v118, v183
	v_sub_u16_sdwa v189, v118, v183 dst_sel:BYTE_1 dst_unused:UNUSED_PAD src0_sel:BYTE_1 src1_sel:BYTE_1
	v_sub_u16_sdwa v118, v118, v183 dst_sel:DWORD dst_unused:UNUSED_PAD src0_sel:WORD_1 src1_sel:WORD_1
	v_sub_u16_sdwa v120, v120, v183 dst_sel:BYTE_1 dst_unused:UNUSED_PAD src0_sel:DWORD src1_sel:BYTE_3
	v_bitop3_b16 v184, v184, v189, s9 bitop3:0xec
	v_bitop3_b16 v118, v118, v120, s9 bitop3:0xec
	v_lshlrev_b32_e32 v118, 16, v118
	v_or_b32_sdwa v183, v184, v118 dst_sel:DWORD dst_unused:UNUSED_PAD src0_sel:WORD_0 src1_sel:DWORD
	v_ashrrev_i32_e32 v184, s19, v193
	v_ashrrev_i32_e32 v118, s21, v191
	v_lshlrev_b32_e32 v184, 2, v184
	v_bfe_u32 v120, v118, 24, 2
	v_and_b32_e32 v118, 0x3030303, v118
	v_and_b32_e32 v184, 0x4040404, v184
	v_sub_u16_e32 v189, v118, v184
	v_sub_u16_sdwa v190, v118, v184 dst_sel:BYTE_1 dst_unused:UNUSED_PAD src0_sel:BYTE_1 src1_sel:BYTE_1
	v_sub_u16_sdwa v118, v118, v184 dst_sel:DWORD dst_unused:UNUSED_PAD src0_sel:WORD_1 src1_sel:WORD_1
	v_sub_u16_sdwa v120, v120, v184 dst_sel:BYTE_1 dst_unused:UNUSED_PAD src0_sel:DWORD src1_sel:BYTE_3
	v_bitop3_b16 v189, v189, v190, s9 bitop3:0xec
	v_bitop3_b16 v118, v118, v120, s9 bitop3:0xec
	v_lshlrev_b32_e32 v118, 16, v118
	v_or_b32_sdwa v184, v189, v118 dst_sel:DWORD dst_unused:UNUSED_PAD src0_sel:WORD_0 src1_sel:DWORD
	v_add3_u32 v118, s24, v169, v132
	v_add_u32_e32 v120, 0x2100, v122
	ds_read_b32 v118, v118
	ds_read2_b32 v[190:191], v120 offset1:1
	ds_read2_b32 v[192:193], v198 offset1:1
	ds_read2_b32 v[218:219], v204 offset0:6 offset1:7
	v_mov_b32_e32 v215, 0
	v_mov_b32_e32 v216, 0
	s_waitcnt lgkmcnt(2)
	v_ashrrev_i32_e32 v120, s21, v190
	s_waitcnt lgkmcnt(1)
	v_ashrrev_i32_e32 v190, s19, v192
	v_lshlrev_b32_e32 v190, 2, v190
	v_bfe_u32 v189, v120, 24, 2
	v_and_b32_e32 v120, 0x3030303, v120
	v_and_b32_e32 v190, 0x4040404, v190
	v_sub_u16_e32 v192, v120, v190
	v_sub_u16_sdwa v194, v120, v190 dst_sel:BYTE_1 dst_unused:UNUSED_PAD src0_sel:BYTE_1 src1_sel:BYTE_1
	v_sub_u16_sdwa v120, v120, v190 dst_sel:DWORD dst_unused:UNUSED_PAD src0_sel:WORD_1 src1_sel:WORD_1
	v_sub_u16_sdwa v189, v189, v190 dst_sel:BYTE_1 dst_unused:UNUSED_PAD src0_sel:DWORD src1_sel:BYTE_3
	v_bitop3_b16 v192, v192, v194, s9 bitop3:0xec
	v_bitop3_b16 v120, v120, v189, s9 bitop3:0xec
	v_lshlrev_b32_e32 v120, 16, v120
	v_or_b32_sdwa v189, v192, v120 dst_sel:DWORD dst_unused:UNUSED_PAD src0_sel:WORD_0 src1_sel:DWORD
	v_ashrrev_i32_e32 v120, s21, v191
	v_ashrrev_i32_e32 v191, s19, v193
	v_lshlrev_b32_e32 v191, 2, v191
	v_bfe_u32 v190, v120, 24, 2
	v_and_b32_e32 v120, 0x3030303, v120
	v_and_b32_e32 v191, 0x4040404, v191
	v_sub_u16_e32 v192, v120, v191
	v_sub_u16_sdwa v193, v120, v191 dst_sel:BYTE_1 dst_unused:UNUSED_PAD src0_sel:BYTE_1 src1_sel:BYTE_1
	v_sub_u16_sdwa v120, v120, v191 dst_sel:DWORD dst_unused:UNUSED_PAD src0_sel:WORD_1 src1_sel:WORD_1
	v_sub_u16_sdwa v190, v190, v191 dst_sel:BYTE_1 dst_unused:UNUSED_PAD src0_sel:DWORD src1_sel:BYTE_3
	v_bitop3_b16 v192, v192, v193, s9 bitop3:0xec
	v_bitop3_b16 v120, v120, v190, s9 bitop3:0xec
	v_lshlrev_b32_e32 v120, 16, v120
	v_or_b32_sdwa v190, v192, v120 dst_sel:DWORD dst_unused:UNUSED_PAD src0_sel:WORD_0 src1_sel:DWORD
	v_add_u32_e32 v120, 0x2108, v122
	ds_read2_b32 v[192:193], v120 offset1:1
	ds_read2_b32 v[194:195], v198 offset0:2 offset1:3
	v_mov_b32_e32 v222, 0
	v_mov_b32_e32 v223, 0
	v_dot4c_i32_i8_e32 v206, v126, v4
	s_waitcnt lgkmcnt(1)
	v_ashrrev_i32_e32 v120, s21, v192
	s_waitcnt lgkmcnt(0)
	v_ashrrev_i32_e32 v192, s19, v194
	v_lshlrev_b32_e32 v192, 2, v192
	v_bfe_u32 v191, v120, 24, 2
	v_and_b32_e32 v120, 0x3030303, v120
	v_and_b32_e32 v192, 0x4040404, v192
	v_sub_u16_e32 v194, v120, v192
	v_sub_u16_sdwa v196, v120, v192 dst_sel:BYTE_1 dst_unused:UNUSED_PAD src0_sel:BYTE_1 src1_sel:BYTE_1
	v_sub_u16_sdwa v120, v120, v192 dst_sel:DWORD dst_unused:UNUSED_PAD src0_sel:WORD_1 src1_sel:WORD_1
	v_sub_u16_sdwa v191, v191, v192 dst_sel:BYTE_1 dst_unused:UNUSED_PAD src0_sel:DWORD src1_sel:BYTE_3
	v_bitop3_b16 v194, v194, v196, s9 bitop3:0xec
	v_bitop3_b16 v120, v120, v191, s9 bitop3:0xec
	v_lshlrev_b32_e32 v120, 16, v120
	v_or_b32_sdwa v191, v194, v120 dst_sel:DWORD dst_unused:UNUSED_PAD src0_sel:WORD_0 src1_sel:DWORD
	v_ashrrev_i32_e32 v120, s21, v193
	v_ashrrev_i32_e32 v193, s19, v195
	v_lshlrev_b32_e32 v193, 2, v193
	v_bfe_u32 v192, v120, 24, 2
	v_and_b32_e32 v120, 0x3030303, v120
	v_and_b32_e32 v193, 0x4040404, v193
	v_sub_u16_e32 v194, v120, v193
	v_sub_u16_sdwa v195, v120, v193 dst_sel:BYTE_1 dst_unused:UNUSED_PAD src0_sel:BYTE_1 src1_sel:BYTE_1
	v_sub_u16_sdwa v120, v120, v193 dst_sel:DWORD dst_unused:UNUSED_PAD src0_sel:WORD_1 src1_sel:WORD_1
	v_sub_u16_sdwa v192, v192, v193 dst_sel:BYTE_1 dst_unused:UNUSED_PAD src0_sel:DWORD src1_sel:BYTE_3
	v_bitop3_b16 v194, v194, v195, s9 bitop3:0xec
	v_bitop3_b16 v120, v120, v192, s9 bitop3:0xec
	v_lshlrev_b32_e32 v120, 16, v120
	v_or_b32_sdwa v192, v194, v120 dst_sel:DWORD dst_unused:UNUSED_PAD src0_sel:WORD_0 src1_sel:DWORD
	v_add_u32_e32 v120, 0x2110, v122
	ds_read2_b32 v[194:195], v120 offset1:1
	ds_read2_b32 v[196:197], v198 offset0:4 offset1:5
	v_dot4c_i32_i8_e32 v207, v185, v0
	v_dot4c_i32_i8_e32 v209, v177, v4
	;; [unrolled: 1-line block ×3, first 2 shown]
	s_waitcnt lgkmcnt(1)
	v_ashrrev_i32_e32 v120, s21, v194
	s_waitcnt lgkmcnt(0)
	v_ashrrev_i32_e32 v194, s19, v196
	v_lshlrev_b32_e32 v194, 2, v194
	v_bfe_u32 v193, v120, 24, 2
	v_and_b32_e32 v120, 0x3030303, v120
	v_and_b32_e32 v194, 0x4040404, v194
	v_sub_u16_e32 v196, v120, v194
	v_sub_u16_sdwa v199, v120, v194 dst_sel:BYTE_1 dst_unused:UNUSED_PAD src0_sel:BYTE_1 src1_sel:BYTE_1
	v_sub_u16_sdwa v120, v120, v194 dst_sel:DWORD dst_unused:UNUSED_PAD src0_sel:WORD_1 src1_sel:WORD_1
	v_sub_u16_sdwa v193, v193, v194 dst_sel:BYTE_1 dst_unused:UNUSED_PAD src0_sel:DWORD src1_sel:BYTE_3
	v_bitop3_b16 v196, v196, v199, s9 bitop3:0xec
	v_bitop3_b16 v120, v120, v193, s9 bitop3:0xec
	v_lshlrev_b32_e32 v120, 16, v120
	v_or_b32_sdwa v193, v196, v120 dst_sel:DWORD dst_unused:UNUSED_PAD src0_sel:WORD_0 src1_sel:DWORD
	v_ashrrev_i32_e32 v120, s21, v195
	v_ashrrev_i32_e32 v195, s19, v197
	v_lshlrev_b32_e32 v195, 2, v195
	v_bfe_u32 v194, v120, 24, 2
	v_and_b32_e32 v120, 0x3030303, v120
	v_and_b32_e32 v195, 0x4040404, v195
	v_sub_u16_e32 v196, v120, v195
	v_sub_u16_sdwa v197, v120, v195 dst_sel:BYTE_1 dst_unused:UNUSED_PAD src0_sel:BYTE_1 src1_sel:BYTE_1
	v_sub_u16_sdwa v120, v120, v195 dst_sel:DWORD dst_unused:UNUSED_PAD src0_sel:WORD_1 src1_sel:WORD_1
	v_sub_u16_sdwa v194, v194, v195 dst_sel:BYTE_1 dst_unused:UNUSED_PAD src0_sel:DWORD src1_sel:BYTE_3
	v_bitop3_b16 v196, v196, v197, s9 bitop3:0xec
	v_bitop3_b16 v120, v120, v194, s9 bitop3:0xec
	v_lshlrev_b32_e32 v120, 16, v120
	v_or_b32_sdwa v194, v196, v120 dst_sel:DWORD dst_unused:UNUSED_PAD src0_sel:WORD_0 src1_sel:DWORD
	v_add_u32_e32 v120, 0x2118, v122
	ds_read2_b32 v[196:197], v120 offset1:1
	ds_read2_b32 v[198:199], v198 offset0:6 offset1:7
	v_dot4c_i32_i8_e32 v215, v189, v4
	v_dot4c_i32_i8_e32 v216, v193, v0
	;; [unrolled: 1-line block ×3, first 2 shown]
	s_waitcnt lgkmcnt(1)
	v_ashrrev_i32_e32 v120, s21, v196
	s_waitcnt lgkmcnt(0)
	v_ashrrev_i32_e32 v196, s19, v198
	v_lshlrev_b32_e32 v196, 2, v196
	v_bfe_u32 v195, v120, 24, 2
	v_and_b32_e32 v120, 0x3030303, v120
	v_and_b32_e32 v196, 0x4040404, v196
	v_sub_u16_e32 v198, v120, v196
	v_sub_u16_sdwa v200, v120, v196 dst_sel:BYTE_1 dst_unused:UNUSED_PAD src0_sel:BYTE_1 src1_sel:BYTE_1
	v_sub_u16_sdwa v120, v120, v196 dst_sel:DWORD dst_unused:UNUSED_PAD src0_sel:WORD_1 src1_sel:WORD_1
	v_sub_u16_sdwa v195, v195, v196 dst_sel:BYTE_1 dst_unused:UNUSED_PAD src0_sel:DWORD src1_sel:BYTE_3
	v_bitop3_b16 v198, v198, v200, s9 bitop3:0xec
	v_bitop3_b16 v120, v120, v195, s9 bitop3:0xec
	v_lshlrev_b32_e32 v120, 16, v120
	v_or_b32_sdwa v195, v198, v120 dst_sel:DWORD dst_unused:UNUSED_PAD src0_sel:WORD_0 src1_sel:DWORD
	v_ashrrev_i32_e32 v120, s21, v197
	v_ashrrev_i32_e32 v197, s19, v199
	v_lshlrev_b32_e32 v197, 2, v197
	v_bfe_u32 v196, v120, 24, 2
	v_and_b32_e32 v120, 0x3030303, v120
	v_and_b32_e32 v197, 0x4040404, v197
	v_sub_u16_e32 v198, v120, v197
	v_sub_u16_sdwa v199, v120, v197 dst_sel:BYTE_1 dst_unused:UNUSED_PAD src0_sel:BYTE_1 src1_sel:BYTE_1
	v_sub_u16_sdwa v120, v120, v197 dst_sel:DWORD dst_unused:UNUSED_PAD src0_sel:WORD_1 src1_sel:WORD_1
	v_sub_u16_sdwa v196, v196, v197 dst_sel:BYTE_1 dst_unused:UNUSED_PAD src0_sel:DWORD src1_sel:BYTE_3
	v_bitop3_b16 v198, v198, v199, s9 bitop3:0xec
	v_bitop3_b16 v120, v120, v196, s9 bitop3:0xec
	v_lshlrev_b32_e32 v120, 16, v120
	v_add_u32_e32 v197, 0x3180, v122
	v_or_b32_sdwa v196, v198, v120 dst_sel:DWORD dst_unused:UNUSED_PAD src0_sel:WORD_0 src1_sel:DWORD
	ds_read2_b32 v[198:199], v197 offset1:1
	ds_read2_b32 v[200:201], v204 offset1:1
	v_add3_u32 v120, s24, v171, v136
	ds_read_b32 v120, v120
	v_dot4c_i32_i8_e32 v207, v186, v1
	s_waitcnt lgkmcnt(2)
	v_ashrrev_i32_e32 v197, s21, v198
	s_waitcnt lgkmcnt(1)
	v_ashrrev_i32_e32 v200, s19, v200
	v_lshlrev_b32_e32 v200, 2, v200
	v_bfe_u32 v198, v197, 24, 2
	v_and_b32_e32 v197, 0x3030303, v197
	v_and_b32_e32 v200, 0x4040404, v200
	v_sub_u16_e32 v202, v197, v200
	v_sub_u16_sdwa v203, v197, v200 dst_sel:BYTE_1 dst_unused:UNUSED_PAD src0_sel:BYTE_1 src1_sel:BYTE_1
	v_sub_u16_sdwa v197, v197, v200 dst_sel:DWORD dst_unused:UNUSED_PAD src0_sel:WORD_1 src1_sel:WORD_1
	v_sub_u16_sdwa v198, v198, v200 dst_sel:BYTE_1 dst_unused:UNUSED_PAD src0_sel:DWORD src1_sel:BYTE_3
	v_ashrrev_i32_e32 v200, s19, v201
	v_bitop3_b16 v197, v197, v198, s9 bitop3:0xec
	v_ashrrev_i32_e32 v198, s21, v199
	v_lshlrev_b32_e32 v200, 2, v200
	v_bitop3_b16 v202, v202, v203, s9 bitop3:0xec
	v_lshlrev_b32_e32 v197, 16, v197
	v_bfe_u32 v199, v198, 24, 2
	v_and_b32_e32 v198, 0x3030303, v198
	v_and_b32_e32 v200, 0x4040404, v200
	v_or_b32_sdwa v197, v202, v197 dst_sel:DWORD dst_unused:UNUSED_PAD src0_sel:WORD_0 src1_sel:DWORD
	v_sub_u16_e32 v201, v198, v200
	v_sub_u16_sdwa v202, v198, v200 dst_sel:BYTE_1 dst_unused:UNUSED_PAD src0_sel:BYTE_1 src1_sel:BYTE_1
	v_sub_u16_sdwa v198, v198, v200 dst_sel:DWORD dst_unused:UNUSED_PAD src0_sel:WORD_1 src1_sel:WORD_1
	v_sub_u16_sdwa v199, v199, v200 dst_sel:BYTE_1 dst_unused:UNUSED_PAD src0_sel:DWORD src1_sel:BYTE_3
	v_bitop3_b16 v201, v201, v202, s9 bitop3:0xec
	v_bitop3_b16 v198, v198, v199, s9 bitop3:0xec
	v_lshlrev_b32_e32 v198, 16, v198
	v_add_u32_e32 v199, 0x3188, v122
	v_or_b32_sdwa v198, v201, v198 dst_sel:DWORD dst_unused:UNUSED_PAD src0_sel:WORD_0 src1_sel:DWORD
	ds_read2_b32 v[200:201], v199 offset1:1
	ds_read2_b32 v[202:203], v204 offset0:2 offset1:3
	v_dot4c_i32_i8_e32 v222, v197, v4
	v_dot4c_i32_i8_e32 v209, v178, v5
	;; [unrolled: 1-line block ×3, first 2 shown]
	s_waitcnt lgkmcnt(1)
	v_ashrrev_i32_e32 v199, s21, v200
	s_waitcnt lgkmcnt(0)
	v_ashrrev_i32_e32 v202, s19, v202
	v_lshlrev_b32_e32 v202, 2, v202
	v_bfe_u32 v200, v199, 24, 2
	v_and_b32_e32 v199, 0x3030303, v199
	v_and_b32_e32 v202, 0x4040404, v202
	v_sub_u16_e32 v210, v199, v202
	v_sub_u16_sdwa v211, v199, v202 dst_sel:BYTE_1 dst_unused:UNUSED_PAD src0_sel:BYTE_1 src1_sel:BYTE_1
	v_sub_u16_sdwa v199, v199, v202 dst_sel:DWORD dst_unused:UNUSED_PAD src0_sel:WORD_1 src1_sel:WORD_1
	v_sub_u16_sdwa v200, v200, v202 dst_sel:BYTE_1 dst_unused:UNUSED_PAD src0_sel:DWORD src1_sel:BYTE_3
	v_ashrrev_i32_e32 v202, s19, v203
	v_bitop3_b16 v199, v199, v200, s9 bitop3:0xec
	v_ashrrev_i32_e32 v200, s21, v201
	v_lshlrev_b32_e32 v202, 2, v202
	v_bitop3_b16 v210, v210, v211, s9 bitop3:0xec
	v_lshlrev_b32_e32 v199, 16, v199
	v_bfe_u32 v201, v200, 24, 2
	v_and_b32_e32 v200, 0x3030303, v200
	v_and_b32_e32 v202, 0x4040404, v202
	v_or_b32_sdwa v199, v210, v199 dst_sel:DWORD dst_unused:UNUSED_PAD src0_sel:WORD_0 src1_sel:DWORD
	v_sub_u16_e32 v203, v200, v202
	v_sub_u16_sdwa v210, v200, v202 dst_sel:BYTE_1 dst_unused:UNUSED_PAD src0_sel:BYTE_1 src1_sel:BYTE_1
	v_sub_u16_sdwa v200, v200, v202 dst_sel:DWORD dst_unused:UNUSED_PAD src0_sel:WORD_1 src1_sel:WORD_1
	v_sub_u16_sdwa v201, v201, v202 dst_sel:BYTE_1 dst_unused:UNUSED_PAD src0_sel:DWORD src1_sel:BYTE_3
	v_bitop3_b16 v203, v203, v210, s9 bitop3:0xec
	v_bitop3_b16 v200, v200, v201, s9 bitop3:0xec
	v_lshlrev_b32_e32 v200, 16, v200
	v_add_u32_e32 v201, 0x3190, v122
	v_or_b32_sdwa v200, v203, v200 dst_sel:DWORD dst_unused:UNUSED_PAD src0_sel:WORD_0 src1_sel:DWORD
	ds_read2_b32 v[202:203], v201 offset1:1
	ds_read2_b32 v[210:211], v204 offset0:4 offset1:5
	v_add_u32_e32 v122, 0x3198, v122
	v_ashrrev_i32_e32 v204, s19, v218
	v_lshlrev_b32_e32 v204, 2, v204
	s_waitcnt lgkmcnt(1)
	v_ashrrev_i32_e32 v201, s21, v202
	s_waitcnt lgkmcnt(0)
	v_ashrrev_i32_e32 v210, s19, v210
	v_lshlrev_b32_e32 v210, 2, v210
	v_bfe_u32 v202, v201, 24, 2
	v_and_b32_e32 v201, 0x3030303, v201
	v_and_b32_e32 v210, 0x4040404, v210
	v_sub_u16_e32 v212, v201, v210
	v_sub_u16_sdwa v217, v201, v210 dst_sel:BYTE_1 dst_unused:UNUSED_PAD src0_sel:BYTE_1 src1_sel:BYTE_1
	v_sub_u16_sdwa v201, v201, v210 dst_sel:DWORD dst_unused:UNUSED_PAD src0_sel:WORD_1 src1_sel:WORD_1
	v_sub_u16_sdwa v202, v202, v210 dst_sel:BYTE_1 dst_unused:UNUSED_PAD src0_sel:DWORD src1_sel:BYTE_3
	v_ashrrev_i32_e32 v210, s19, v211
	v_bitop3_b16 v201, v201, v202, s9 bitop3:0xec
	v_ashrrev_i32_e32 v202, s21, v203
	v_lshlrev_b32_e32 v210, 2, v210
	v_bitop3_b16 v212, v212, v217, s9 bitop3:0xec
	v_lshlrev_b32_e32 v201, 16, v201
	v_bfe_u32 v203, v202, 24, 2
	v_and_b32_e32 v202, 0x3030303, v202
	v_and_b32_e32 v210, 0x4040404, v210
	v_or_b32_sdwa v201, v212, v201 dst_sel:DWORD dst_unused:UNUSED_PAD src0_sel:WORD_0 src1_sel:DWORD
	v_sub_u16_e32 v211, v202, v210
	v_sub_u16_sdwa v212, v202, v210 dst_sel:BYTE_1 dst_unused:UNUSED_PAD src0_sel:BYTE_1 src1_sel:BYTE_1
	v_sub_u16_sdwa v202, v202, v210 dst_sel:DWORD dst_unused:UNUSED_PAD src0_sel:WORD_1 src1_sel:WORD_1
	v_sub_u16_sdwa v203, v203, v210 dst_sel:BYTE_1 dst_unused:UNUSED_PAD src0_sel:DWORD src1_sel:BYTE_3
	v_bitop3_b16 v211, v211, v212, s9 bitop3:0xec
	v_bitop3_b16 v202, v202, v203, s9 bitop3:0xec
	v_lshlrev_b32_e32 v202, 16, v202
	v_or_b32_sdwa v202, v211, v202 dst_sel:DWORD dst_unused:UNUSED_PAD src0_sel:WORD_0 src1_sel:DWORD
	ds_read2_b32 v[210:211], v122 offset1:1
	v_and_b32_e32 v204, 0x4040404, v204
	v_dot4c_i32_i8_e32 v223, v201, v0
	v_dot4c_i32_i8_e32 v215, v190, v5
	;; [unrolled: 1-line block ×3, first 2 shown]
	s_waitcnt lgkmcnt(0)
	v_ashrrev_i32_e32 v122, s21, v210
	v_bfe_u32 v203, v122, 24, 2
	v_and_b32_e32 v122, 0x3030303, v122
	v_sub_u16_e32 v210, v122, v204
	v_sub_u16_sdwa v212, v122, v204 dst_sel:BYTE_1 dst_unused:UNUSED_PAD src0_sel:BYTE_1 src1_sel:BYTE_1
	v_sub_u16_sdwa v122, v122, v204 dst_sel:DWORD dst_unused:UNUSED_PAD src0_sel:WORD_1 src1_sel:WORD_1
	v_sub_u16_sdwa v203, v203, v204 dst_sel:BYTE_1 dst_unused:UNUSED_PAD src0_sel:DWORD src1_sel:BYTE_3
	v_bitop3_b16 v210, v210, v212, s9 bitop3:0xec
	v_bitop3_b16 v122, v122, v203, s9 bitop3:0xec
	v_lshlrev_b32_e32 v122, 16, v122
	v_or_b32_sdwa v203, v210, v122 dst_sel:DWORD dst_unused:UNUSED_PAD src0_sel:WORD_0 src1_sel:DWORD
	v_ashrrev_i32_e32 v210, s19, v219
	v_ashrrev_i32_e32 v122, s21, v211
	v_lshlrev_b32_e32 v210, 2, v210
	v_bfe_u32 v204, v122, 24, 2
	v_and_b32_e32 v122, 0x3030303, v122
	v_and_b32_e32 v210, 0x4040404, v210
	v_sub_u16_e32 v211, v122, v210
	v_sub_u16_sdwa v212, v122, v210 dst_sel:BYTE_1 dst_unused:UNUSED_PAD src0_sel:BYTE_1 src1_sel:BYTE_1
	v_sub_u16_sdwa v122, v122, v210 dst_sel:DWORD dst_unused:UNUSED_PAD src0_sel:WORD_1 src1_sel:WORD_1
	v_sub_u16_sdwa v204, v204, v210 dst_sel:BYTE_1 dst_unused:UNUSED_PAD src0_sel:DWORD src1_sel:BYTE_3
	v_bitop3_b16 v211, v211, v212, s9 bitop3:0xec
	v_bitop3_b16 v122, v122, v204, s9 bitop3:0xec
	v_lshlrev_b32_e32 v122, 16, v122
	v_dot4c_i32_i8_e32 v222, v198, v5
	v_dot4c_i32_i8_e32 v223, v202, v1
	;; [unrolled: 1-line block ×8, first 2 shown]
	v_or_b32_sdwa v204, v211, v122 dst_sel:DWORD dst_unused:UNUSED_PAD src0_sel:WORD_0 src1_sel:DWORD
	v_add3_u32 v122, s24, v173, v140
	v_dot4c_i32_i8_e32 v222, v199, v6
	v_dot4c_i32_i8_e32 v223, v203, v2
	v_add_u32_e32 v205, s22, v117
	v_dot4c_i32_i8_e32 v206, v129, v7
	v_dot4c_i32_i8_e32 v207, v188, v3
	;; [unrolled: 1-line block ×6, first 2 shown]
	ds_read_b32 v122, v122
	v_dot4c_i32_i8_e32 v222, v200, v7
	v_dot4c_i32_i8_e32 v223, v204, v3
	ds_read_b128 v[0:3], v175 offset:1024
	ds_read_b128 v[4:7], v175 offset:1040
	ds_read_u16 v205, v205 offset:33522
	v_mov_b32_e32 v210, 0
	v_mov_b32_e32 v219, 0
	s_waitcnt lgkmcnt(2)
	v_dot4c_i32_i8_e32 v210, v126, v0
	v_dot4c_i32_i8_e32 v210, v127, v1
	s_waitcnt lgkmcnt(1)
	v_dot4c_i32_i8_e32 v219, v185, v4
	v_dot4c_i32_i8_e32 v210, v128, v2
	;; [unrolled: 1-line block ×3, first 2 shown]
	s_waitcnt lgkmcnt(0)
	v_lshrrev_b16_e32 v211, 8, v205
	v_dot4c_i32_i8_e32 v210, v129, v3
	v_dot4c_i32_i8_e32 v219, v187, v6
	v_bfe_i32 v211, v211, 0, 8
	v_bfe_i32 v212, v205, 0, 8
	v_dot4c_i32_i8_e32 v219, v188, v7
	v_mul_lo_u32 v210, v210, v212
	v_mul_lo_u32 v218, v207, v211
	v_add_u32_e32 v208, s22, v119
	v_add_u32_e32 v214, s22, v121
	v_add_u32_e32 v217, s22, v123
	v_mad_u64_u32 v[206:207], s[22:23], v206, v212, v[218:219]
	v_mad_u64_u32 v[218:219], s[22:23], v219, v211, v[210:211]
	v_cvt_f32_i32_e32 v207, v218
	v_cvt_f32_i32_e32 v206, v206
	v_pk_mul_f32 v[220:221], v[116:117], v[124:125] op_sel_hi:[0,1]
	v_mov_b32_e32 v205, 0
	v_dot4c_i32_i8_e32 v205, v177, v0
	v_pk_fma_f32 v[48:49], v[220:221], v[206:207], v[48:49]
	ds_read_u16 v206, v208 offset:34546
	v_mov_b32_e32 v207, 0
	v_dot4c_i32_i8_e32 v205, v178, v1
	v_dot4c_i32_i8_e32 v207, v181, v4
	v_dot4c_i32_i8_e32 v205, v179, v2
	v_dot4c_i32_i8_e32 v207, v182, v5
	s_waitcnt lgkmcnt(0)
	v_lshrrev_b16_e32 v208, 8, v206
	v_dot4c_i32_i8_e32 v205, v180, v3
	v_dot4c_i32_i8_e32 v207, v183, v6
	v_bfe_i32 v208, v208, 0, 8
	v_bfe_i32 v210, v206, 0, 8
	v_dot4c_i32_i8_e32 v207, v184, v7
	v_mul_lo_u32 v206, v205, v210
	v_mul_lo_u32 v218, v213, v208
	v_mad_u64_u32 v[218:219], s[22:23], v209, v210, v[218:219]
	v_mad_u64_u32 v[206:207], s[22:23], v207, v208, v[206:207]
	v_cvt_f32_i32_e32 v207, v206
	v_cvt_f32_i32_e32 v206, v218
	v_pk_mul_f32 v[220:221], v[118:119], v[124:125] op_sel_hi:[0,1]
	v_mov_b32_e32 v205, 0
	v_dot4c_i32_i8_e32 v205, v189, v0
	v_pk_fma_f32 v[104:105], v[220:221], v[206:207], v[104:105]
	ds_read_u16 v206, v214 offset:35570
	v_mov_b32_e32 v213, 0
	v_dot4c_i32_i8_e32 v205, v190, v1
	v_dot4c_i32_i8_e32 v213, v193, v4
	;; [unrolled: 1-line block ×6, first 2 shown]
	s_waitcnt lgkmcnt(0)
	v_lshrrev_b16_e32 v207, 8, v206
	v_bfe_i32 v209, v206, 0, 8
	v_dot4c_i32_i8_e32 v213, v196, v7
	v_bfe_i32 v207, v207, 0, 8
	v_mul_lo_u32 v206, v205, v209
	v_mul_lo_u32 v214, v216, v207
	v_mad_u64_u32 v[218:219], s[22:23], v213, v207, v[206:207]
	v_mov_b32_e32 v213, 0
	v_dot4c_i32_i8_e32 v213, v197, v0
	ds_read_u16 v0, v217 offset:36594
	v_dot4c_i32_i8_e32 v213, v198, v1
	v_mov_b32_e32 v1, 0
	v_dot4c_i32_i8_e32 v1, v201, v4
	v_dot4c_i32_i8_e32 v213, v199, v2
	v_dot4c_i32_i8_e32 v1, v202, v5
	s_waitcnt lgkmcnt(0)
	v_lshrrev_b16_e32 v2, 8, v0
	v_dot4c_i32_i8_e32 v213, v200, v3
	v_dot4c_i32_i8_e32 v1, v203, v6
	v_bfe_i32 v205, v2, 0, 8
	v_bfe_i32 v206, v0, 0, 8
	v_dot4c_i32_i8_e32 v1, v204, v7
	v_mul_lo_u32 v0, v213, v206
	v_mul_lo_u32 v2, v223, v205
                                        ; kill: def $vgpr3 killed $sgpr0 killed $exec
	v_mad_u64_u32 v[214:215], s[22:23], v215, v209, v[214:215]
	v_mad_u64_u32 v[2:3], s[22:23], v222, v206, v[2:3]
	;; [unrolled: 1-line block ×3, first 2 shown]
	v_cvt_f32_i32_e32 v1, v0
	v_cvt_f32_i32_e32 v0, v2
	v_pk_mul_f32 v[4:5], v[122:123], v[124:125] op_sel_hi:[0,1]
	v_pk_mul_f32 v[220:221], v[120:121], v[124:125] op_sel_hi:[0,1]
	v_cvt_f32_i32_e32 v215, v218
	v_cvt_f32_i32_e32 v214, v214
	v_pk_fma_f32 v[114:115], v[4:5], v[0:1], v[114:115]
	ds_read2_b32 v[124:125], v176 offset0:64 offset1:96
	ds_read_b128 v[0:3], v175 offset:2048
	ds_read_b128 v[4:7], v175 offset:2064
	v_mov_b32_e32 v213, 0
	v_pk_fma_f32 v[110:111], v[220:221], v[214:215], v[110:111]
	v_mov_b32_e32 v215, 0
	v_mov_b32_e32 v220, 0
	;; [unrolled: 1-line block ×7, first 2 shown]
	s_waitcnt lgkmcnt(1)
	v_dot4c_i32_i8_e32 v213, v126, v0
	s_waitcnt lgkmcnt(0)
	v_dot4c_i32_i8_e32 v215, v185, v4
	v_dot4c_i32_i8_e32 v220, v177, v0
	;; [unrolled: 1-line block ×31, first 2 shown]
	ds_read_b128 v[0:3], v175 offset:3072
	ds_read_b128 v[4:7], v175 offset:3088
	v_mov_b32_e32 v214, 0
	v_mov_b32_e32 v218, 0
	v_mul_lo_u32 v216, v215, v211
	s_waitcnt lgkmcnt(1)
	v_dot4c_i32_i8_e32 v214, v126, v0
	v_dot4c_i32_i8_e32 v214, v127, v1
	s_waitcnt lgkmcnt(0)
	v_dot4c_i32_i8_e32 v218, v185, v4
	v_dot4c_i32_i8_e32 v214, v128, v2
	;; [unrolled: 1-line block ×6, first 2 shown]
                                        ; kill: def $vgpr215 killed $sgpr0 killed $exec
	v_mad_u64_u32 v[216:217], s[22:23], v213, v212, v[216:217]
	v_mul_lo_u32 v214, v214, v212
	s_nop 0
	v_mad_u64_u32 v[214:215], s[22:23], v218, v211, v[214:215]
	v_cvt_f32_i32_e32 v215, v214
	v_cvt_f32_i32_e32 v214, v216
	v_pk_mul_f32 v[218:219], v[116:117], v[124:125] op_sel_hi:[0,1]
	v_mov_b32_e32 v213, 0
	v_dot4c_i32_i8_e32 v213, v177, v0
	v_pk_fma_f32 v[86:87], v[218:219], v[214:215], v[86:87]
	v_mov_b32_e32 v215, 0
	v_dot4c_i32_i8_e32 v213, v178, v1
	v_dot4c_i32_i8_e32 v215, v181, v4
	;; [unrolled: 1-line block ×7, first 2 shown]
	v_mul_lo_u32 v216, v221, v208
	v_mul_lo_u32 v214, v213, v210
	v_mad_u64_u32 v[216:217], s[22:23], v220, v210, v[216:217]
	v_mad_u64_u32 v[214:215], s[22:23], v215, v208, v[214:215]
	v_mov_b32_e32 v213, 0
	v_cvt_f32_i32_e32 v215, v214
	v_cvt_f32_i32_e32 v214, v216
	v_dot4c_i32_i8_e32 v213, v189, v0
	v_dot4c_i32_i8_e32 v213, v190, v1
	;; [unrolled: 1-line block ×3, first 2 shown]
	v_pk_mul_f32 v[218:219], v[118:119], v[124:125] op_sel_hi:[0,1]
	v_dot4c_i32_i8_e32 v213, v192, v3
	v_pk_fma_f32 v[98:99], v[218:219], v[214:215], v[98:99]
	v_mov_b32_e32 v215, 0
	v_dot4c_i32_i8_e32 v215, v193, v4
	v_mul_lo_u32 v214, v213, v209
	v_mov_b32_e32 v213, 0
	v_dot4c_i32_i8_e32 v213, v197, v0
	v_dot4c_i32_i8_e32 v213, v198, v1
	v_mov_b32_e32 v1, 0
	v_dot4c_i32_i8_e32 v1, v201, v4
	v_dot4c_i32_i8_e32 v213, v199, v2
	;; [unrolled: 1-line block ×6, first 2 shown]
	v_mul_lo_u32 v2, v225, v205
	v_mul_lo_u32 v0, v213, v206
                                        ; kill: def $vgpr3 killed $sgpr0 killed $exec
	v_dot4c_i32_i8_e32 v215, v194, v5
	v_mad_u64_u32 v[2:3], s[22:23], v224, v206, v[2:3]
	v_mad_u64_u32 v[0:1], s[22:23], v1, v205, v[0:1]
	v_cvt_f32_i32_e32 v1, v0
	v_cvt_f32_i32_e32 v0, v2
	v_dot4c_i32_i8_e32 v215, v195, v6
	v_dot4c_i32_i8_e32 v215, v196, v7
	v_mul_lo_u32 v216, v223, v207
	v_mad_u64_u32 v[216:217], s[22:23], v222, v209, v[216:217]
	s_nop 0
	v_mad_u64_u32 v[214:215], s[22:23], v215, v207, v[214:215]
	v_pk_mul_f32 v[4:5], v[122:123], v[124:125] op_sel_hi:[0,1]
	v_pk_mul_f32 v[218:219], v[120:121], v[124:125] op_sel_hi:[0,1]
	v_cvt_f32_i32_e32 v215, v214
	v_cvt_f32_i32_e32 v214, v216
	v_pk_fma_f32 v[112:113], v[4:5], v[0:1], v[112:113]
	ds_read2_b32 v[124:125], v176 offset0:128 offset1:160
	ds_read_b128 v[0:3], v175 offset:4096
	ds_read_b128 v[4:7], v175 offset:4112
	v_mov_b32_e32 v213, 0
	v_pk_fma_f32 v[106:107], v[218:219], v[214:215], v[106:107]
	v_mov_b32_e32 v215, 0
	v_mov_b32_e32 v220, 0
	;; [unrolled: 1-line block ×7, first 2 shown]
	s_waitcnt lgkmcnt(1)
	v_dot4c_i32_i8_e32 v213, v126, v0
	s_waitcnt lgkmcnt(0)
	v_dot4c_i32_i8_e32 v215, v185, v4
	v_dot4c_i32_i8_e32 v220, v177, v0
	;; [unrolled: 1-line block ×31, first 2 shown]
	ds_read_b128 v[0:3], v175 offset:5120
	ds_read_b128 v[4:7], v175 offset:5136
	v_mov_b32_e32 v214, 0
	v_mov_b32_e32 v218, 0
	v_mul_lo_u32 v216, v215, v211
	s_waitcnt lgkmcnt(1)
	v_dot4c_i32_i8_e32 v214, v126, v0
	v_dot4c_i32_i8_e32 v214, v127, v1
	s_waitcnt lgkmcnt(0)
	v_dot4c_i32_i8_e32 v218, v185, v4
	v_dot4c_i32_i8_e32 v214, v128, v2
	;; [unrolled: 1-line block ×6, first 2 shown]
                                        ; kill: def $vgpr215 killed $sgpr0 killed $exec
	v_mad_u64_u32 v[216:217], s[22:23], v213, v212, v[216:217]
	v_mul_lo_u32 v214, v214, v212
	s_nop 0
	v_mad_u64_u32 v[214:215], s[22:23], v218, v211, v[214:215]
	v_cvt_f32_i32_e32 v215, v214
	v_cvt_f32_i32_e32 v214, v216
	v_pk_mul_f32 v[218:219], v[116:117], v[124:125] op_sel_hi:[0,1]
	v_mov_b32_e32 v213, 0
	v_dot4c_i32_i8_e32 v213, v177, v0
	v_pk_fma_f32 v[78:79], v[218:219], v[214:215], v[78:79]
	v_mov_b32_e32 v215, 0
	v_dot4c_i32_i8_e32 v213, v178, v1
	v_dot4c_i32_i8_e32 v215, v181, v4
	;; [unrolled: 1-line block ×7, first 2 shown]
	v_mul_lo_u32 v216, v221, v208
	v_mul_lo_u32 v214, v213, v210
	v_mad_u64_u32 v[216:217], s[22:23], v220, v210, v[216:217]
	v_mad_u64_u32 v[214:215], s[22:23], v215, v208, v[214:215]
	v_mov_b32_e32 v213, 0
	v_cvt_f32_i32_e32 v215, v214
	v_cvt_f32_i32_e32 v214, v216
	v_dot4c_i32_i8_e32 v213, v189, v0
	v_dot4c_i32_i8_e32 v213, v190, v1
	;; [unrolled: 1-line block ×3, first 2 shown]
	v_pk_mul_f32 v[218:219], v[118:119], v[124:125] op_sel_hi:[0,1]
	v_dot4c_i32_i8_e32 v213, v192, v3
	v_pk_fma_f32 v[88:89], v[218:219], v[214:215], v[88:89]
	v_mov_b32_e32 v215, 0
	v_dot4c_i32_i8_e32 v215, v193, v4
	v_mul_lo_u32 v214, v213, v209
	v_mov_b32_e32 v213, 0
	v_dot4c_i32_i8_e32 v213, v197, v0
	v_dot4c_i32_i8_e32 v213, v198, v1
	v_mov_b32_e32 v1, 0
	v_dot4c_i32_i8_e32 v1, v201, v4
	v_dot4c_i32_i8_e32 v213, v199, v2
	;; [unrolled: 1-line block ×6, first 2 shown]
	v_mul_lo_u32 v2, v225, v205
	v_mul_lo_u32 v0, v213, v206
                                        ; kill: def $vgpr3 killed $sgpr0 killed $exec
	v_dot4c_i32_i8_e32 v215, v194, v5
	v_mad_u64_u32 v[2:3], s[22:23], v224, v206, v[2:3]
	v_mad_u64_u32 v[0:1], s[22:23], v1, v205, v[0:1]
	v_cvt_f32_i32_e32 v1, v0
	v_cvt_f32_i32_e32 v0, v2
	v_dot4c_i32_i8_e32 v215, v195, v6
	v_dot4c_i32_i8_e32 v215, v196, v7
	v_mul_lo_u32 v216, v223, v207
	v_mad_u64_u32 v[216:217], s[22:23], v222, v209, v[216:217]
	s_nop 0
	v_mad_u64_u32 v[214:215], s[22:23], v215, v207, v[214:215]
	v_pk_mul_f32 v[4:5], v[122:123], v[124:125] op_sel_hi:[0,1]
	v_pk_mul_f32 v[218:219], v[120:121], v[124:125] op_sel_hi:[0,1]
	v_cvt_f32_i32_e32 v215, v214
	v_cvt_f32_i32_e32 v214, v216
	v_pk_fma_f32 v[108:109], v[4:5], v[0:1], v[108:109]
	ds_read2_b32 v[124:125], v176 offset0:192 offset1:224
	ds_read_b128 v[0:3], v175 offset:6144
	ds_read_b128 v[4:7], v175 offset:6160
	v_mov_b32_e32 v220, 0
	v_pk_fma_f32 v[100:101], v[218:219], v[214:215], v[100:101]
	v_mov_b32_e32 v219, 0
	v_mov_b32_e32 v217, 0
	;; [unrolled: 1-line block ×7, first 2 shown]
	s_waitcnt lgkmcnt(1)
	v_dot4c_i32_i8_e32 v219, v126, v0
	s_waitcnt lgkmcnt(0)
	v_dot4c_i32_i8_e32 v220, v185, v4
	v_dot4c_i32_i8_e32 v217, v177, v0
	v_dot4c_i32_i8_e32 v218, v181, v4
	v_dot4c_i32_i8_e32 v215, v189, v0
	v_dot4c_i32_i8_e32 v216, v193, v4
	v_dot4c_i32_i8_e32 v213, v197, v0
	v_dot4c_i32_i8_e32 v214, v201, v4
	v_dot4c_i32_i8_e32 v219, v127, v1
	v_dot4c_i32_i8_e32 v220, v186, v5
	v_dot4c_i32_i8_e32 v217, v178, v1
	v_dot4c_i32_i8_e32 v218, v182, v5
	v_dot4c_i32_i8_e32 v215, v190, v1
	v_dot4c_i32_i8_e32 v216, v194, v5
	v_dot4c_i32_i8_e32 v213, v198, v1
	v_dot4c_i32_i8_e32 v214, v202, v5
	v_dot4c_i32_i8_e32 v219, v128, v2
	v_dot4c_i32_i8_e32 v220, v187, v6
	v_dot4c_i32_i8_e32 v217, v179, v2
	v_dot4c_i32_i8_e32 v218, v183, v6
	v_dot4c_i32_i8_e32 v215, v191, v2
	v_dot4c_i32_i8_e32 v216, v195, v6
	v_dot4c_i32_i8_e32 v213, v199, v2
	v_dot4c_i32_i8_e32 v214, v203, v6
	v_dot4c_i32_i8_e32 v219, v129, v3
	v_dot4c_i32_i8_e32 v220, v188, v7
	v_dot4c_i32_i8_e32 v217, v180, v3
	v_dot4c_i32_i8_e32 v218, v184, v7
	v_dot4c_i32_i8_e32 v215, v192, v3
	v_dot4c_i32_i8_e32 v216, v196, v7
	v_dot4c_i32_i8_e32 v213, v200, v3
	v_dot4c_i32_i8_e32 v214, v204, v7
	ds_read_b128 v[4:7], v175 offset:7168
	ds_read_b128 v[0:3], v175 offset:7184
	v_mov_b32_e32 v221, 0
	s_add_i32 s18, s18, 2
	s_add_i32 s19, s19, 1
	s_waitcnt lgkmcnt(1)
	v_dot4c_i32_i8_e32 v221, v126, v4
	v_dot4c_i32_i8_e32 v221, v127, v5
	;; [unrolled: 1-line block ×4, first 2 shown]
	v_mov_b32_e32 v129, 0
	s_waitcnt lgkmcnt(0)
	v_dot4c_i32_i8_e32 v129, v185, v0
	v_dot4c_i32_i8_e32 v129, v186, v1
	;; [unrolled: 1-line block ×4, first 2 shown]
	v_mul_lo_u32 v128, v221, v212
	v_mul_lo_u32 v126, v220, v211
                                        ; kill: def $vgpr127 killed $sgpr0 killed $exec
	v_pk_mul_f32 v[186:187], v[116:117], v[124:125] op_sel_hi:[0,1]
	v_mad_u64_u32 v[126:127], s[22:23], v219, v212, v[126:127]
	v_mad_u64_u32 v[128:129], s[22:23], v129, v211, v[128:129]
	v_mov_b32_e32 v116, 0
	v_cvt_f32_i32_e32 v127, v128
	v_cvt_f32_i32_e32 v126, v126
	v_dot4c_i32_i8_e32 v116, v177, v4
	v_mov_b32_e32 v128, 0
	v_dot4c_i32_i8_e32 v116, v178, v5
	v_dot4c_i32_i8_e32 v128, v181, v0
	;; [unrolled: 1-line block ×6, first 2 shown]
	v_pk_fma_f32 v[70:71], v[186:187], v[126:127], v[70:71]
	v_dot4c_i32_i8_e32 v128, v184, v3
	v_mul_lo_u32 v116, v116, v210
	v_mul_lo_u32 v126, v218, v208
                                        ; kill: def $vgpr127 killed $sgpr0 killed $exec
	v_pk_mul_f32 v[178:179], v[118:119], v[124:125] op_sel_hi:[0,1]
	v_mad_u64_u32 v[126:127], s[22:23], v217, v210, v[126:127]
	v_mad_u64_u32 v[128:129], s[22:23], v128, v208, v[116:117]
	v_mov_b32_e32 v116, 0
	v_cvt_f32_i32_e32 v127, v128
	v_dot4c_i32_i8_e32 v116, v189, v4
	v_mov_b32_e32 v128, 0
	v_dot4c_i32_i8_e32 v116, v190, v5
	v_dot4c_i32_i8_e32 v128, v193, v0
	;; [unrolled: 1-line block ×7, first 2 shown]
	v_cvt_f32_i32_e32 v126, v126
	v_mul_lo_u32 v116, v116, v209
	v_mul_lo_u32 v118, v216, v207
	v_mad_u64_u32 v[128:129], s[22:23], v128, v207, v[116:117]
	v_mov_b32_e32 v116, 0
	v_dot4c_i32_i8_e32 v116, v197, v4
	v_mov_b32_e32 v4, 0
	v_dot4c_i32_i8_e32 v116, v198, v5
	v_dot4c_i32_i8_e32 v4, v201, v0
	;; [unrolled: 1-line block ×7, first 2 shown]
	v_mul_lo_u32 v2, v214, v205
	v_mul_lo_u32 v0, v116, v206
                                        ; kill: def $vgpr1 killed $sgpr0 killed $exec
	v_pk_fma_f32 v[80:81], v[178:179], v[126:127], v[80:81]
	v_mad_u64_u32 v[126:127], s[22:23], v215, v209, v[118:119]
	v_mad_u64_u32 v[2:3], s[22:23], v213, v206, v[2:3]
	;; [unrolled: 1-line block ×3, first 2 shown]
	v_cvt_f32_i32_e32 v127, v128
	v_cvt_f32_i32_e32 v126, v126
	;; [unrolled: 1-line block ×4, first 2 shown]
	v_pk_mul_f32 v[178:179], v[120:121], v[124:125] op_sel_hi:[0,1]
	v_pk_mul_f32 v[4:5], v[122:123], v[124:125] op_sel_hi:[0,1]
	v_pk_fma_f32 v[90:91], v[178:179], v[126:127], v[90:91]
	v_pk_fma_f32 v[102:103], v[4:5], v[0:1], v[102:103]
	v_add_u32_e32 v176, 4, v176
	v_add_u32_e32 v175, 32, v175
	s_cmp_lt_u32 s20, 22
	s_mov_b32 s22, s20
	s_cbranch_scc1 .LBB149_12
; %bb.13:                               ;   in Loop: Header=BB149_6 Depth=1
	v_add_u32_e32 v116, s17, v143
	v_add_u32_e32 v118, v116, v77
	v_mad_i64_i32 v[124:125], s[18:19], v118, 36, v[46:47]
	v_add_u32_e32 v118, v116, v83
	v_add_u32_e32 v0, v116, v67
	v_add_u32_e32 v2, v116, v69
	v_add_u32_e32 v4, v116, v73
	v_add_u32_e32 v6, v116, v75
	v_mad_i64_i32 v[126:127], s[18:19], v118, 36, v[46:47]
	v_add_u32_e32 v118, v116, v85
	v_add_u32_e32 v116, v116, v93
	v_mad_i64_i32 v[176:177], s[18:19], v116, 36, v[46:47]
	v_add_u32_e32 v116, 12, v174
	v_mad_i64_i32 v[0:1], s[18:19], v0, 36, v[46:47]
	v_mad_i64_i32 v[2:3], s[18:19], v2, 36, v[46:47]
	;; [unrolled: 1-line block ×4, first 2 shown]
	v_mad_u64_u32 v[174:175], s[18:19], v116, 36, s[2:3]
	s_barrier
	v_mad_i64_i32 v[128:129], s[18:19], v118, 36, v[46:47]
	global_load_dword v116, v[174:175], off
	s_nop 0
	global_load_dword v0, v[0:1], off offset:4
	s_nop 0
	global_load_dword v1, v[2:3], off offset:4
	;; [unrolled: 2-line block ×3, first 2 shown]
	global_load_dword v3, v[6:7], off offset:4
	s_nop 0
	global_load_dword v4, v[124:125], off offset:4
	global_load_dword v5, v[126:127], off offset:4
	;; [unrolled: 1-line block ×4, first 2 shown]
	s_mov_b32 s17, 24
	s_mov_b32 s21, 22
	;; [unrolled: 1-line block ×3, first 2 shown]
	v_mov_b32_e32 v174, v154
	v_mov_b32_e32 v175, v152
	s_waitcnt vmcnt(8)
	v_cvt_f32_f16_e32 v116, v116
	s_waitcnt vmcnt(7)
	ds_write_b32 v157, v0
	s_waitcnt vmcnt(6)
	ds_write_b32 v158, v1
	;; [unrolled: 2-line block ×8, first 2 shown]
	ds_write_b32 v45, v116
	s_waitcnt lgkmcnt(0)
	s_barrier
.LBB149_14:                             ;   Parent Loop BB149_6 Depth=1
                                        ; =>  This Inner Loop Header: Depth=2
	s_add_i32 s19, s21, 2
	s_lshr_b32 s24, s19, 4
	s_and_b32 s22, s19, 0x3ffffff8
	v_lshl_add_u32 v122, s22, 2, v95
	s_lshl_b32 s22, s24, 5
	s_addk_i32 s22, 0x4200
	v_add3_u32 v120, s22, v165, v97
	ds_read2_b32 v[124:125], v175 offset1:32
	ds_read_b128 v[4:7], v174
	ds_read_b128 v[0:3], v174 offset:16
	ds_read2_b32 v[126:127], v122 offset1:1
	ds_read2_b32 v[128:129], v120 offset1:1
	s_sub_i32 s20, s21, 22
	s_and_b32 s23, s17, -16
	s_add_i32 s21, s21, s23
	s_waitcnt lgkmcnt(1)
	v_ashrrev_i32_e32 v116, s20, v126
	s_waitcnt lgkmcnt(0)
	v_ashrrev_i32_e32 v126, s18, v128
	v_lshlrev_b32_e32 v126, 2, v126
	v_bfe_u32 v118, v116, 24, 2
	v_and_b32_e32 v116, 0x3030303, v116
	v_and_b32_e32 v126, 0x4040404, v126
	v_sub_u16_e32 v128, v116, v126
	v_sub_u16_sdwa v176, v116, v126 dst_sel:BYTE_1 dst_unused:UNUSED_PAD src0_sel:BYTE_1 src1_sel:BYTE_1
	v_sub_u16_sdwa v116, v116, v126 dst_sel:DWORD dst_unused:UNUSED_PAD src0_sel:WORD_1 src1_sel:WORD_1
	v_sub_u16_sdwa v118, v118, v126 dst_sel:BYTE_1 dst_unused:UNUSED_PAD src0_sel:DWORD src1_sel:BYTE_3
	v_bitop3_b16 v128, v128, v176, s9 bitop3:0xec
	v_bitop3_b16 v116, v116, v118, s9 bitop3:0xec
	v_lshlrev_b32_e32 v116, 16, v116
	v_or_b32_sdwa v126, v128, v116 dst_sel:DWORD dst_unused:UNUSED_PAD src0_sel:WORD_0 src1_sel:DWORD
	v_ashrrev_i32_e32 v116, s20, v127
	v_ashrrev_i32_e32 v127, s18, v129
	v_lshlrev_b32_e32 v127, 2, v127
	v_bfe_u32 v118, v116, 24, 2
	v_and_b32_e32 v116, 0x3030303, v116
	v_and_b32_e32 v127, 0x4040404, v127
	v_sub_u16_e32 v128, v116, v127
	v_sub_u16_sdwa v129, v116, v127 dst_sel:BYTE_1 dst_unused:UNUSED_PAD src0_sel:BYTE_1 src1_sel:BYTE_1
	v_sub_u16_sdwa v116, v116, v127 dst_sel:DWORD dst_unused:UNUSED_PAD src0_sel:WORD_1 src1_sel:WORD_1
	v_sub_u16_sdwa v118, v118, v127 dst_sel:BYTE_1 dst_unused:UNUSED_PAD src0_sel:DWORD src1_sel:BYTE_3
	v_bitop3_b16 v128, v128, v129, s9 bitop3:0xec
	v_bitop3_b16 v116, v116, v118, s9 bitop3:0xec
	v_lshlrev_b32_e32 v116, 16, v116
	v_or_b32_sdwa v127, v128, v116 dst_sel:DWORD dst_unused:UNUSED_PAD src0_sel:WORD_0 src1_sel:DWORD
	ds_read2_b32 v[128:129], v122 offset0:2 offset1:3
	ds_read2_b32 v[176:177], v120 offset0:2 offset1:3
	s_lshl_b32 s23, s24, 2
	s_add_i32 s23, s23, 0x9380
	v_add3_u32 v188, s22, v168, v130
	s_waitcnt lgkmcnt(1)
	v_ashrrev_i32_e32 v116, s20, v128
	s_waitcnt lgkmcnt(0)
	v_ashrrev_i32_e32 v128, s18, v176
	v_lshlrev_b32_e32 v128, 2, v128
	v_bfe_u32 v118, v116, 24, 2
	v_and_b32_e32 v116, 0x3030303, v116
	v_and_b32_e32 v128, 0x4040404, v128
	v_sub_u16_e32 v176, v116, v128
	v_sub_u16_sdwa v178, v116, v128 dst_sel:BYTE_1 dst_unused:UNUSED_PAD src0_sel:BYTE_1 src1_sel:BYTE_1
	v_sub_u16_sdwa v116, v116, v128 dst_sel:DWORD dst_unused:UNUSED_PAD src0_sel:WORD_1 src1_sel:WORD_1
	v_sub_u16_sdwa v118, v118, v128 dst_sel:BYTE_1 dst_unused:UNUSED_PAD src0_sel:DWORD src1_sel:BYTE_3
	v_bitop3_b16 v176, v176, v178, s9 bitop3:0xec
	v_bitop3_b16 v116, v116, v118, s9 bitop3:0xec
	v_lshlrev_b32_e32 v116, 16, v116
	v_or_b32_sdwa v128, v176, v116 dst_sel:DWORD dst_unused:UNUSED_PAD src0_sel:WORD_0 src1_sel:DWORD
	v_ashrrev_i32_e32 v116, s20, v129
	v_ashrrev_i32_e32 v129, s18, v177
	v_lshlrev_b32_e32 v129, 2, v129
	v_bfe_u32 v118, v116, 24, 2
	v_and_b32_e32 v116, 0x3030303, v116
	v_and_b32_e32 v129, 0x4040404, v129
	v_sub_u16_e32 v176, v116, v129
	v_sub_u16_sdwa v177, v116, v129 dst_sel:BYTE_1 dst_unused:UNUSED_PAD src0_sel:BYTE_1 src1_sel:BYTE_1
	v_sub_u16_sdwa v116, v116, v129 dst_sel:DWORD dst_unused:UNUSED_PAD src0_sel:WORD_1 src1_sel:WORD_1
	v_sub_u16_sdwa v118, v118, v129 dst_sel:BYTE_1 dst_unused:UNUSED_PAD src0_sel:DWORD src1_sel:BYTE_3
	v_bitop3_b16 v176, v176, v177, s9 bitop3:0xec
	v_bitop3_b16 v116, v116, v118, s9 bitop3:0xec
	v_lshlrev_b32_e32 v116, 16, v116
	v_or_b32_sdwa v129, v176, v116 dst_sel:DWORD dst_unused:UNUSED_PAD src0_sel:WORD_0 src1_sel:DWORD
	ds_read2_b32 v[176:177], v122 offset0:4 offset1:5
	ds_read2_b32 v[178:179], v120 offset0:4 offset1:5
	v_add3_u32 v196, s22, v170, v134
	v_add3_u32 v209, s22, v172, v138
	v_mov_b32_e32 v205, 0
	s_waitcnt lgkmcnt(1)
	v_ashrrev_i32_e32 v116, s20, v176
	s_waitcnt lgkmcnt(0)
	v_ashrrev_i32_e32 v176, s18, v178
	v_lshlrev_b32_e32 v176, 2, v176
	v_bfe_u32 v118, v116, 24, 2
	v_and_b32_e32 v116, 0x3030303, v116
	v_and_b32_e32 v176, 0x4040404, v176
	v_sub_u16_e32 v178, v116, v176
	v_sub_u16_sdwa v180, v116, v176 dst_sel:BYTE_1 dst_unused:UNUSED_PAD src0_sel:BYTE_1 src1_sel:BYTE_1
	v_sub_u16_sdwa v116, v116, v176 dst_sel:DWORD dst_unused:UNUSED_PAD src0_sel:WORD_1 src1_sel:WORD_1
	v_sub_u16_sdwa v118, v118, v176 dst_sel:BYTE_1 dst_unused:UNUSED_PAD src0_sel:DWORD src1_sel:BYTE_3
	v_bitop3_b16 v178, v178, v180, s9 bitop3:0xec
	v_bitop3_b16 v116, v116, v118, s9 bitop3:0xec
	v_lshlrev_b32_e32 v116, 16, v116
	v_ashrrev_i32_e32 v176, s18, v179
	v_or_b32_sdwa v184, v178, v116 dst_sel:DWORD dst_unused:UNUSED_PAD src0_sel:WORD_0 src1_sel:DWORD
	v_ashrrev_i32_e32 v116, s20, v177
	v_lshlrev_b32_e32 v176, 2, v176
	v_bfe_u32 v118, v116, 24, 2
	v_and_b32_e32 v116, 0x3030303, v116
	v_and_b32_e32 v176, 0x4040404, v176
	v_sub_u16_e32 v177, v116, v176
	v_sub_u16_sdwa v178, v116, v176 dst_sel:BYTE_1 dst_unused:UNUSED_PAD src0_sel:BYTE_1 src1_sel:BYTE_1
	v_sub_u16_sdwa v116, v116, v176 dst_sel:DWORD dst_unused:UNUSED_PAD src0_sel:WORD_1 src1_sel:WORD_1
	v_sub_u16_sdwa v118, v118, v176 dst_sel:BYTE_1 dst_unused:UNUSED_PAD src0_sel:DWORD src1_sel:BYTE_3
	v_bitop3_b16 v177, v177, v178, s9 bitop3:0xec
	v_bitop3_b16 v116, v116, v118, s9 bitop3:0xec
	v_lshlrev_b32_e32 v116, 16, v116
	v_or_b32_sdwa v185, v177, v116 dst_sel:DWORD dst_unused:UNUSED_PAD src0_sel:WORD_0 src1_sel:DWORD
	ds_read2_b32 v[176:177], v122 offset0:6 offset1:7
	ds_read2_b32 v[178:179], v120 offset0:6 offset1:7
	v_mov_b32_e32 v206, 0
	v_mov_b32_e32 v208, 0
	v_mov_b32_e32 v212, 0
	s_waitcnt lgkmcnt(1)
	v_ashrrev_i32_e32 v116, s20, v176
	s_waitcnt lgkmcnt(0)
	v_ashrrev_i32_e32 v120, s18, v178
	v_lshlrev_b32_e32 v120, 2, v120
	v_bfe_u32 v118, v116, 24, 2
	v_and_b32_e32 v116, 0x3030303, v116
	v_and_b32_e32 v120, 0x4040404, v120
	v_sub_u16_e32 v176, v116, v120
	v_sub_u16_sdwa v178, v116, v120 dst_sel:BYTE_1 dst_unused:UNUSED_PAD src0_sel:BYTE_1 src1_sel:BYTE_1
	v_sub_u16_sdwa v116, v116, v120 dst_sel:DWORD dst_unused:UNUSED_PAD src0_sel:WORD_1 src1_sel:WORD_1
	v_sub_u16_sdwa v118, v118, v120 dst_sel:BYTE_1 dst_unused:UNUSED_PAD src0_sel:DWORD src1_sel:BYTE_3
	v_bitop3_b16 v176, v176, v178, s9 bitop3:0xec
	v_bitop3_b16 v116, v116, v118, s9 bitop3:0xec
	v_lshlrev_b32_e32 v116, 16, v116
	v_ashrrev_i32_e32 v120, s18, v179
	v_or_b32_sdwa v186, v176, v116 dst_sel:DWORD dst_unused:UNUSED_PAD src0_sel:WORD_0 src1_sel:DWORD
	v_ashrrev_i32_e32 v116, s20, v177
	v_lshlrev_b32_e32 v120, 2, v120
	v_bfe_u32 v118, v116, 24, 2
	v_and_b32_e32 v116, 0x3030303, v116
	v_and_b32_e32 v120, 0x4040404, v120
	v_sub_u16_e32 v176, v116, v120
	v_sub_u16_sdwa v177, v116, v120 dst_sel:BYTE_1 dst_unused:UNUSED_PAD src0_sel:BYTE_1 src1_sel:BYTE_1
	v_sub_u16_sdwa v116, v116, v120 dst_sel:DWORD dst_unused:UNUSED_PAD src0_sel:WORD_1 src1_sel:WORD_1
	v_sub_u16_sdwa v118, v118, v120 dst_sel:BYTE_1 dst_unused:UNUSED_PAD src0_sel:DWORD src1_sel:BYTE_3
	v_bitop3_b16 v176, v176, v177, s9 bitop3:0xec
	v_bitop3_b16 v116, v116, v118, s9 bitop3:0xec
	v_lshlrev_b32_e32 v116, 16, v116
	v_or_b32_sdwa v187, v176, v116 dst_sel:DWORD dst_unused:UNUSED_PAD src0_sel:WORD_0 src1_sel:DWORD
	v_add3_u32 v116, s23, v166, v167
	v_add_u32_e32 v118, 0x1080, v122
	ds_read_b32 v116, v116
	ds_read2_b32 v[176:177], v118 offset1:1
	ds_read2_b32 v[178:179], v188 offset1:1
	v_mov_b32_e32 v214, 0
	v_mov_b32_e32 v215, 0
	;; [unrolled: 1-line block ×3, first 2 shown]
	s_waitcnt lgkmcnt(1)
	v_ashrrev_i32_e32 v118, s20, v176
	s_waitcnt lgkmcnt(0)
	v_ashrrev_i32_e32 v176, s18, v178
	v_lshlrev_b32_e32 v176, 2, v176
	v_bfe_u32 v120, v118, 24, 2
	v_and_b32_e32 v118, 0x3030303, v118
	v_and_b32_e32 v176, 0x4040404, v176
	v_sub_u16_e32 v178, v118, v176
	v_sub_u16_sdwa v180, v118, v176 dst_sel:BYTE_1 dst_unused:UNUSED_PAD src0_sel:BYTE_1 src1_sel:BYTE_1
	v_sub_u16_sdwa v118, v118, v176 dst_sel:DWORD dst_unused:UNUSED_PAD src0_sel:WORD_1 src1_sel:WORD_1
	v_sub_u16_sdwa v120, v120, v176 dst_sel:BYTE_1 dst_unused:UNUSED_PAD src0_sel:DWORD src1_sel:BYTE_3
	v_bitop3_b16 v178, v178, v180, s9 bitop3:0xec
	v_bitop3_b16 v118, v118, v120, s9 bitop3:0xec
	v_lshlrev_b32_e32 v118, 16, v118
	v_or_b32_sdwa v176, v178, v118 dst_sel:DWORD dst_unused:UNUSED_PAD src0_sel:WORD_0 src1_sel:DWORD
	v_ashrrev_i32_e32 v118, s20, v177
	v_ashrrev_i32_e32 v177, s18, v179
	v_lshlrev_b32_e32 v177, 2, v177
	v_bfe_u32 v120, v118, 24, 2
	v_and_b32_e32 v118, 0x3030303, v118
	v_and_b32_e32 v177, 0x4040404, v177
	v_sub_u16_e32 v178, v118, v177
	v_sub_u16_sdwa v179, v118, v177 dst_sel:BYTE_1 dst_unused:UNUSED_PAD src0_sel:BYTE_1 src1_sel:BYTE_1
	v_sub_u16_sdwa v118, v118, v177 dst_sel:DWORD dst_unused:UNUSED_PAD src0_sel:WORD_1 src1_sel:WORD_1
	v_sub_u16_sdwa v120, v120, v177 dst_sel:BYTE_1 dst_unused:UNUSED_PAD src0_sel:DWORD src1_sel:BYTE_3
	v_bitop3_b16 v178, v178, v179, s9 bitop3:0xec
	v_bitop3_b16 v118, v118, v120, s9 bitop3:0xec
	v_lshlrev_b32_e32 v118, 16, v118
	v_or_b32_sdwa v177, v178, v118 dst_sel:DWORD dst_unused:UNUSED_PAD src0_sel:WORD_0 src1_sel:DWORD
	v_add_u32_e32 v118, 0x1088, v122
	ds_read2_b32 v[178:179], v118 offset1:1
	ds_read2_b32 v[180:181], v188 offset0:2 offset1:3
	v_mov_b32_e32 v222, 0
	v_dot4c_i32_i8_e32 v205, v126, v4
	v_dot4c_i32_i8_e32 v206, v184, v0
	s_waitcnt lgkmcnt(1)
	v_ashrrev_i32_e32 v118, s20, v178
	s_waitcnt lgkmcnt(0)
	v_ashrrev_i32_e32 v178, s18, v180
	v_lshlrev_b32_e32 v178, 2, v178
	v_bfe_u32 v120, v118, 24, 2
	v_and_b32_e32 v118, 0x3030303, v118
	v_and_b32_e32 v178, 0x4040404, v178
	v_sub_u16_e32 v180, v118, v178
	v_sub_u16_sdwa v182, v118, v178 dst_sel:BYTE_1 dst_unused:UNUSED_PAD src0_sel:BYTE_1 src1_sel:BYTE_1
	v_sub_u16_sdwa v118, v118, v178 dst_sel:DWORD dst_unused:UNUSED_PAD src0_sel:WORD_1 src1_sel:WORD_1
	v_sub_u16_sdwa v120, v120, v178 dst_sel:BYTE_1 dst_unused:UNUSED_PAD src0_sel:DWORD src1_sel:BYTE_3
	v_bitop3_b16 v180, v180, v182, s9 bitop3:0xec
	v_bitop3_b16 v118, v118, v120, s9 bitop3:0xec
	v_lshlrev_b32_e32 v118, 16, v118
	v_or_b32_sdwa v178, v180, v118 dst_sel:DWORD dst_unused:UNUSED_PAD src0_sel:WORD_0 src1_sel:DWORD
	v_ashrrev_i32_e32 v118, s20, v179
	v_ashrrev_i32_e32 v179, s18, v181
	v_lshlrev_b32_e32 v179, 2, v179
	v_bfe_u32 v120, v118, 24, 2
	v_and_b32_e32 v118, 0x3030303, v118
	v_and_b32_e32 v179, 0x4040404, v179
	v_sub_u16_e32 v180, v118, v179
	v_sub_u16_sdwa v181, v118, v179 dst_sel:BYTE_1 dst_unused:UNUSED_PAD src0_sel:BYTE_1 src1_sel:BYTE_1
	v_sub_u16_sdwa v118, v118, v179 dst_sel:DWORD dst_unused:UNUSED_PAD src0_sel:WORD_1 src1_sel:WORD_1
	v_sub_u16_sdwa v120, v120, v179 dst_sel:BYTE_1 dst_unused:UNUSED_PAD src0_sel:DWORD src1_sel:BYTE_3
	v_bitop3_b16 v180, v180, v181, s9 bitop3:0xec
	v_bitop3_b16 v118, v118, v120, s9 bitop3:0xec
	v_lshlrev_b32_e32 v118, 16, v118
	v_or_b32_sdwa v179, v180, v118 dst_sel:DWORD dst_unused:UNUSED_PAD src0_sel:WORD_0 src1_sel:DWORD
	v_add_u32_e32 v118, 0x1090, v122
	ds_read2_b32 v[180:181], v118 offset1:1
	ds_read2_b32 v[182:183], v188 offset0:4 offset1:5
	v_dot4c_i32_i8_e32 v208, v176, v4
	v_dot4c_i32_i8_e32 v205, v127, v5
	;; [unrolled: 1-line block ×3, first 2 shown]
	s_waitcnt lgkmcnt(1)
	v_ashrrev_i32_e32 v118, s20, v180
	s_waitcnt lgkmcnt(0)
	v_ashrrev_i32_e32 v180, s18, v182
	v_lshlrev_b32_e32 v180, 2, v180
	v_bfe_u32 v120, v118, 24, 2
	v_and_b32_e32 v118, 0x3030303, v118
	v_and_b32_e32 v180, 0x4040404, v180
	v_sub_u16_e32 v182, v118, v180
	v_sub_u16_sdwa v189, v118, v180 dst_sel:BYTE_1 dst_unused:UNUSED_PAD src0_sel:BYTE_1 src1_sel:BYTE_1
	v_sub_u16_sdwa v118, v118, v180 dst_sel:DWORD dst_unused:UNUSED_PAD src0_sel:WORD_1 src1_sel:WORD_1
	v_sub_u16_sdwa v120, v120, v180 dst_sel:BYTE_1 dst_unused:UNUSED_PAD src0_sel:DWORD src1_sel:BYTE_3
	v_bitop3_b16 v182, v182, v189, s9 bitop3:0xec
	v_bitop3_b16 v118, v118, v120, s9 bitop3:0xec
	v_lshlrev_b32_e32 v118, 16, v118
	v_or_b32_sdwa v180, v182, v118 dst_sel:DWORD dst_unused:UNUSED_PAD src0_sel:WORD_0 src1_sel:DWORD
	v_ashrrev_i32_e32 v118, s20, v181
	v_ashrrev_i32_e32 v181, s18, v183
	v_lshlrev_b32_e32 v181, 2, v181
	v_bfe_u32 v120, v118, 24, 2
	v_and_b32_e32 v118, 0x3030303, v118
	v_and_b32_e32 v181, 0x4040404, v181
	v_sub_u16_e32 v182, v118, v181
	v_sub_u16_sdwa v183, v118, v181 dst_sel:BYTE_1 dst_unused:UNUSED_PAD src0_sel:BYTE_1 src1_sel:BYTE_1
	v_sub_u16_sdwa v118, v118, v181 dst_sel:DWORD dst_unused:UNUSED_PAD src0_sel:WORD_1 src1_sel:WORD_1
	v_sub_u16_sdwa v120, v120, v181 dst_sel:BYTE_1 dst_unused:UNUSED_PAD src0_sel:DWORD src1_sel:BYTE_3
	v_bitop3_b16 v182, v182, v183, s9 bitop3:0xec
	v_bitop3_b16 v118, v118, v120, s9 bitop3:0xec
	v_lshlrev_b32_e32 v118, 16, v118
	v_or_b32_sdwa v181, v182, v118 dst_sel:DWORD dst_unused:UNUSED_PAD src0_sel:WORD_0 src1_sel:DWORD
	v_add_u32_e32 v118, 0x1098, v122
	ds_read2_b32 v[182:183], v118 offset1:1
	ds_read2_b32 v[188:189], v188 offset0:6 offset1:7
	v_dot4c_i32_i8_e32 v212, v180, v0
	v_dot4c_i32_i8_e32 v208, v177, v5
	;; [unrolled: 1-line block ×3, first 2 shown]
	s_waitcnt lgkmcnt(1)
	v_ashrrev_i32_e32 v118, s20, v182
	s_waitcnt lgkmcnt(0)
	v_ashrrev_i32_e32 v182, s18, v188
	v_lshlrev_b32_e32 v182, 2, v182
	v_bfe_u32 v120, v118, 24, 2
	v_and_b32_e32 v118, 0x3030303, v118
	v_and_b32_e32 v182, 0x4040404, v182
	v_sub_u16_e32 v188, v118, v182
	v_sub_u16_sdwa v190, v118, v182 dst_sel:BYTE_1 dst_unused:UNUSED_PAD src0_sel:BYTE_1 src1_sel:BYTE_1
	v_sub_u16_sdwa v118, v118, v182 dst_sel:DWORD dst_unused:UNUSED_PAD src0_sel:WORD_1 src1_sel:WORD_1
	v_sub_u16_sdwa v120, v120, v182 dst_sel:BYTE_1 dst_unused:UNUSED_PAD src0_sel:DWORD src1_sel:BYTE_3
	v_bitop3_b16 v188, v188, v190, s9 bitop3:0xec
	v_bitop3_b16 v118, v118, v120, s9 bitop3:0xec
	v_lshlrev_b32_e32 v118, 16, v118
	v_or_b32_sdwa v182, v188, v118 dst_sel:DWORD dst_unused:UNUSED_PAD src0_sel:WORD_0 src1_sel:DWORD
	v_ashrrev_i32_e32 v118, s20, v183
	v_ashrrev_i32_e32 v183, s18, v189
	v_lshlrev_b32_e32 v183, 2, v183
	v_bfe_u32 v120, v118, 24, 2
	v_and_b32_e32 v118, 0x3030303, v118
	v_and_b32_e32 v183, 0x4040404, v183
	v_sub_u16_e32 v188, v118, v183
	v_sub_u16_sdwa v189, v118, v183 dst_sel:BYTE_1 dst_unused:UNUSED_PAD src0_sel:BYTE_1 src1_sel:BYTE_1
	v_sub_u16_sdwa v118, v118, v183 dst_sel:DWORD dst_unused:UNUSED_PAD src0_sel:WORD_1 src1_sel:WORD_1
	v_sub_u16_sdwa v120, v120, v183 dst_sel:BYTE_1 dst_unused:UNUSED_PAD src0_sel:DWORD src1_sel:BYTE_3
	v_bitop3_b16 v188, v188, v189, s9 bitop3:0xec
	v_bitop3_b16 v118, v118, v120, s9 bitop3:0xec
	v_lshlrev_b32_e32 v118, 16, v118
	v_or_b32_sdwa v183, v188, v118 dst_sel:DWORD dst_unused:UNUSED_PAD src0_sel:WORD_0 src1_sel:DWORD
	v_add3_u32 v118, s23, v169, v132
	v_add_u32_e32 v120, 0x2100, v122
	ds_read_b32 v118, v118
	ds_read2_b32 v[188:189], v120 offset1:1
	ds_read2_b32 v[190:191], v196 offset1:1
	v_add_u32_e32 v204, s21, v117
	v_dot4c_i32_i8_e32 v205, v128, v6
	v_dot4c_i32_i8_e32 v206, v186, v2
	s_waitcnt lgkmcnt(1)
	v_ashrrev_i32_e32 v120, s20, v188
	s_waitcnt lgkmcnt(0)
	v_ashrrev_i32_e32 v190, s18, v190
	v_lshlrev_b32_e32 v190, 2, v190
	v_bfe_u32 v188, v120, 24, 2
	v_and_b32_e32 v120, 0x3030303, v120
	v_and_b32_e32 v190, 0x4040404, v190
	v_sub_u16_e32 v192, v120, v190
	v_sub_u16_sdwa v193, v120, v190 dst_sel:BYTE_1 dst_unused:UNUSED_PAD src0_sel:BYTE_1 src1_sel:BYTE_1
	v_sub_u16_sdwa v120, v120, v190 dst_sel:DWORD dst_unused:UNUSED_PAD src0_sel:WORD_1 src1_sel:WORD_1
	v_sub_u16_sdwa v188, v188, v190 dst_sel:BYTE_1 dst_unused:UNUSED_PAD src0_sel:DWORD src1_sel:BYTE_3
	v_bitop3_b16 v192, v192, v193, s9 bitop3:0xec
	v_bitop3_b16 v120, v120, v188, s9 bitop3:0xec
	v_lshlrev_b32_e32 v120, 16, v120
	v_ashrrev_i32_e32 v190, s18, v191
	v_or_b32_sdwa v188, v192, v120 dst_sel:DWORD dst_unused:UNUSED_PAD src0_sel:WORD_0 src1_sel:DWORD
	v_ashrrev_i32_e32 v120, s20, v189
	v_lshlrev_b32_e32 v190, 2, v190
	v_bfe_u32 v189, v120, 24, 2
	v_and_b32_e32 v120, 0x3030303, v120
	v_and_b32_e32 v190, 0x4040404, v190
	v_sub_u16_e32 v191, v120, v190
	v_sub_u16_sdwa v192, v120, v190 dst_sel:BYTE_1 dst_unused:UNUSED_PAD src0_sel:BYTE_1 src1_sel:BYTE_1
	v_sub_u16_sdwa v120, v120, v190 dst_sel:DWORD dst_unused:UNUSED_PAD src0_sel:WORD_1 src1_sel:WORD_1
	v_sub_u16_sdwa v189, v189, v190 dst_sel:BYTE_1 dst_unused:UNUSED_PAD src0_sel:DWORD src1_sel:BYTE_3
	v_bitop3_b16 v191, v191, v192, s9 bitop3:0xec
	v_bitop3_b16 v120, v120, v189, s9 bitop3:0xec
	v_lshlrev_b32_e32 v120, 16, v120
	v_or_b32_sdwa v189, v191, v120 dst_sel:DWORD dst_unused:UNUSED_PAD src0_sel:WORD_0 src1_sel:DWORD
	v_add_u32_e32 v120, 0x2108, v122
	ds_read2_b32 v[190:191], v120 offset1:1
	ds_read2_b32 v[192:193], v196 offset0:2 offset1:3
	v_dot4c_i32_i8_e32 v214, v188, v4
	v_dot4c_i32_i8_e32 v214, v189, v5
	v_dot4c_i32_i8_e32 v208, v178, v6
	s_waitcnt lgkmcnt(1)
	v_ashrrev_i32_e32 v120, s20, v190
	s_waitcnt lgkmcnt(0)
	v_ashrrev_i32_e32 v192, s18, v192
	v_lshlrev_b32_e32 v192, 2, v192
	v_bfe_u32 v190, v120, 24, 2
	v_and_b32_e32 v120, 0x3030303, v120
	v_and_b32_e32 v192, 0x4040404, v192
	v_sub_u16_e32 v194, v120, v192
	v_sub_u16_sdwa v195, v120, v192 dst_sel:BYTE_1 dst_unused:UNUSED_PAD src0_sel:BYTE_1 src1_sel:BYTE_1
	v_sub_u16_sdwa v120, v120, v192 dst_sel:DWORD dst_unused:UNUSED_PAD src0_sel:WORD_1 src1_sel:WORD_1
	v_sub_u16_sdwa v190, v190, v192 dst_sel:BYTE_1 dst_unused:UNUSED_PAD src0_sel:DWORD src1_sel:BYTE_3
	v_bitop3_b16 v194, v194, v195, s9 bitop3:0xec
	v_bitop3_b16 v120, v120, v190, s9 bitop3:0xec
	v_lshlrev_b32_e32 v120, 16, v120
	v_ashrrev_i32_e32 v192, s18, v193
	v_or_b32_sdwa v190, v194, v120 dst_sel:DWORD dst_unused:UNUSED_PAD src0_sel:WORD_0 src1_sel:DWORD
	v_ashrrev_i32_e32 v120, s20, v191
	v_lshlrev_b32_e32 v192, 2, v192
	v_bfe_u32 v191, v120, 24, 2
	v_and_b32_e32 v120, 0x3030303, v120
	v_and_b32_e32 v192, 0x4040404, v192
	v_sub_u16_e32 v193, v120, v192
	v_sub_u16_sdwa v194, v120, v192 dst_sel:BYTE_1 dst_unused:UNUSED_PAD src0_sel:BYTE_1 src1_sel:BYTE_1
	v_sub_u16_sdwa v120, v120, v192 dst_sel:DWORD dst_unused:UNUSED_PAD src0_sel:WORD_1 src1_sel:WORD_1
	v_sub_u16_sdwa v191, v191, v192 dst_sel:BYTE_1 dst_unused:UNUSED_PAD src0_sel:DWORD src1_sel:BYTE_3
	v_bitop3_b16 v193, v193, v194, s9 bitop3:0xec
	v_bitop3_b16 v120, v120, v191, s9 bitop3:0xec
	v_lshlrev_b32_e32 v120, 16, v120
	v_or_b32_sdwa v191, v193, v120 dst_sel:DWORD dst_unused:UNUSED_PAD src0_sel:WORD_0 src1_sel:DWORD
	v_add_u32_e32 v120, 0x2110, v122
	ds_read2_b32 v[192:193], v120 offset1:1
	ds_read2_b32 v[194:195], v196 offset0:4 offset1:5
	v_dot4c_i32_i8_e32 v212, v182, v2
	;; [unrolled: 36-line block ×3, first 2 shown]
	v_dot4c_i32_i8_e32 v215, v193, v1
	v_dot4c_i32_i8_e32 v206, v187, v3
	s_waitcnt lgkmcnt(1)
	v_ashrrev_i32_e32 v120, s20, v194
	s_waitcnt lgkmcnt(0)
	v_ashrrev_i32_e32 v196, s18, v196
	v_lshlrev_b32_e32 v196, 2, v196
	v_bfe_u32 v194, v120, 24, 2
	v_and_b32_e32 v120, 0x3030303, v120
	v_and_b32_e32 v196, 0x4040404, v196
	v_sub_u16_e32 v198, v120, v196
	v_sub_u16_sdwa v199, v120, v196 dst_sel:BYTE_1 dst_unused:UNUSED_PAD src0_sel:BYTE_1 src1_sel:BYTE_1
	v_sub_u16_sdwa v120, v120, v196 dst_sel:DWORD dst_unused:UNUSED_PAD src0_sel:WORD_1 src1_sel:WORD_1
	v_sub_u16_sdwa v194, v194, v196 dst_sel:BYTE_1 dst_unused:UNUSED_PAD src0_sel:DWORD src1_sel:BYTE_3
	v_bitop3_b16 v198, v198, v199, s9 bitop3:0xec
	v_bitop3_b16 v120, v120, v194, s9 bitop3:0xec
	v_lshlrev_b32_e32 v120, 16, v120
	v_ashrrev_i32_e32 v196, s18, v197
	v_or_b32_sdwa v194, v198, v120 dst_sel:DWORD dst_unused:UNUSED_PAD src0_sel:WORD_0 src1_sel:DWORD
	v_ashrrev_i32_e32 v120, s20, v195
	v_lshlrev_b32_e32 v196, 2, v196
	v_bfe_u32 v195, v120, 24, 2
	v_and_b32_e32 v120, 0x3030303, v120
	v_and_b32_e32 v196, 0x4040404, v196
	v_sub_u16_e32 v197, v120, v196
	v_sub_u16_sdwa v198, v120, v196 dst_sel:BYTE_1 dst_unused:UNUSED_PAD src0_sel:BYTE_1 src1_sel:BYTE_1
	v_sub_u16_sdwa v120, v120, v196 dst_sel:DWORD dst_unused:UNUSED_PAD src0_sel:WORD_1 src1_sel:WORD_1
	v_sub_u16_sdwa v195, v195, v196 dst_sel:BYTE_1 dst_unused:UNUSED_PAD src0_sel:DWORD src1_sel:BYTE_3
	v_bitop3_b16 v197, v197, v198, s9 bitop3:0xec
	v_bitop3_b16 v120, v120, v195, s9 bitop3:0xec
	v_lshlrev_b32_e32 v120, 16, v120
	v_add_u32_e32 v196, 0x3180, v122
	v_or_b32_sdwa v195, v197, v120 dst_sel:DWORD dst_unused:UNUSED_PAD src0_sel:WORD_0 src1_sel:DWORD
	ds_read2_b32 v[196:197], v196 offset1:1
	ds_read2_b32 v[198:199], v209 offset1:1
	v_add3_u32 v120, s23, v171, v136
	ds_read_b32 v120, v120
	v_dot4c_i32_i8_e32 v215, v194, v2
	s_waitcnt lgkmcnt(2)
	v_ashrrev_i32_e32 v196, s20, v196
	s_waitcnt lgkmcnt(1)
	v_ashrrev_i32_e32 v198, s18, v198
	v_lshlrev_b32_e32 v198, 2, v198
	v_bfe_u32 v200, v196, 24, 2
	v_and_b32_e32 v196, 0x3030303, v196
	v_and_b32_e32 v198, 0x4040404, v198
	v_sub_u16_e32 v201, v196, v198
	v_sub_u16_sdwa v202, v196, v198 dst_sel:BYTE_1 dst_unused:UNUSED_PAD src0_sel:BYTE_1 src1_sel:BYTE_1
	v_sub_u16_sdwa v196, v196, v198 dst_sel:DWORD dst_unused:UNUSED_PAD src0_sel:WORD_1 src1_sel:WORD_1
	v_sub_u16_sdwa v198, v200, v198 dst_sel:BYTE_1 dst_unused:UNUSED_PAD src0_sel:DWORD src1_sel:BYTE_3
	v_ashrrev_i32_e32 v199, s18, v199
	v_bitop3_b16 v196, v196, v198, s9 bitop3:0xec
	v_ashrrev_i32_e32 v197, s20, v197
	v_lshlrev_b32_e32 v199, 2, v199
	v_bitop3_b16 v201, v201, v202, s9 bitop3:0xec
	v_lshlrev_b32_e32 v196, 16, v196
	v_bfe_u32 v198, v197, 24, 2
	v_and_b32_e32 v197, 0x3030303, v197
	v_and_b32_e32 v199, 0x4040404, v199
	v_or_b32_sdwa v196, v201, v196 dst_sel:DWORD dst_unused:UNUSED_PAD src0_sel:WORD_0 src1_sel:DWORD
	v_sub_u16_e32 v200, v197, v199
	v_sub_u16_sdwa v201, v197, v199 dst_sel:BYTE_1 dst_unused:UNUSED_PAD src0_sel:BYTE_1 src1_sel:BYTE_1
	v_sub_u16_sdwa v197, v197, v199 dst_sel:DWORD dst_unused:UNUSED_PAD src0_sel:WORD_1 src1_sel:WORD_1
	v_sub_u16_sdwa v198, v198, v199 dst_sel:BYTE_1 dst_unused:UNUSED_PAD src0_sel:DWORD src1_sel:BYTE_3
	v_bitop3_b16 v200, v200, v201, s9 bitop3:0xec
	v_bitop3_b16 v197, v197, v198, s9 bitop3:0xec
	v_lshlrev_b32_e32 v197, 16, v197
	v_add_u32_e32 v198, 0x3188, v122
	v_or_b32_sdwa v197, v200, v197 dst_sel:DWORD dst_unused:UNUSED_PAD src0_sel:WORD_0 src1_sel:DWORD
	ds_read2_b32 v[198:199], v198 offset1:1
	ds_read2_b32 v[200:201], v209 offset0:2 offset1:3
	v_dot4c_i32_i8_e32 v217, v196, v4
	v_dot4c_i32_i8_e32 v217, v197, v5
	;; [unrolled: 1-line block ×3, first 2 shown]
	s_waitcnt lgkmcnt(1)
	v_ashrrev_i32_e32 v198, s20, v198
	s_waitcnt lgkmcnt(0)
	v_ashrrev_i32_e32 v200, s18, v200
	v_lshlrev_b32_e32 v200, 2, v200
	v_bfe_u32 v202, v198, 24, 2
	v_and_b32_e32 v198, 0x3030303, v198
	v_and_b32_e32 v200, 0x4040404, v200
	v_sub_u16_e32 v203, v198, v200
	v_sub_u16_sdwa v210, v198, v200 dst_sel:BYTE_1 dst_unused:UNUSED_PAD src0_sel:BYTE_1 src1_sel:BYTE_1
	v_sub_u16_sdwa v198, v198, v200 dst_sel:DWORD dst_unused:UNUSED_PAD src0_sel:WORD_1 src1_sel:WORD_1
	v_sub_u16_sdwa v200, v202, v200 dst_sel:BYTE_1 dst_unused:UNUSED_PAD src0_sel:DWORD src1_sel:BYTE_3
	v_ashrrev_i32_e32 v201, s18, v201
	v_bitop3_b16 v198, v198, v200, s9 bitop3:0xec
	v_ashrrev_i32_e32 v199, s20, v199
	v_lshlrev_b32_e32 v201, 2, v201
	v_bitop3_b16 v203, v203, v210, s9 bitop3:0xec
	v_lshlrev_b32_e32 v198, 16, v198
	v_bfe_u32 v200, v199, 24, 2
	v_and_b32_e32 v199, 0x3030303, v199
	v_and_b32_e32 v201, 0x4040404, v201
	v_or_b32_sdwa v198, v203, v198 dst_sel:DWORD dst_unused:UNUSED_PAD src0_sel:WORD_0 src1_sel:DWORD
	v_sub_u16_e32 v202, v199, v201
	v_sub_u16_sdwa v203, v199, v201 dst_sel:BYTE_1 dst_unused:UNUSED_PAD src0_sel:BYTE_1 src1_sel:BYTE_1
	v_sub_u16_sdwa v199, v199, v201 dst_sel:DWORD dst_unused:UNUSED_PAD src0_sel:WORD_1 src1_sel:WORD_1
	v_sub_u16_sdwa v200, v200, v201 dst_sel:BYTE_1 dst_unused:UNUSED_PAD src0_sel:DWORD src1_sel:BYTE_3
	v_bitop3_b16 v202, v202, v203, s9 bitop3:0xec
	v_bitop3_b16 v199, v199, v200, s9 bitop3:0xec
	v_lshlrev_b32_e32 v199, 16, v199
	v_add_u32_e32 v200, 0x3190, v122
	v_or_b32_sdwa v199, v202, v199 dst_sel:DWORD dst_unused:UNUSED_PAD src0_sel:WORD_0 src1_sel:DWORD
	ds_read2_b32 v[200:201], v200 offset1:1
	ds_read2_b32 v[202:203], v209 offset0:4 offset1:5
	v_add_u32_e32 v122, 0x3198, v122
	v_dot4c_i32_i8_e32 v217, v198, v6
	v_dot4c_i32_i8_e32 v212, v183, v3
	s_waitcnt lgkmcnt(1)
	v_ashrrev_i32_e32 v200, s20, v200
	s_waitcnt lgkmcnt(0)
	v_ashrrev_i32_e32 v202, s18, v202
	v_lshlrev_b32_e32 v202, 2, v202
	v_bfe_u32 v210, v200, 24, 2
	v_and_b32_e32 v200, 0x3030303, v200
	v_and_b32_e32 v202, 0x4040404, v202
	v_sub_u16_e32 v211, v200, v202
	v_sub_u16_sdwa v216, v200, v202 dst_sel:BYTE_1 dst_unused:UNUSED_PAD src0_sel:BYTE_1 src1_sel:BYTE_1
	v_sub_u16_sdwa v200, v200, v202 dst_sel:DWORD dst_unused:UNUSED_PAD src0_sel:WORD_1 src1_sel:WORD_1
	v_sub_u16_sdwa v202, v210, v202 dst_sel:BYTE_1 dst_unused:UNUSED_PAD src0_sel:DWORD src1_sel:BYTE_3
	v_ashrrev_i32_e32 v203, s18, v203
	v_bitop3_b16 v200, v200, v202, s9 bitop3:0xec
	v_ashrrev_i32_e32 v201, s20, v201
	v_lshlrev_b32_e32 v203, 2, v203
	v_bitop3_b16 v211, v211, v216, s9 bitop3:0xec
	v_lshlrev_b32_e32 v200, 16, v200
	v_bfe_u32 v202, v201, 24, 2
	v_and_b32_e32 v201, 0x3030303, v201
	v_and_b32_e32 v203, 0x4040404, v203
	v_or_b32_sdwa v200, v211, v200 dst_sel:DWORD dst_unused:UNUSED_PAD src0_sel:WORD_0 src1_sel:DWORD
	v_sub_u16_e32 v210, v201, v203
	v_sub_u16_sdwa v211, v201, v203 dst_sel:BYTE_1 dst_unused:UNUSED_PAD src0_sel:BYTE_1 src1_sel:BYTE_1
	v_sub_u16_sdwa v201, v201, v203 dst_sel:DWORD dst_unused:UNUSED_PAD src0_sel:WORD_1 src1_sel:WORD_1
	v_sub_u16_sdwa v202, v202, v203 dst_sel:BYTE_1 dst_unused:UNUSED_PAD src0_sel:DWORD src1_sel:BYTE_3
	v_bitop3_b16 v210, v210, v211, s9 bitop3:0xec
	v_bitop3_b16 v201, v201, v202, s9 bitop3:0xec
	v_lshlrev_b32_e32 v201, 16, v201
	v_or_b32_sdwa v201, v210, v201 dst_sel:DWORD dst_unused:UNUSED_PAD src0_sel:WORD_0 src1_sel:DWORD
	ds_read2_b32 v[202:203], v122 offset1:1
	ds_read2_b32 v[210:211], v209 offset0:6 offset1:7
	v_dot4c_i32_i8_e32 v222, v200, v0
	v_dot4c_i32_i8_e32 v222, v201, v1
	;; [unrolled: 1-line block ×3, first 2 shown]
	s_waitcnt lgkmcnt(1)
	v_ashrrev_i32_e32 v122, s20, v202
	s_waitcnt lgkmcnt(0)
	v_ashrrev_i32_e32 v209, s18, v210
	v_lshlrev_b32_e32 v209, 2, v209
	v_bfe_u32 v202, v122, 24, 2
	v_and_b32_e32 v122, 0x3030303, v122
	v_and_b32_e32 v209, 0x4040404, v209
	v_sub_u16_e32 v210, v122, v209
	v_sub_u16_sdwa v216, v122, v209 dst_sel:BYTE_1 dst_unused:UNUSED_PAD src0_sel:BYTE_1 src1_sel:BYTE_1
	v_sub_u16_sdwa v122, v122, v209 dst_sel:DWORD dst_unused:UNUSED_PAD src0_sel:WORD_1 src1_sel:WORD_1
	v_sub_u16_sdwa v202, v202, v209 dst_sel:BYTE_1 dst_unused:UNUSED_PAD src0_sel:DWORD src1_sel:BYTE_3
	v_bitop3_b16 v210, v210, v216, s9 bitop3:0xec
	v_bitop3_b16 v122, v122, v202, s9 bitop3:0xec
	v_lshlrev_b32_e32 v122, 16, v122
	v_ashrrev_i32_e32 v209, s18, v211
	v_or_b32_sdwa v202, v210, v122 dst_sel:DWORD dst_unused:UNUSED_PAD src0_sel:WORD_0 src1_sel:DWORD
	v_ashrrev_i32_e32 v122, s20, v203
	v_lshlrev_b32_e32 v209, 2, v209
	v_bfe_u32 v203, v122, 24, 2
	v_and_b32_e32 v122, 0x3030303, v122
	v_and_b32_e32 v209, 0x4040404, v209
	v_sub_u16_e32 v210, v122, v209
	v_sub_u16_sdwa v211, v122, v209 dst_sel:BYTE_1 dst_unused:UNUSED_PAD src0_sel:BYTE_1 src1_sel:BYTE_1
	v_sub_u16_sdwa v122, v122, v209 dst_sel:DWORD dst_unused:UNUSED_PAD src0_sel:WORD_1 src1_sel:WORD_1
	v_sub_u16_sdwa v203, v203, v209 dst_sel:BYTE_1 dst_unused:UNUSED_PAD src0_sel:DWORD src1_sel:BYTE_3
	v_bitop3_b16 v210, v210, v211, s9 bitop3:0xec
	v_bitop3_b16 v122, v122, v203, s9 bitop3:0xec
	v_lshlrev_b32_e32 v122, 16, v122
	v_or_b32_sdwa v203, v210, v122 dst_sel:DWORD dst_unused:UNUSED_PAD src0_sel:WORD_0 src1_sel:DWORD
	v_add3_u32 v122, s23, v173, v140
	v_dot4c_i32_i8_e32 v222, v202, v2
	v_dot4c_i32_i8_e32 v215, v195, v3
	ds_read_b32 v122, v122
	v_dot4c_i32_i8_e32 v217, v199, v7
	v_dot4c_i32_i8_e32 v222, v203, v3
	ds_read_b128 v[0:3], v174 offset:1024
	ds_read_b128 v[4:7], v174 offset:1040
	ds_read_u16 v204, v204 offset:33522
	v_mov_b32_e32 v209, 0
	v_mov_b32_e32 v220, 0
	s_waitcnt lgkmcnt(2)
	v_dot4c_i32_i8_e32 v209, v126, v0
	v_dot4c_i32_i8_e32 v209, v127, v1
	s_waitcnt lgkmcnt(1)
	v_dot4c_i32_i8_e32 v220, v184, v4
	s_waitcnt lgkmcnt(0)
	v_lshrrev_b16_e32 v210, 8, v204
	v_dot4c_i32_i8_e32 v209, v128, v2
	v_dot4c_i32_i8_e32 v220, v185, v5
	v_bfe_i32 v210, v210, 0, 8
	v_add_u32_e32 v207, s21, v119
	v_dot4c_i32_i8_e32 v209, v129, v3
	v_dot4c_i32_i8_e32 v220, v186, v6
	v_bfe_i32 v211, v204, 0, 8
	v_mul_lo_u32 v206, v206, v210
	v_add_u32_e32 v213, s21, v121
	v_add_u32_e32 v216, s21, v123
	v_dot4c_i32_i8_e32 v220, v187, v7
	v_mul_lo_u32 v204, v209, v211
	v_mad_u64_u32 v[218:219], s[20:21], v205, v211, v[206:207]
                                        ; kill: def $vgpr205 killed $sgpr0 killed $exec
	ds_read_u16 v206, v207 offset:34546
	v_mad_u64_u32 v[204:205], s[20:21], v220, v210, v[204:205]
	v_cvt_f32_i32_e32 v205, v204
	v_cvt_f32_i32_e32 v204, v218
	v_pk_mul_f32 v[220:221], v[116:117], v[124:125] op_sel_hi:[0,1]
	s_waitcnt lgkmcnt(0)
	v_lshrrev_b16_e32 v207, 8, v206
	v_bfe_i32 v207, v207, 0, 8
	v_pk_fma_f32 v[48:49], v[220:221], v[204:205], v[48:49]
	v_mov_b32_e32 v204, 0
	v_dot4c_i32_i8_e32 v204, v176, v0
	v_mov_b32_e32 v205, 0
	v_dot4c_i32_i8_e32 v204, v177, v1
	v_dot4c_i32_i8_e32 v205, v180, v4
	;; [unrolled: 1-line block ×6, first 2 shown]
	v_bfe_i32 v209, v206, 0, 8
	v_dot4c_i32_i8_e32 v205, v183, v7
	v_mul_lo_u32 v204, v204, v209
	v_mul_lo_u32 v206, v212, v207
	v_mad_u64_u32 v[218:219], s[20:21], v208, v209, v[206:207]
	v_mad_u64_u32 v[204:205], s[20:21], v205, v207, v[204:205]
	v_cvt_f32_i32_e32 v205, v204
	v_cvt_f32_i32_e32 v204, v218
	ds_read_u16 v208, v213 offset:35570
	v_pk_mul_f32 v[220:221], v[118:119], v[124:125] op_sel_hi:[0,1]
                                        ; kill: def $vgpr213 killed $sgpr0 killed $exec
	v_mov_b32_e32 v218, 0
	v_pk_fma_f32 v[104:105], v[220:221], v[204:205], v[104:105]
	v_mov_b32_e32 v204, 0
	v_dot4c_i32_i8_e32 v204, v188, v0
	v_mov_b32_e32 v205, 0
	v_dot4c_i32_i8_e32 v204, v189, v1
	v_dot4c_i32_i8_e32 v205, v192, v4
	;; [unrolled: 1-line block ×4, first 2 shown]
	s_waitcnt lgkmcnt(0)
	v_lshrrev_b16_e32 v206, 8, v208
	v_dot4c_i32_i8_e32 v204, v191, v3
	v_dot4c_i32_i8_e32 v205, v194, v6
	v_bfe_i32 v206, v206, 0, 8
	v_bfe_i32 v208, v208, 0, 8
	v_dot4c_i32_i8_e32 v205, v195, v7
	v_mul_lo_u32 v204, v204, v208
	v_mul_lo_u32 v212, v215, v206
	v_mad_u64_u32 v[212:213], s[20:21], v214, v208, v[212:213]
	v_mad_u64_u32 v[204:205], s[20:21], v205, v206, v[204:205]
	v_cvt_f32_i32_e32 v205, v204
	v_cvt_f32_i32_e32 v204, v212
	v_mov_b32_e32 v212, 0
	v_dot4c_i32_i8_e32 v212, v196, v0
	ds_read_u16 v0, v216 offset:36594
	v_dot4c_i32_i8_e32 v212, v197, v1
	v_mov_b32_e32 v1, 0
	v_dot4c_i32_i8_e32 v1, v200, v4
	v_pk_mul_f32 v[214:215], v[120:121], v[124:125] op_sel_hi:[0,1]
	v_dot4c_i32_i8_e32 v212, v198, v2
	v_dot4c_i32_i8_e32 v1, v201, v5
	s_waitcnt lgkmcnt(0)
	v_lshrrev_b16_e32 v2, 8, v0
	v_pk_fma_f32 v[110:111], v[214:215], v[204:205], v[110:111]
	v_dot4c_i32_i8_e32 v212, v199, v3
	v_dot4c_i32_i8_e32 v1, v202, v6
	v_bfe_i32 v204, v2, 0, 8
	v_bfe_i32 v205, v0, 0, 8
	v_dot4c_i32_i8_e32 v1, v203, v7
	v_mul_lo_u32 v0, v212, v205
	v_mul_lo_u32 v2, v222, v204
                                        ; kill: def $vgpr3 killed $sgpr0 killed $exec
	v_pk_mul_f32 v[4:5], v[122:123], v[124:125] op_sel_hi:[0,1]
	v_mad_u64_u32 v[2:3], s[20:21], v217, v205, v[2:3]
	v_mad_u64_u32 v[0:1], s[20:21], v1, v204, v[0:1]
	v_cvt_f32_i32_e32 v1, v0
	v_cvt_f32_i32_e32 v0, v2
	v_mov_b32_e32 v213, 0
	v_mov_b32_e32 v214, 0
	;; [unrolled: 1-line block ×3, first 2 shown]
	v_pk_fma_f32 v[114:115], v[4:5], v[0:1], v[114:115]
	ds_read2_b32 v[124:125], v175 offset0:64 offset1:96
	ds_read_b128 v[0:3], v174 offset:2048
	ds_read_b128 v[4:7], v174 offset:2064
	v_mov_b32_e32 v220, 0
	v_mov_b32_e32 v221, 0
	;; [unrolled: 1-line block ×4, first 2 shown]
	s_waitcnt lgkmcnt(1)
	v_dot4c_i32_i8_e32 v213, v126, v0
	s_waitcnt lgkmcnt(0)
	v_dot4c_i32_i8_e32 v214, v184, v4
	v_dot4c_i32_i8_e32 v218, v176, v0
	;; [unrolled: 1-line block ×31, first 2 shown]
	ds_read_b128 v[0:3], v174 offset:3072
	ds_read_b128 v[4:7], v174 offset:3088
	v_mov_b32_e32 v212, 0
	v_mov_b32_e32 v216, 0
	v_mul_lo_u32 v214, v214, v210
	s_waitcnt lgkmcnt(1)
	v_dot4c_i32_i8_e32 v212, v126, v0
	v_dot4c_i32_i8_e32 v212, v127, v1
	s_waitcnt lgkmcnt(0)
	v_dot4c_i32_i8_e32 v216, v184, v4
	v_dot4c_i32_i8_e32 v212, v128, v2
	;; [unrolled: 1-line block ×5, first 2 shown]
                                        ; kill: def $vgpr215 killed $sgpr0 killed $exec
	v_dot4c_i32_i8_e32 v216, v187, v7
	v_mad_u64_u32 v[214:215], s[20:21], v213, v211, v[214:215]
	v_mul_lo_u32 v212, v212, v211
                                        ; kill: def $vgpr213 killed $sgpr0 killed $exec
                                        ; kill: def $vgpr215 killed $sgpr0 killed $exec
	s_add_i32 s17, s17, 2
	v_mad_u64_u32 v[212:213], s[20:21], v216, v210, v[212:213]
	v_cvt_f32_i32_e32 v213, v212
	v_cvt_f32_i32_e32 v212, v214
	v_pk_mul_f32 v[216:217], v[116:117], v[124:125] op_sel_hi:[0,1]
	v_mul_lo_u32 v214, v219, v207
	v_mad_u64_u32 v[214:215], s[20:21], v218, v209, v[214:215]
	v_pk_fma_f32 v[86:87], v[216:217], v[212:213], v[86:87]
	v_mov_b32_e32 v212, 0
	v_dot4c_i32_i8_e32 v212, v176, v0
	v_mov_b32_e32 v213, 0
	v_dot4c_i32_i8_e32 v212, v177, v1
	v_dot4c_i32_i8_e32 v213, v180, v4
	;; [unrolled: 1-line block ×7, first 2 shown]
	v_pk_mul_f32 v[216:217], v[118:119], v[124:125] op_sel_hi:[0,1]
	v_mul_lo_u32 v212, v212, v209
                                        ; kill: def $vgpr215 killed $sgpr0 killed $exec
	v_mov_b32_e32 v218, 0
	v_mad_u64_u32 v[212:213], s[20:21], v213, v207, v[212:213]
	v_cvt_f32_i32_e32 v213, v212
	v_cvt_f32_i32_e32 v212, v214
	v_mul_lo_u32 v214, v221, v206
	v_mad_u64_u32 v[214:215], s[20:21], v220, v208, v[214:215]
	v_pk_fma_f32 v[98:99], v[216:217], v[212:213], v[98:99]
	v_mov_b32_e32 v212, 0
	v_dot4c_i32_i8_e32 v212, v188, v0
	v_mov_b32_e32 v213, 0
	v_dot4c_i32_i8_e32 v212, v189, v1
	v_dot4c_i32_i8_e32 v213, v192, v4
	;; [unrolled: 1-line block ×7, first 2 shown]
	v_pk_mul_f32 v[216:217], v[120:121], v[124:125] op_sel_hi:[0,1]
	v_mul_lo_u32 v212, v212, v208
	v_mov_b32_e32 v219, 0
	v_mad_u64_u32 v[212:213], s[20:21], v213, v206, v[212:213]
	v_cvt_f32_i32_e32 v213, v212
	v_cvt_f32_i32_e32 v212, v214
	v_mov_b32_e32 v214, 0
	v_mov_b32_e32 v220, 0
	;; [unrolled: 1-line block ×3, first 2 shown]
	v_pk_fma_f32 v[106:107], v[216:217], v[212:213], v[106:107]
	v_mov_b32_e32 v212, 0
	v_dot4c_i32_i8_e32 v212, v196, v0
	v_dot4c_i32_i8_e32 v212, v197, v1
	v_mov_b32_e32 v1, 0
	v_dot4c_i32_i8_e32 v1, v200, v4
	v_dot4c_i32_i8_e32 v212, v198, v2
	;; [unrolled: 1-line block ×6, first 2 shown]
	v_mul_lo_u32 v2, v223, v204
	v_mul_lo_u32 v0, v212, v205
                                        ; kill: def $vgpr3 killed $sgpr0 killed $exec
	v_pk_mul_f32 v[4:5], v[122:123], v[124:125] op_sel_hi:[0,1]
	v_mad_u64_u32 v[2:3], s[20:21], v222, v205, v[2:3]
	v_mad_u64_u32 v[0:1], s[20:21], v1, v204, v[0:1]
	v_cvt_f32_i32_e32 v1, v0
	v_cvt_f32_i32_e32 v0, v2
	v_mov_b32_e32 v213, 0
	v_mov_b32_e32 v222, 0
	;; [unrolled: 1-line block ×3, first 2 shown]
	v_pk_fma_f32 v[112:113], v[4:5], v[0:1], v[112:113]
	ds_read2_b32 v[124:125], v175 offset0:128 offset1:160
	ds_read_b128 v[0:3], v174 offset:4096
	ds_read_b128 v[4:7], v174 offset:4112
	v_mov_b32_e32 v212, 0
	v_mov_b32_e32 v216, 0
                                        ; kill: def $vgpr215 killed $sgpr0 killed $exec
	s_add_i32 s18, s18, 1
	s_waitcnt lgkmcnt(1)
	v_dot4c_i32_i8_e32 v213, v126, v0
	s_waitcnt lgkmcnt(0)
	v_dot4c_i32_i8_e32 v214, v184, v4
	v_dot4c_i32_i8_e32 v218, v176, v0
	;; [unrolled: 1-line block ×31, first 2 shown]
	ds_read_b128 v[0:3], v174 offset:5120
	ds_read_b128 v[4:7], v174 offset:5136
	v_mul_lo_u32 v214, v214, v210
	v_mad_u64_u32 v[214:215], s[20:21], v213, v211, v[214:215]
	s_waitcnt lgkmcnt(1)
	v_dot4c_i32_i8_e32 v212, v126, v0
	v_dot4c_i32_i8_e32 v212, v127, v1
	s_waitcnt lgkmcnt(0)
	v_dot4c_i32_i8_e32 v216, v184, v4
	v_dot4c_i32_i8_e32 v212, v128, v2
	;; [unrolled: 1-line block ×6, first 2 shown]
                                        ; kill: def $vgpr213 killed $sgpr0 killed $exec
                                        ; kill: def $vgpr215 killed $sgpr0 killed $exec
	s_cmp_lt_u32 s19, 30
	v_mul_lo_u32 v212, v212, v211
	s_nop 0
	v_mad_u64_u32 v[212:213], s[20:21], v216, v210, v[212:213]
	v_cvt_f32_i32_e32 v213, v212
	v_cvt_f32_i32_e32 v212, v214
	v_pk_mul_f32 v[216:217], v[116:117], v[124:125] op_sel_hi:[0,1]
	v_mul_lo_u32 v214, v219, v207
	v_mad_u64_u32 v[214:215], s[20:21], v218, v209, v[214:215]
	v_pk_fma_f32 v[78:79], v[216:217], v[212:213], v[78:79]
	v_mov_b32_e32 v212, 0
	v_dot4c_i32_i8_e32 v212, v176, v0
	v_mov_b32_e32 v213, 0
	v_dot4c_i32_i8_e32 v212, v177, v1
	v_dot4c_i32_i8_e32 v213, v180, v4
	v_dot4c_i32_i8_e32 v212, v178, v2
	v_dot4c_i32_i8_e32 v213, v181, v5
	v_dot4c_i32_i8_e32 v212, v179, v3
	v_dot4c_i32_i8_e32 v213, v182, v6
	v_dot4c_i32_i8_e32 v213, v183, v7
	v_pk_mul_f32 v[216:217], v[118:119], v[124:125] op_sel_hi:[0,1]
	v_mul_lo_u32 v212, v212, v209
                                        ; kill: def $vgpr215 killed $sgpr0 killed $exec
	v_mov_b32_e32 v218, 0
	v_mad_u64_u32 v[212:213], s[20:21], v213, v207, v[212:213]
	v_cvt_f32_i32_e32 v213, v212
	v_cvt_f32_i32_e32 v212, v214
	v_mul_lo_u32 v214, v221, v206
	v_mad_u64_u32 v[214:215], s[20:21], v220, v208, v[214:215]
	v_pk_fma_f32 v[88:89], v[216:217], v[212:213], v[88:89]
	v_mov_b32_e32 v212, 0
	v_dot4c_i32_i8_e32 v212, v188, v0
	v_mov_b32_e32 v213, 0
	v_dot4c_i32_i8_e32 v212, v189, v1
	v_dot4c_i32_i8_e32 v213, v192, v4
	;; [unrolled: 1-line block ×7, first 2 shown]
	v_pk_mul_f32 v[216:217], v[120:121], v[124:125] op_sel_hi:[0,1]
	v_mul_lo_u32 v212, v212, v208
	v_mov_b32_e32 v219, 0
	v_mad_u64_u32 v[212:213], s[20:21], v213, v206, v[212:213]
	v_cvt_f32_i32_e32 v213, v212
	v_cvt_f32_i32_e32 v212, v214
	v_mov_b32_e32 v214, 0
	v_mov_b32_e32 v215, 0
	;; [unrolled: 1-line block ×3, first 2 shown]
	v_pk_fma_f32 v[100:101], v[216:217], v[212:213], v[100:101]
	v_mov_b32_e32 v212, 0
	v_dot4c_i32_i8_e32 v212, v196, v0
	v_dot4c_i32_i8_e32 v212, v197, v1
	v_mov_b32_e32 v1, 0
	v_dot4c_i32_i8_e32 v1, v200, v4
	v_dot4c_i32_i8_e32 v212, v198, v2
	v_dot4c_i32_i8_e32 v1, v201, v5
	v_dot4c_i32_i8_e32 v212, v199, v3
	v_dot4c_i32_i8_e32 v1, v202, v6
	v_dot4c_i32_i8_e32 v1, v203, v7
	v_mul_lo_u32 v2, v223, v204
	v_mul_lo_u32 v0, v212, v205
                                        ; kill: def $vgpr3 killed $sgpr0 killed $exec
	v_pk_mul_f32 v[4:5], v[122:123], v[124:125] op_sel_hi:[0,1]
	v_mad_u64_u32 v[2:3], s[20:21], v222, v205, v[2:3]
	v_mad_u64_u32 v[0:1], s[20:21], v1, v204, v[0:1]
	v_cvt_f32_i32_e32 v1, v0
	v_cvt_f32_i32_e32 v0, v2
	v_mov_b32_e32 v216, 0
	v_mov_b32_e32 v217, 0
	;; [unrolled: 1-line block ×3, first 2 shown]
	v_pk_fma_f32 v[108:109], v[4:5], v[0:1], v[108:109]
	ds_read2_b32 v[124:125], v175 offset0:192 offset1:224
	ds_read_b128 v[0:3], v174 offset:6144
	ds_read_b128 v[4:7], v174 offset:6160
	v_mov_b32_e32 v213, 0
	v_add_u32_e32 v175, 4, v175
	s_waitcnt lgkmcnt(1)
	v_dot4c_i32_i8_e32 v218, v126, v0
	s_waitcnt lgkmcnt(0)
	v_dot4c_i32_i8_e32 v219, v184, v4
	v_dot4c_i32_i8_e32 v216, v176, v0
	;; [unrolled: 1-line block ×31, first 2 shown]
	ds_read_b128 v[4:7], v174 offset:7168
	ds_read_b128 v[0:3], v174 offset:7184
	v_add_u32_e32 v174, 32, v174
	s_waitcnt lgkmcnt(1)
	v_dot4c_i32_i8_e32 v220, v126, v4
	v_dot4c_i32_i8_e32 v220, v127, v5
	;; [unrolled: 1-line block ×4, first 2 shown]
	v_mov_b32_e32 v129, 0
	s_waitcnt lgkmcnt(0)
	v_dot4c_i32_i8_e32 v129, v184, v0
	v_dot4c_i32_i8_e32 v129, v185, v1
	;; [unrolled: 1-line block ×4, first 2 shown]
	v_mul_lo_u32 v128, v220, v211
	v_mul_lo_u32 v126, v219, v210
                                        ; kill: def $vgpr127 killed $sgpr0 killed $exec
	v_pk_mul_f32 v[184:185], v[116:117], v[124:125] op_sel_hi:[0,1]
	v_mad_u64_u32 v[126:127], s[20:21], v218, v211, v[126:127]
	v_mad_u64_u32 v[128:129], s[20:21], v129, v210, v[128:129]
	v_mov_b32_e32 v116, 0
	v_cvt_f32_i32_e32 v127, v128
	v_cvt_f32_i32_e32 v126, v126
	v_dot4c_i32_i8_e32 v116, v176, v4
	v_mov_b32_e32 v128, 0
	v_dot4c_i32_i8_e32 v116, v177, v5
	v_dot4c_i32_i8_e32 v128, v180, v0
	v_dot4c_i32_i8_e32 v116, v178, v6
	v_dot4c_i32_i8_e32 v128, v181, v1
	v_dot4c_i32_i8_e32 v116, v179, v7
	v_dot4c_i32_i8_e32 v128, v182, v2
	v_pk_fma_f32 v[70:71], v[184:185], v[126:127], v[70:71]
	v_dot4c_i32_i8_e32 v128, v183, v3
	v_mul_lo_u32 v116, v116, v209
	v_mul_lo_u32 v126, v217, v207
                                        ; kill: def $vgpr127 killed $sgpr0 killed $exec
	v_pk_mul_f32 v[176:177], v[118:119], v[124:125] op_sel_hi:[0,1]
	v_mad_u64_u32 v[126:127], s[20:21], v216, v209, v[126:127]
	v_mad_u64_u32 v[128:129], s[20:21], v128, v207, v[116:117]
	v_mov_b32_e32 v116, 0
	v_cvt_f32_i32_e32 v127, v128
	v_dot4c_i32_i8_e32 v116, v188, v4
	v_mov_b32_e32 v128, 0
	v_dot4c_i32_i8_e32 v116, v189, v5
	v_dot4c_i32_i8_e32 v128, v192, v0
	;; [unrolled: 1-line block ×7, first 2 shown]
	v_cvt_f32_i32_e32 v126, v126
	v_mul_lo_u32 v116, v116, v208
	v_mul_lo_u32 v118, v215, v206
	v_mad_u64_u32 v[128:129], s[20:21], v128, v206, v[116:117]
	v_mov_b32_e32 v116, 0
	v_dot4c_i32_i8_e32 v116, v196, v4
	v_mov_b32_e32 v4, 0
	v_dot4c_i32_i8_e32 v116, v197, v5
	v_dot4c_i32_i8_e32 v4, v200, v0
	;; [unrolled: 1-line block ×7, first 2 shown]
	v_mul_lo_u32 v2, v213, v204
	v_mul_lo_u32 v0, v116, v205
                                        ; kill: def $vgpr1 killed $sgpr0 killed $exec
	v_pk_fma_f32 v[80:81], v[176:177], v[126:127], v[80:81]
	v_mad_u64_u32 v[126:127], s[20:21], v214, v208, v[118:119]
	v_mad_u64_u32 v[2:3], s[20:21], v212, v205, v[2:3]
	;; [unrolled: 1-line block ×3, first 2 shown]
	v_cvt_f32_i32_e32 v127, v128
	v_cvt_f32_i32_e32 v126, v126
	;; [unrolled: 1-line block ×4, first 2 shown]
	v_pk_mul_f32 v[176:177], v[120:121], v[124:125] op_sel_hi:[0,1]
	v_pk_mul_f32 v[4:5], v[122:123], v[124:125] op_sel_hi:[0,1]
	v_pk_fma_f32 v[90:91], v[176:177], v[126:127], v[90:91]
	v_pk_fma_f32 v[102:103], v[4:5], v[0:1], v[102:103]
	s_mov_b32 s21, s19
	s_cbranch_scc1 .LBB149_14
; %bb.15:                               ;   in Loop: Header=BB149_6 Depth=1
	s_barrier
	s_branch .LBB149_5
.LBB149_16:
	v_cvt_pk_f16_f32 v22, v48, v49
	v_cvt_pk_f16_f32 v21, v104, v105
	;; [unrolled: 1-line block ×16, first 2 shown]
	v_mov_b32_e32 v5, v13
.LBB149_17:
	v_cmp_gt_u32_e32 vcc, s8, v59
	s_and_saveexec_b64 s[0:1], vcc
	s_cbranch_execz .LBB149_68
; %bb.18:
	v_add_u32_e32 v0, s6, v9
	v_mul_lo_u32 v9, v59, s10
	v_cmp_gt_u32_e32 vcc, s10, v0
	s_and_saveexec_b64 s[0:1], vcc
	s_cbranch_execz .LBB149_20
; %bb.19:
	v_add_u32_e32 v6, v0, v9
	v_mov_b32_e32 v7, 0
	s_waitcnt lgkmcnt(0)
	v_lshl_add_u64 v[6:7], v[6:7], 1, s[12:13]
	global_store_short v[6:7], v22, off
.LBB149_20:
	s_or_b64 exec, exec, s[0:1]
	v_add_u32_e32 v6, 32, v0
	v_cmp_gt_u32_e64 s[0:1], s10, v6
	s_and_saveexec_b64 s[2:3], s[0:1]
	s_cbranch_execz .LBB149_22
; %bb.21:
	v_add_u32_e32 v24, v6, v9
	v_mov_b32_e32 v25, 0
	s_waitcnt lgkmcnt(0)
	v_lshl_add_u64 v[24:25], v[24:25], 1, s[12:13]
	global_store_short v[24:25], v21, off
.LBB149_22:
	s_or_b64 exec, exec, s[2:3]
	v_add_u32_e32 v7, 64, v0
	v_cmp_gt_u32_e64 s[2:3], s10, v7
	s_and_saveexec_b64 s[4:5], s[2:3]
	s_cbranch_execz .LBB149_24
; %bb.23:
	v_add_u32_e32 v24, v7, v9
	v_mov_b32_e32 v25, 0
	s_waitcnt lgkmcnt(0)
	v_lshl_add_u64 v[24:25], v[24:25], 1, s[12:13]
	global_store_short v[24:25], v20, off
.LBB149_24:
	s_or_b64 exec, exec, s[4:5]
	v_add_u32_e32 v8, 0x60, v0
	v_cmp_gt_u32_e64 s[4:5], s10, v8
	s_and_saveexec_b64 s[6:7], s[4:5]
	s_cbranch_execz .LBB149_26
; %bb.25:
	v_add_u32_e32 v24, v8, v9
	v_mov_b32_e32 v25, 0
	s_waitcnt lgkmcnt(0)
	v_lshl_add_u64 v[24:25], v[24:25], 1, s[12:13]
	global_store_short v[24:25], v19, off
.LBB149_26:
	s_or_b64 exec, exec, s[6:7]
	v_add3_u32 v9, v5, s11, 8
	v_cmp_gt_u32_e64 s[6:7], s8, v9
	s_and_b64 exec, exec, s[6:7]
	s_cbranch_execz .LBB149_68
; %bb.27:
	v_mul_lo_u32 v9, v9, s10
	s_and_saveexec_b64 s[6:7], vcc
	s_cbranch_execnz .LBB149_69
; %bb.28:
	s_or_b64 exec, exec, s[6:7]
	s_and_saveexec_b64 s[6:7], s[0:1]
	s_cbranch_execnz .LBB149_70
.LBB149_29:
	s_or_b64 exec, exec, s[6:7]
	s_and_saveexec_b64 s[6:7], s[2:3]
	s_cbranch_execnz .LBB149_71
.LBB149_30:
	s_or_b64 exec, exec, s[6:7]
	s_and_saveexec_b64 s[6:7], s[4:5]
	s_cbranch_execz .LBB149_32
.LBB149_31:
	v_add_u32_e32 v20, v9, v8
	v_mov_b32_e32 v21, 0
	s_waitcnt lgkmcnt(0)
	v_lshl_add_u64 v[20:21], v[20:21], 1, s[12:13]
	global_store_short_d16_hi v[20:21], v19, off
.LBB149_32:
	s_or_b64 exec, exec, s[6:7]
	v_add3_u32 v9, v5, s11, 16
	v_cmp_gt_u32_e64 s[6:7], s8, v9
	s_and_b64 exec, exec, s[6:7]
	s_cbranch_execz .LBB149_68
; %bb.33:
	v_mul_lo_u32 v9, v9, s10
	s_and_saveexec_b64 s[6:7], vcc
	s_cbranch_execnz .LBB149_72
; %bb.34:
	s_or_b64 exec, exec, s[6:7]
	s_and_saveexec_b64 s[6:7], s[0:1]
	s_cbranch_execnz .LBB149_73
.LBB149_35:
	s_or_b64 exec, exec, s[6:7]
	s_and_saveexec_b64 s[6:7], s[2:3]
	s_cbranch_execnz .LBB149_74
.LBB149_36:
	s_or_b64 exec, exec, s[6:7]
	s_and_saveexec_b64 s[6:7], s[4:5]
	s_cbranch_execz .LBB149_38
.LBB149_37:
	v_add_u32_e32 v20, v9, v8
	v_mov_b32_e32 v21, 0
	s_waitcnt lgkmcnt(0)
	v_lshl_add_u64 v[20:21], v[20:21], 1, s[12:13]
	global_store_short v[20:21], v15, off
.LBB149_38:
	s_or_b64 exec, exec, s[6:7]
	v_add3_u32 v9, v5, s11, 24
	v_cmp_gt_u32_e64 s[6:7], s8, v9
	s_and_b64 exec, exec, s[6:7]
	s_cbranch_execz .LBB149_68
; %bb.39:
	v_mul_lo_u32 v9, v9, s10
	s_and_saveexec_b64 s[6:7], vcc
	s_cbranch_execnz .LBB149_75
; %bb.40:
	s_or_b64 exec, exec, s[6:7]
	s_and_saveexec_b64 s[6:7], s[0:1]
	s_cbranch_execnz .LBB149_76
.LBB149_41:
	s_or_b64 exec, exec, s[6:7]
	s_and_saveexec_b64 s[6:7], s[2:3]
	s_cbranch_execnz .LBB149_77
.LBB149_42:
	s_or_b64 exec, exec, s[6:7]
	s_and_saveexec_b64 s[6:7], s[4:5]
	s_cbranch_execz .LBB149_44
.LBB149_43:
	v_add_u32_e32 v16, v9, v8
	v_mov_b32_e32 v17, 0
	s_waitcnt lgkmcnt(0)
	v_lshl_add_u64 v[16:17], v[16:17], 1, s[12:13]
	global_store_short_d16_hi v[16:17], v15, off
.LBB149_44:
	s_or_b64 exec, exec, s[6:7]
	v_add3_u32 v9, v5, s11, 32
	v_cmp_gt_u32_e64 s[6:7], s8, v9
	s_and_b64 exec, exec, s[6:7]
	s_cbranch_execz .LBB149_68
; %bb.45:
	v_mul_lo_u32 v9, v9, s10
	s_and_saveexec_b64 s[6:7], vcc
	s_cbranch_execnz .LBB149_78
; %bb.46:
	s_or_b64 exec, exec, s[6:7]
	s_and_saveexec_b64 s[6:7], s[0:1]
	s_cbranch_execnz .LBB149_79
.LBB149_47:
	s_or_b64 exec, exec, s[6:7]
	s_and_saveexec_b64 s[6:7], s[2:3]
	s_cbranch_execnz .LBB149_80
.LBB149_48:
	s_or_b64 exec, exec, s[6:7]
	s_and_saveexec_b64 s[6:7], s[4:5]
	s_cbranch_execz .LBB149_50
.LBB149_49:
	v_add_u32_e32 v16, v9, v8
	v_mov_b32_e32 v17, 0
	s_waitcnt lgkmcnt(0)
	v_lshl_add_u64 v[16:17], v[16:17], 1, s[12:13]
	global_store_short v[16:17], v10, off
.LBB149_50:
	s_or_b64 exec, exec, s[6:7]
	v_add3_u32 v9, v5, s11, 40
	v_cmp_gt_u32_e64 s[6:7], s8, v9
	s_and_b64 exec, exec, s[6:7]
	s_cbranch_execz .LBB149_68
; %bb.51:
	v_mul_lo_u32 v9, v9, s10
	s_and_saveexec_b64 s[6:7], vcc
	s_cbranch_execnz .LBB149_81
; %bb.52:
	s_or_b64 exec, exec, s[6:7]
	s_and_saveexec_b64 s[6:7], s[0:1]
	s_cbranch_execnz .LBB149_82
.LBB149_53:
	s_or_b64 exec, exec, s[6:7]
	s_and_saveexec_b64 s[6:7], s[2:3]
	s_cbranch_execnz .LBB149_83
.LBB149_54:
	s_or_b64 exec, exec, s[6:7]
	s_and_saveexec_b64 s[6:7], s[4:5]
	s_cbranch_execz .LBB149_56
.LBB149_55:
	v_add_u32_e32 v12, v9, v8
	v_mov_b32_e32 v13, 0
	s_waitcnt lgkmcnt(0)
	v_lshl_add_u64 v[12:13], v[12:13], 1, s[12:13]
	global_store_short_d16_hi v[12:13], v10, off
.LBB149_56:
	s_or_b64 exec, exec, s[6:7]
	v_add3_u32 v9, v5, s11, 48
	v_cmp_gt_u32_e64 s[6:7], s8, v9
	s_and_b64 exec, exec, s[6:7]
	s_cbranch_execz .LBB149_68
; %bb.57:
	v_mul_lo_u32 v9, v9, s10
	s_and_saveexec_b64 s[6:7], vcc
	s_cbranch_execnz .LBB149_84
; %bb.58:
	s_or_b64 exec, exec, s[6:7]
	s_and_saveexec_b64 s[6:7], s[0:1]
	s_cbranch_execnz .LBB149_85
.LBB149_59:
	s_or_b64 exec, exec, s[6:7]
	s_and_saveexec_b64 s[6:7], s[2:3]
	s_cbranch_execnz .LBB149_86
.LBB149_60:
	s_or_b64 exec, exec, s[6:7]
	s_and_saveexec_b64 s[6:7], s[4:5]
	s_cbranch_execz .LBB149_62
.LBB149_61:
	v_add_u32_e32 v10, v9, v8
	v_mov_b32_e32 v11, 0
	s_waitcnt lgkmcnt(0)
	v_lshl_add_u64 v[10:11], v[10:11], 1, s[12:13]
	global_store_short v[10:11], v1, off
.LBB149_62:
	s_or_b64 exec, exec, s[6:7]
	v_add3_u32 v5, v5, s11, 56
	v_cmp_gt_u32_e64 s[6:7], s8, v5
	s_and_b64 exec, exec, s[6:7]
	s_cbranch_execz .LBB149_68
; %bb.63:
	v_mul_lo_u32 v5, v5, s10
	s_and_saveexec_b64 s[6:7], vcc
	s_cbranch_execnz .LBB149_87
; %bb.64:
	s_or_b64 exec, exec, s[6:7]
	s_and_saveexec_b64 s[6:7], s[0:1]
	s_cbranch_execnz .LBB149_88
.LBB149_65:
	s_or_b64 exec, exec, s[6:7]
	s_and_saveexec_b64 s[0:1], s[2:3]
	s_cbranch_execnz .LBB149_89
.LBB149_66:
	s_or_b64 exec, exec, s[0:1]
	s_and_b64 exec, exec, s[4:5]
	s_cbranch_execz .LBB149_68
.LBB149_67:
	v_add_u32_e32 v2, v5, v8
	v_mov_b32_e32 v3, 0
	s_waitcnt lgkmcnt(0)
	v_lshl_add_u64 v[2:3], v[2:3], 1, s[12:13]
	global_store_short_d16_hi v[2:3], v1, off
.LBB149_68:
	s_endpgm
.LBB149_69:
	v_add_u32_e32 v24, v9, v0
	v_mov_b32_e32 v25, 0
	s_waitcnt lgkmcnt(0)
	v_lshl_add_u64 v[24:25], v[24:25], 1, s[12:13]
	global_store_short_d16_hi v[24:25], v22, off
	s_or_b64 exec, exec, s[6:7]
	s_and_saveexec_b64 s[6:7], s[0:1]
	s_cbranch_execz .LBB149_29
.LBB149_70:
	v_add_u32_e32 v22, v9, v6
	v_mov_b32_e32 v23, 0
	s_waitcnt lgkmcnt(0)
	v_lshl_add_u64 v[22:23], v[22:23], 1, s[12:13]
	global_store_short_d16_hi v[22:23], v21, off
	s_or_b64 exec, exec, s[6:7]
	s_and_saveexec_b64 s[6:7], s[2:3]
	s_cbranch_execz .LBB149_30
.LBB149_71:
	v_add_u32_e32 v22, v9, v7
	v_mov_b32_e32 v23, 0
	s_waitcnt lgkmcnt(0)
	v_lshl_add_u64 v[22:23], v[22:23], 1, s[12:13]
	global_store_short_d16_hi v[22:23], v20, off
	s_or_b64 exec, exec, s[6:7]
	s_and_saveexec_b64 s[6:7], s[4:5]
	s_cbranch_execnz .LBB149_31
	s_branch .LBB149_32
.LBB149_72:
	v_add_u32_e32 v20, v9, v0
	v_mov_b32_e32 v21, 0
	s_waitcnt lgkmcnt(0)
	v_lshl_add_u64 v[20:21], v[20:21], 1, s[12:13]
	global_store_short v[20:21], v18, off
	s_or_b64 exec, exec, s[6:7]
	s_and_saveexec_b64 s[6:7], s[0:1]
	s_cbranch_execz .LBB149_35
.LBB149_73:
	v_add_u32_e32 v20, v9, v6
	v_mov_b32_e32 v21, 0
	s_waitcnt lgkmcnt(0)
	v_lshl_add_u64 v[20:21], v[20:21], 1, s[12:13]
	global_store_short v[20:21], v17, off
	s_or_b64 exec, exec, s[6:7]
	s_and_saveexec_b64 s[6:7], s[2:3]
	s_cbranch_execz .LBB149_36
.LBB149_74:
	v_add_u32_e32 v20, v9, v7
	v_mov_b32_e32 v21, 0
	s_waitcnt lgkmcnt(0)
	v_lshl_add_u64 v[20:21], v[20:21], 1, s[12:13]
	global_store_short v[20:21], v16, off
	s_or_b64 exec, exec, s[6:7]
	s_and_saveexec_b64 s[6:7], s[4:5]
	s_cbranch_execnz .LBB149_37
	s_branch .LBB149_38
.LBB149_75:
	v_add_u32_e32 v20, v9, v0
	v_mov_b32_e32 v21, 0
	s_waitcnt lgkmcnt(0)
	v_lshl_add_u64 v[20:21], v[20:21], 1, s[12:13]
	global_store_short_d16_hi v[20:21], v18, off
	s_or_b64 exec, exec, s[6:7]
	s_and_saveexec_b64 s[6:7], s[0:1]
	s_cbranch_execz .LBB149_41
.LBB149_76:
	v_add_u32_e32 v18, v9, v6
	v_mov_b32_e32 v19, 0
	s_waitcnt lgkmcnt(0)
	v_lshl_add_u64 v[18:19], v[18:19], 1, s[12:13]
	global_store_short_d16_hi v[18:19], v17, off
	s_or_b64 exec, exec, s[6:7]
	s_and_saveexec_b64 s[6:7], s[2:3]
	s_cbranch_execz .LBB149_42
.LBB149_77:
	v_add_u32_e32 v18, v9, v7
	v_mov_b32_e32 v19, 0
	s_waitcnt lgkmcnt(0)
	v_lshl_add_u64 v[18:19], v[18:19], 1, s[12:13]
	global_store_short_d16_hi v[18:19], v16, off
	s_or_b64 exec, exec, s[6:7]
	s_and_saveexec_b64 s[6:7], s[4:5]
	s_cbranch_execnz .LBB149_43
	s_branch .LBB149_44
.LBB149_78:
	v_add_u32_e32 v16, v9, v0
	v_mov_b32_e32 v17, 0
	s_waitcnt lgkmcnt(0)
	v_lshl_add_u64 v[16:17], v[16:17], 1, s[12:13]
	global_store_short v[16:17], v14, off
	s_or_b64 exec, exec, s[6:7]
	s_and_saveexec_b64 s[6:7], s[0:1]
	s_cbranch_execz .LBB149_47
.LBB149_79:
	v_add_u32_e32 v16, v9, v6
	v_mov_b32_e32 v17, 0
	s_waitcnt lgkmcnt(0)
	v_lshl_add_u64 v[16:17], v[16:17], 1, s[12:13]
	global_store_short v[16:17], v12, off
	s_or_b64 exec, exec, s[6:7]
	s_and_saveexec_b64 s[6:7], s[2:3]
	s_cbranch_execz .LBB149_48
.LBB149_80:
	v_add_u32_e32 v16, v9, v7
	v_mov_b32_e32 v17, 0
	s_waitcnt lgkmcnt(0)
	v_lshl_add_u64 v[16:17], v[16:17], 1, s[12:13]
	global_store_short v[16:17], v11, off
	s_or_b64 exec, exec, s[6:7]
	s_and_saveexec_b64 s[6:7], s[4:5]
	s_cbranch_execnz .LBB149_49
	s_branch .LBB149_50
.LBB149_81:
	v_add_u32_e32 v16, v9, v0
	v_mov_b32_e32 v17, 0
	s_waitcnt lgkmcnt(0)
	v_lshl_add_u64 v[16:17], v[16:17], 1, s[12:13]
	global_store_short_d16_hi v[16:17], v14, off
	s_or_b64 exec, exec, s[6:7]
	s_and_saveexec_b64 s[6:7], s[0:1]
	s_cbranch_execz .LBB149_53
.LBB149_82:
	v_add_u32_e32 v14, v9, v6
	v_mov_b32_e32 v15, 0
	s_waitcnt lgkmcnt(0)
	v_lshl_add_u64 v[14:15], v[14:15], 1, s[12:13]
	global_store_short_d16_hi v[14:15], v12, off
	s_or_b64 exec, exec, s[6:7]
	s_and_saveexec_b64 s[6:7], s[2:3]
	s_cbranch_execz .LBB149_54
.LBB149_83:
	v_add_u32_e32 v12, v9, v7
	v_mov_b32_e32 v13, 0
	s_waitcnt lgkmcnt(0)
	v_lshl_add_u64 v[12:13], v[12:13], 1, s[12:13]
	global_store_short_d16_hi v[12:13], v11, off
	s_or_b64 exec, exec, s[6:7]
	s_and_saveexec_b64 s[6:7], s[4:5]
	s_cbranch_execnz .LBB149_55
	s_branch .LBB149_56
.LBB149_84:
	v_add_u32_e32 v10, v9, v0
	v_mov_b32_e32 v11, 0
	s_waitcnt lgkmcnt(0)
	v_lshl_add_u64 v[10:11], v[10:11], 1, s[12:13]
	global_store_short v[10:11], v4, off
	s_or_b64 exec, exec, s[6:7]
	s_and_saveexec_b64 s[6:7], s[0:1]
	s_cbranch_execz .LBB149_59
.LBB149_85:
	v_add_u32_e32 v10, v9, v6
	v_mov_b32_e32 v11, 0
	s_waitcnt lgkmcnt(0)
	v_lshl_add_u64 v[10:11], v[10:11], 1, s[12:13]
	global_store_short v[10:11], v3, off
	s_or_b64 exec, exec, s[6:7]
	s_and_saveexec_b64 s[6:7], s[2:3]
	s_cbranch_execz .LBB149_60
.LBB149_86:
	v_add_u32_e32 v10, v9, v7
	v_mov_b32_e32 v11, 0
	s_waitcnt lgkmcnt(0)
	v_lshl_add_u64 v[10:11], v[10:11], 1, s[12:13]
	global_store_short v[10:11], v2, off
	s_or_b64 exec, exec, s[6:7]
	s_and_saveexec_b64 s[6:7], s[4:5]
	s_cbranch_execnz .LBB149_61
	s_branch .LBB149_62
.LBB149_87:
	v_add_u32_e32 v10, v5, v0
	v_mov_b32_e32 v11, 0
	s_waitcnt lgkmcnt(0)
	v_lshl_add_u64 v[10:11], v[10:11], 1, s[12:13]
	global_store_short_d16_hi v[10:11], v4, off
	s_or_b64 exec, exec, s[6:7]
	s_and_saveexec_b64 s[6:7], s[0:1]
	s_cbranch_execz .LBB149_65
.LBB149_88:
	v_add_u32_e32 v10, v5, v6
	v_mov_b32_e32 v11, 0
	s_waitcnt lgkmcnt(0)
	v_lshl_add_u64 v[10:11], v[10:11], 1, s[12:13]
	global_store_short_d16_hi v[10:11], v3, off
	s_or_b64 exec, exec, s[6:7]
	s_and_saveexec_b64 s[0:1], s[2:3]
	s_cbranch_execz .LBB149_66
.LBB149_89:
	v_add_u32_e32 v6, v5, v7
	v_mov_b32_e32 v7, 0
	s_waitcnt lgkmcnt(0)
	v_lshl_add_u64 v[6:7], v[6:7], 1, s[12:13]
	global_store_short_d16_hi v[6:7], v2, off
	s_or_b64 exec, exec, s[0:1]
	s_and_b64 exec, exec, s[4:5]
	s_cbranch_execnz .LBB149_67
	s_branch .LBB149_68
	.section	.rodata,"a",@progbits
	.p2align	6, 0x0
	.amdhsa_kernel _ZL12mul_mat_q3_KIN3c104HalfELb0EEvPKvS3_PT_iiiii
		.amdhsa_group_segment_fixed_size 39840
		.amdhsa_private_segment_fixed_size 0
		.amdhsa_kernarg_size 44
		.amdhsa_user_sgpr_count 2
		.amdhsa_user_sgpr_dispatch_ptr 0
		.amdhsa_user_sgpr_queue_ptr 0
		.amdhsa_user_sgpr_kernarg_segment_ptr 1
		.amdhsa_user_sgpr_dispatch_id 0
		.amdhsa_user_sgpr_kernarg_preload_length 0
		.amdhsa_user_sgpr_kernarg_preload_offset 0
		.amdhsa_user_sgpr_private_segment_size 0
		.amdhsa_uses_dynamic_stack 0
		.amdhsa_enable_private_segment 0
		.amdhsa_system_sgpr_workgroup_id_x 1
		.amdhsa_system_sgpr_workgroup_id_y 1
		.amdhsa_system_sgpr_workgroup_id_z 0
		.amdhsa_system_sgpr_workgroup_info 0
		.amdhsa_system_vgpr_workitem_id 1
		.amdhsa_next_free_vgpr 226
		.amdhsa_next_free_sgpr 96
		.amdhsa_accum_offset 228
		.amdhsa_reserve_vcc 1
		.amdhsa_float_round_mode_32 0
		.amdhsa_float_round_mode_16_64 0
		.amdhsa_float_denorm_mode_32 3
		.amdhsa_float_denorm_mode_16_64 3
		.amdhsa_dx10_clamp 1
		.amdhsa_ieee_mode 1
		.amdhsa_fp16_overflow 0
		.amdhsa_tg_split 0
		.amdhsa_exception_fp_ieee_invalid_op 0
		.amdhsa_exception_fp_denorm_src 0
		.amdhsa_exception_fp_ieee_div_zero 0
		.amdhsa_exception_fp_ieee_overflow 0
		.amdhsa_exception_fp_ieee_underflow 0
		.amdhsa_exception_fp_ieee_inexact 0
		.amdhsa_exception_int_div_zero 0
	.end_amdhsa_kernel
	.section	.text._ZL12mul_mat_q3_KIN3c104HalfELb0EEvPKvS3_PT_iiiii,"axG",@progbits,_ZL12mul_mat_q3_KIN3c104HalfELb0EEvPKvS3_PT_iiiii,comdat
.Lfunc_end149:
	.size	_ZL12mul_mat_q3_KIN3c104HalfELb0EEvPKvS3_PT_iiiii, .Lfunc_end149-_ZL12mul_mat_q3_KIN3c104HalfELb0EEvPKvS3_PT_iiiii
                                        ; -- End function
	.set _ZL12mul_mat_q3_KIN3c104HalfELb0EEvPKvS3_PT_iiiii.num_vgpr, 226
	.set _ZL12mul_mat_q3_KIN3c104HalfELb0EEvPKvS3_PT_iiiii.num_agpr, 0
	.set _ZL12mul_mat_q3_KIN3c104HalfELb0EEvPKvS3_PT_iiiii.numbered_sgpr, 26
	.set _ZL12mul_mat_q3_KIN3c104HalfELb0EEvPKvS3_PT_iiiii.num_named_barrier, 0
	.set _ZL12mul_mat_q3_KIN3c104HalfELb0EEvPKvS3_PT_iiiii.private_seg_size, 0
	.set _ZL12mul_mat_q3_KIN3c104HalfELb0EEvPKvS3_PT_iiiii.uses_vcc, 1
	.set _ZL12mul_mat_q3_KIN3c104HalfELb0EEvPKvS3_PT_iiiii.uses_flat_scratch, 0
	.set _ZL12mul_mat_q3_KIN3c104HalfELb0EEvPKvS3_PT_iiiii.has_dyn_sized_stack, 0
	.set _ZL12mul_mat_q3_KIN3c104HalfELb0EEvPKvS3_PT_iiiii.has_recursion, 0
	.set _ZL12mul_mat_q3_KIN3c104HalfELb0EEvPKvS3_PT_iiiii.has_indirect_call, 0
	.section	.AMDGPU.csdata,"",@progbits
; Kernel info:
; codeLenInByte = 31284
; TotalNumSgprs: 32
; NumVgprs: 226
; NumAgprs: 0
; TotalNumVgprs: 226
; ScratchSize: 0
; MemoryBound: 0
; FloatMode: 240
; IeeeMode: 1
; LDSByteSize: 39840 bytes/workgroup (compile time only)
; SGPRBlocks: 12
; VGPRBlocks: 28
; NumSGPRsForWavesPerEU: 102
; NumVGPRsForWavesPerEU: 226
; AccumOffset: 228
; Occupancy: 2
; WaveLimiterHint : 0
; COMPUTE_PGM_RSRC2:SCRATCH_EN: 0
; COMPUTE_PGM_RSRC2:USER_SGPR: 2
; COMPUTE_PGM_RSRC2:TRAP_HANDLER: 0
; COMPUTE_PGM_RSRC2:TGID_X_EN: 1
; COMPUTE_PGM_RSRC2:TGID_Y_EN: 1
; COMPUTE_PGM_RSRC2:TGID_Z_EN: 0
; COMPUTE_PGM_RSRC2:TIDIG_COMP_CNT: 1
; COMPUTE_PGM_RSRC3_GFX90A:ACCUM_OFFSET: 56
; COMPUTE_PGM_RSRC3_GFX90A:TG_SPLIT: 0
	.section	.text._ZL12mul_mat_q3_KIN3c104HalfELb1EEvPKvS3_PT_iiiii,"axG",@progbits,_ZL12mul_mat_q3_KIN3c104HalfELb1EEvPKvS3_PT_iiiii,comdat
	.globl	_ZL12mul_mat_q3_KIN3c104HalfELb1EEvPKvS3_PT_iiiii ; -- Begin function _ZL12mul_mat_q3_KIN3c104HalfELb1EEvPKvS3_PT_iiiii
	.p2align	8
	.type	_ZL12mul_mat_q3_KIN3c104HalfELb1EEvPKvS3_PT_iiiii,@function
_ZL12mul_mat_q3_KIN3c104HalfELb1EEvPKvS3_PT_iiiii: ; @_ZL12mul_mat_q3_KIN3c104HalfELb1EEvPKvS3_PT_iiiii
; %bb.0:
	s_load_dwordx4 s[8:11], s[0:1], 0x18
	s_load_dword s14, s[0:1], 0x28
	s_lshl_b32 s15, s3, 6
	v_bfe_u32 v45, v0, 10, 10
	s_waitcnt lgkmcnt(0)
	s_cmpk_gt_i32 s8, 0xff
	s_cbranch_scc1 .LBB150_2
; %bb.1:
	v_bfe_u32 v5, v0, 10, 10
	v_and_b32_e32 v9, 0x3ff, v0
	v_add_u32_e32 v15, s15, v5
	s_mov_b64 s[4:5], 0
	s_branch .LBB150_3
.LBB150_2:
	s_mov_b64 s[4:5], -1
                                        ; implicit-def: $vgpr5
                                        ; implicit-def: $vgpr9
                                        ; implicit-def: $vgpr15
.LBB150_3:
	s_load_dwordx2 s[12:13], s[0:1], 0x10
	s_lshl_b32 s6, s2, 7
	s_mov_b32 s7, 0
	v_mov_b32_e32 v1, 0
	s_andn2_b64 vcc, exec, s[4:5]
	v_mov_b32_e32 v10, 0
	v_mov_b32_e32 v14, 0
	;; [unrolled: 1-line block ×15, first 2 shown]
	s_cbranch_vccnz .LBB150_17
; %bb.4:
	s_ashr_i32 s4, s8, 31
	s_load_dwordx4 s[0:3], s[0:1], 0x0
	s_lshr_b32 s4, s4, 24
	s_add_i32 s4, s8, s4
	s_ashr_i32 s5, s11, 31
	s_ashr_i32 s4, s4, 8
	s_lshr_b32 s5, s5, 27
	s_add_i32 s5, s11, s5
	s_mul_i32 s8, s4, s6
	s_ashr_i32 s11, s5, 5
	s_mul_hi_i32 s16, s8, 0x6e
	s_mulk_i32 s8, 0x6e
	s_waitcnt lgkmcnt(0)
	s_add_u32 s0, s0, s8
	s_addc_u32 s1, s1, s16
	s_not_b32 s8, s6
	s_add_i32 s9, s9, s8
	v_add_u32_e32 v1, 64, v45
	v_min_i32_e32 v78, s9, v1
	v_add_u32_e32 v1, 0x48, v45
	v_min_i32_e32 v80, s9, v1
	;; [unrolled: 2-line block ×3, first 2 shown]
	v_add_u32_e32 v1, 0x58, v45
	v_and_b32_e32 v9, 0x3ff, v0
	v_min_i32_e32 v84, s9, v1
	v_add_u32_e32 v1, 0x60, v45
	v_and_b32_e32 v3, 15, v0
	v_min_i32_e32 v56, s9, v45
	v_lshlrev_b32_e32 v2, 2, v9
	s_movk_i32 s8, 0x84
	v_min_i32_e32 v86, s9, v1
	v_add_u32_e32 v1, 0x68, v45
	v_mad_u64_u32 v[12:13], s[16:17], v56, s8, v[2:3]
	v_min_i32_e32 v88, s9, v1
	v_add_u32_e32 v1, 0x70, v45
	v_min_i32_e32 v90, s9, v1
	v_add_u32_e32 v1, 0x78, v45
	v_lshlrev_b32_e32 v94, 4, v45
	v_bfe_u32 v13, v0, 1, 9
	v_min_i32_e32 v92, s9, v1
	v_add_u32_e32 v1, v13, v94
	v_and_b32_e32 v1, 0x7f, v1
	v_min_i32_e32 v96, s9, v1
	v_ashrrev_i32_e32 v1, 31, v96
	v_lshrrev_b32_e32 v1, 28, v1
	v_add_u32_e32 v52, 8, v45
	v_add_u32_e32 v53, 16, v45
	;; [unrolled: 1-line block ×8, first 2 shown]
	v_min_i32_e32 v58, s9, v52
	v_min_i32_e32 v60, s9, v53
	;; [unrolled: 1-line block ×7, first 2 shown]
	v_and_b32_e32 v44, 1, v0
	v_ashrrev_i32_e32 v1, 4, v1
	v_bfe_u32 v8, v0, 4, 6
	v_mad_u64_u32 v[14:15], s[16:17], v58, s8, v[2:3]
	v_mad_u64_u32 v[16:17], s[16:17], v60, s8, v[2:3]
	;; [unrolled: 1-line block ×15, first 2 shown]
	v_lshlrev_b32_e32 v1, 2, v1
	v_lshlrev_b32_e32 v4, 2, v44
	s_mov_b32 s8, 0x9380
	v_add3_u32 v1, v1, v4, s8
	v_lshl_add_u32 v4, v45, 1, v8
	v_min_i32_e32 v98, s9, v4
	v_lshrrev_b32_e32 v5, 31, v98
	v_add_lshl_u32 v5, v98, v5, 1
	v_lshlrev_b32_e32 v10, 2, v3
	v_and_b32_e32 v5, -4, v5
	s_movk_i32 s8, 0x4200
	v_add3_u32 v33, v5, v10, s8
	v_add_u32_e32 v5, 16, v4
	v_min_i32_e32 v100, s9, v5
	v_lshrrev_b32_e32 v5, 31, v100
	v_add_lshl_u32 v5, v100, v5, 1
	v_and_b32_e32 v5, -4, v5
	v_add3_u32 v37, v5, v10, s8
	v_add_u32_e32 v5, 32, v4
	v_min_i32_e32 v102, s9, v5
	v_lshrrev_b32_e32 v5, 31, v102
	v_add_lshl_u32 v5, v102, v5, 1
	v_and_b32_e32 v5, -4, v5
	;; [unrolled: 6-line block ×5, first 2 shown]
	v_add3_u32 v65, v5, v10, s8
	v_add_u32_e32 v5, 0x60, v4
	v_add_u32_e32 v4, 0x70, v4
	v_min_i32_e32 v112, s9, v4
	v_min_i32_e32 v110, s9, v5
	v_lshrrev_b32_e32 v4, 31, v112
	v_lshrrev_b32_e32 v5, 31, v110
	v_add_lshl_u32 v4, v112, v4, 1
	v_add_lshl_u32 v5, v110, v5, 1
	v_and_b32_e32 v4, -4, v4
	v_and_b32_e32 v5, -4, v5
	v_add3_u32 v75, v4, v10, s8
	v_bfe_u32 v17, v0, 3, 7
	v_and_b32_e32 v4, 3, v0
	v_add3_u32 v69, v5, v10, s8
	v_lshl_add_u32 v73, v45, 2, v17
	v_add_u16_e32 v5, -2, v4
	v_cmp_gt_u32_e32 vcc, 2, v4
	v_mov_b32_e32 v6, 2
	v_min_i32_e32 v115, s9, v73
	v_cndmask_b32_e32 v5, v5, v4, vcc
	v_lshlrev_b32_sdwa v48, v6, v5 dst_sel:DWORD dst_unused:UNUSED_PAD src0_sel:DWORD src1_sel:BYTE_0
	v_ashrrev_i32_e32 v5, 31, v115
	v_lshrrev_b32_e32 v5, 30, v5
	v_and_b32_e32 v114, 7, v0
	v_add_u32_e32 v5, v115, v5
	v_lshlrev_b32_e32 v46, 2, v114
	v_and_b32_e32 v5, -4, v5
	s_mov_b32 s18, 0x8300
	v_add3_u32 v79, v5, v46, s18
	v_and_b32_e32 v5, 31, v0
	v_mov_b32_e32 v21, 0x6300
	v_lshl_or_b32 v21, v5, 2, v21
	v_bfe_u32 v5, v0, 2, 8
	v_lshl_add_u32 v5, v45, 3, v5
	v_and_b32_e32 v5, 63, v5
	s_add_i32 s16, s10, -1
	v_or_b32_e32 v23, s15, v5
	v_min_i32_e32 v23, s16, v23
	v_lshlrev_b32_e32 v19, 1, v4
	v_add_u32_e32 v15, s15, v45
	v_cvt_f64_i32_e32 v[6:7], s16
	v_mad_u64_u32 v[50:51], s[16:17], v23, s11, v[4:5]
	v_lshlrev_b32_e32 v4, 2, v4
	v_lshl_or_b32 v81, v5, 4, v4
	v_cvt_f64_u32_e32 v[4:5], v15
	v_min_f64 v[4:5], v[4:5], v[6:7]
	v_cvt_i32_f64_e32 v83, v[4:5]
	v_add_u32_e32 v4, 8, v15
	v_cvt_f64_u32_e32 v[4:5], v4
	v_min_f64 v[4:5], v[4:5], v[6:7]
	v_cvt_i32_f64_e32 v85, v[4:5]
	v_add_u32_e32 v4, 16, v15
	;; [unrolled: 4-line block ×7, first 2 shown]
	v_cvt_f64_u32_e32 v[4:5], v4
	v_min_f64 v[4:5], v[4:5], v[6:7]
	v_cvt_i32_f64_e32 v4, v[4:5]
	v_lshlrev_b32_e32 v5, 5, v9
	v_add_u32_e32 v6, 32, v9
	v_and_b32_e32 v0, 0xfc, v0
	v_add_u32_e32 v7, 64, v9
	v_add_u32_e32 v23, v5, v0
	v_and_b32_e32 v0, 0x1fc, v6
	v_add_u32_e32 v101, 0x60, v9
	;; [unrolled: 3-line block ×3, first 2 shown]
	v_and_b32_e32 v0, 0x1fc, v101
	v_add_u32_e32 v29, v5, v0
	v_add_u32_e32 v0, 32, v73
	v_min_i32_e32 v116, s9, v0
	v_ashrrev_i32_e32 v0, 31, v116
	v_lshrrev_b32_e32 v0, 30, v0
	v_add_u32_e32 v0, v116, v0
	v_and_b32_e32 v0, -4, v0
	v_add3_u32 v97, v0, v46, s18
	v_add_u32_e32 v0, 64, v73
	v_min_i32_e32 v117, s9, v0
	v_ashrrev_i32_e32 v0, 31, v117
	v_lshrrev_b32_e32 v0, 30, v0
	v_add_u32_e32 v0, v117, v0
	v_and_b32_e32 v0, -4, v0
	v_add3_u32 v103, v0, v46, s18
	v_add_u32_e32 v0, 0x60, v73
	v_min_i32_e32 v118, s9, v0
	v_ashrrev_i32_e32 v0, 31, v118
	v_lshrrev_b32_e32 v0, 30, v0
	v_add_u32_e32 v0, v118, v0
	v_mov_b32_e32 v11, 0
	v_lshlrev_b32_e32 v31, 3, v96
	v_lshlrev_b32_e32 v35, 6, v98
	;; [unrolled: 1-line block ×10, first 2 shown]
	v_and_b32_e32 v0, -4, v0
	v_cmp_lt_u32_e32 vcc, 7, v3
	v_add_u32_e32 v31, v1, v31
	v_add_u32_e32 v33, v33, v35
	;; [unrolled: 1-line block ×3, first 2 shown]
	v_lshlrev_b32_e32 v99, 5, v116
	v_add_u32_e32 v37, v41, v43
	v_add_u32_e32 v39, v57, v59
	;; [unrolled: 1-line block ×3, first 2 shown]
	v_lshlrev_b32_e32 v105, 5, v117
	v_add_u32_e32 v43, v65, v67
	v_add3_u32 v107, v0, v46, s18
	v_add_u32_e32 v51, v69, v71
	v_lshlrev_b32_e32 v109, 5, v118
	v_and_b32_e32 v0, 28, v2
	v_mov_b32_e32 v1, v11
	v_mul_lo_u32 v59, s11, v83
	v_lshlrev_b32_e32 v2, 7, v52
	v_mul_lo_u32 v63, s11, v87
	v_lshlrev_b32_e32 v111, 7, v53
	;; [unrolled: 2-line block ×7, first 2 shown]
	v_add_u32_e32 v75, v75, v77
	v_lshrrev_b32_e32 v74, 1, v6
	v_add_u32_e32 v77, v79, v5
	v_lshrrev_b32_e32 v5, 4, v6
	v_lshrrev_b32_e32 v120, 1, v7
	v_lshlrev_b32_e32 v83, 6, v6
	v_lshlrev_b32_e32 v87, 3, v6
	v_lshrrev_b32_e32 v89, 3, v6
	v_lshrrev_b32_e32 v6, 4, v7
	v_lshlrev_b32_e32 v91, 6, v7
	v_lshlrev_b32_e32 v93, 3, v7
	v_lshrrev_b32_e32 v95, 3, v7
	v_lshrrev_b32_e32 v7, 1, v101
	;; [unrolled: 1-line block ×3, first 2 shown]
	v_mov_b32_e32 v54, v11
	v_mov_b32_e32 v55, v11
	v_lshlrev_b32_e32 v164, 1, v9
	v_lshlrev_b32_e32 v166, 7, v45
	v_cndmask_b32_e64 v126, 0, 1, vcc
	v_cmp_lt_u32_e32 vcc, 3, v114
	s_movk_i32 s5, 0x6e
	v_mov_b32_e32 v47, v11
	s_movk_i32 s8, 0xff
	v_mov_b32_e32 v49, v11
	v_add_u32_e32 v57, 0x97a0, v81
	v_mul_lo_u32 v61, s11, v85
	v_add_u32_e32 v79, v97, v99
	v_add_u32_e32 v81, v103, v105
	v_add_u32_e32 v85, v107, v109
	v_lshlrev_b32_e32 v97, 6, v101
	v_lshlrev_b32_e32 v99, 3, v101
	v_lshrrev_b32_e32 v101, 3, v101
	v_lshl_add_u64 v[52:53], s[2:3], 0, v[0:1]
	v_add_u32_e32 v103, 0x97a0, v94
	s_mov_b32 s9, 0x30303030
	s_movk_i32 s11, 0xe000
	s_movk_i32 s16, 0x3f00
	v_add_u32_e32 v105, v21, v2
	v_add_u32_e32 v107, v21, v111
	;; [unrolled: 1-line block ×7, first 2 shown]
	v_lshlrev_b32_e32 v149, 2, v74
	v_lshlrev_b32_e32 v151, 2, v5
	;; [unrolled: 1-line block ×6, first 2 shown]
	v_mul_lo_u32 v56, v56, s4
	v_mul_lo_u32 v58, v58, s4
	;; [unrolled: 1-line block ×25, first 2 shown]
	v_and_b32_e32 v165, 4, v164
	v_mul_lo_u32 v106, v115, s4
	v_mul_lo_u32 v108, v116, s4
	;; [unrolled: 1-line block ×4, first 2 shown]
	v_mul_u32_u24_e32 v167, 0x84, v9
	v_lshlrev_b32_e32 v168, 6, v9
	v_add_u32_e32 v169, 0x8300, v23
	v_add_u32_e32 v170, 0x8700, v25
	;; [unrolled: 1-line block ×5, first 2 shown]
	v_cndmask_b32_e64 v128, 0, 1, vcc
	v_mov_b64_e32 v[120:121], v[54:55]
	v_mov_b64_e32 v[116:117], v[54:55]
	v_mov_b64_e32 v[114:115], v[54:55]
	v_mov_b64_e32 v[136:137], v[54:55]
	v_mov_b64_e32 v[130:131], v[54:55]
	v_mov_b64_e32 v[122:123], v[54:55]
	v_mov_b64_e32 v[118:119], v[54:55]
	v_mov_b64_e32 v[142:143], v[54:55]
	v_mov_b64_e32 v[138:139], v[54:55]
	v_mov_b64_e32 v[132:133], v[54:55]
	v_mov_b64_e32 v[124:125], v[54:55]
	v_mov_b64_e32 v[146:147], v[54:55]
	v_mov_b64_e32 v[144:145], v[54:55]
	v_mov_b64_e32 v[140:141], v[54:55]
	v_mov_b64_e32 v[134:135], v[54:55]
	s_branch .LBB150_6
.LBB150_5:                              ;   in Loop: Header=BB150_6 Depth=1
	s_add_i32 s7, s7, 2
	s_cmp_ge_i32 s7, s4
	s_cbranch_scc1 .LBB150_16
.LBB150_6:                              ; =>This Loop Header: Depth=1
                                        ;     Child Loop BB150_7 Depth 2
                                        ;     Child Loop BB150_9 Depth 2
	;; [unrolled: 1-line block ×4, first 2 shown]
	s_mul_i32 s18, s7, 0x6e
	s_mul_hi_u32 s17, s7, 0x6e
	s_add_u32 s18, s0, s18
	s_addc_u32 s19, s1, s17
	v_mov_b64_e32 v[0:1], s[18:19]
	v_mad_u64_u32 v[2:3], s[18:19], v8, s5, v[0:1]
	v_mad_i64_i32 v[4:5], s[18:19], v56, s5, v[2:3]
	v_mad_i64_i32 v[6:7], s[18:19], v58, s5, v[2:3]
	;; [unrolled: 1-line block ×8, first 2 shown]
	v_lshl_add_u64 v[4:5], v[4:5], 0, v[10:11]
	v_lshl_add_u64 v[6:7], v[6:7], 0, v[10:11]
	;; [unrolled: 1-line block ×8, first 2 shown]
	global_load_dword v148, v[4:5], off offset:32
	global_load_dword v150, v[6:7], off offset:32
	;; [unrolled: 1-line block ×7, first 2 shown]
	s_nop 0
	global_load_dword v178, v[178:179], off offset:32
	v_mad_i64_i32 v[4:5], s[18:19], v72, s5, v[2:3]
	v_mad_i64_i32 v[6:7], s[18:19], v74, s5, v[2:3]
	;; [unrolled: 1-line block ×8, first 2 shown]
	v_lshl_add_u64 v[4:5], v[4:5], 0, v[10:11]
	v_lshl_add_u64 v[176:177], v[176:177], 0, v[10:11]
	;; [unrolled: 1-line block ×8, first 2 shown]
	global_load_dword v179, v[4:5], off offset:32
	global_load_dword v183, v[6:7], off offset:32
	;; [unrolled: 1-line block ×6, first 2 shown]
	s_nop 0
	global_load_dword v176, v[176:177], off offset:32
	s_nop 0
	global_load_dword v177, v[2:3], off offset:32
	v_mad_i64_i32 v[2:3], s[18:19], v88, s5, v[0:1]
	v_mad_u64_u32 v[4:5], s[18:19], v126, s5, v[0:1]
	v_mad_u64_u32 v[2:3], s[18:19], v44, s5, v[2:3]
	v_lshl_add_u64 v[4:5], v[4:5], 0, v[46:47]
	v_mad_i64_i32 v[6:7], s[18:19], v90, s5, v[4:5]
	global_load_ushort v188, v[2:3], off offset:108
	global_load_dword v189, v[6:7], off
	v_mad_i64_i32 v[2:3], s[18:19], v92, s5, v[4:5]
	v_mad_i64_i32 v[156:157], s[18:19], v96, s5, v[4:5]
	;; [unrolled: 1-line block ×6, first 2 shown]
	global_load_dword v190, v[2:3], off
	global_load_dword v191, v[6:7], off
	s_nop 0
	global_load_dword v156, v[156:157], off
	s_nop 0
	;; [unrolled: 2-line block ×3, first 2 shown]
	global_load_dword v158, v[160:161], off
	global_load_dword v159, v[174:175], off
	v_mad_i64_i32 v[2:3], s[18:19], v104, s5, v[4:5]
	v_mad_u64_u32 v[0:1], s[18:19], v128, s5, v[0:1]
	global_load_dword v160, v[2:3], off
	v_mad_i64_i32 v[2:3], s[18:19], v106, s5, v[0:1]
	v_lshl_add_u64 v[4:5], v[2:3], 0, v[48:49]
	global_load_dword v161, v[4:5], off offset:96
	v_mad_i64_i32 v[4:5], s[18:19], v108, s5, v[0:1]
	v_mad_i64_i32 v[6:7], s[18:19], v110, s5, v[0:1]
	;; [unrolled: 1-line block ×3, first 2 shown]
	global_load_dword v174, v[0:1], off offset:104
	global_load_dword v175, v[6:7], off offset:104
	;; [unrolled: 1-line block ×4, first 2 shown]
	v_lshl_add_u64 v[2:3], v[4:5], 0, v[48:49]
	v_lshl_add_u64 v[4:5], v[6:7], 0, v[48:49]
	global_load_dword v194, v[2:3], off offset:96
	global_load_dword v195, v[4:5], off offset:96
	s_waitcnt vmcnt(31)
	ds_write_b32 v12, v148
	s_waitcnt vmcnt(30)
	ds_write_b32 v14, v150
	s_waitcnt vmcnt(29)
	ds_write_b32 v16, v152
	s_waitcnt vmcnt(28)
	ds_write_b32 v18, v154
	s_waitcnt vmcnt(27)
	ds_write_b32 v20, v180
	s_waitcnt vmcnt(26)
	ds_write_b32 v22, v181
	s_waitcnt vmcnt(25)
	ds_write_b32 v24, v182
	s_waitcnt vmcnt(24)
	ds_write_b32 v26, v178
	s_waitcnt vmcnt(23)
	ds_write_b32 v28, v179
	s_waitcnt vmcnt(22)
	ds_write_b32 v30, v183
	s_waitcnt vmcnt(21)
	ds_write_b32 v32, v184
	s_waitcnt vmcnt(20)
	ds_write_b32 v34, v185
	s_waitcnt vmcnt(19)
	ds_write_b32 v36, v186
	v_lshl_add_u64 v[0:1], v[0:1], 0, v[48:49]
	s_lshl_b32 s17, s7, 3
	v_add_u32_e32 v152, s17, v17
	v_add_u32_e32 v154, v152, v67
	;; [unrolled: 1-line block ×4, first 2 shown]
	v_mad_i64_i32 v[4:5], s[18:19], v4, 36, v[52:53]
	v_mad_i64_i32 v[6:7], s[18:19], v6, 36, v[52:53]
	v_add_u32_e32 v178, v21, v166
	s_waitcnt vmcnt(15)
	v_cvt_f32_f16_e32 v2, v188
	ds_write_b32 v38, v187
	ds_write_b32 v40, v176
	ds_write_b32 v42, v177
	ds_write_b32 v31, v2
	s_waitcnt vmcnt(14)
	v_not_b32_e32 v2, v189
	global_load_dword v150, v[0:1], off offset:96
	ds_write_b32 v33, v2
	v_add_u32_e32 v0, v152, v59
	v_mad_i64_i32 v[0:1], s[18:19], v0, 36, v[52:53]
	v_add_u32_e32 v177, s17, v50
	s_waitcnt vmcnt(14)
	v_not_b32_e32 v2, v190
	ds_write_b32 v35, v2
	s_waitcnt vmcnt(13)
	v_not_b32_e32 v2, v191
	ds_write_b32 v37, v2
	;; [unrolled: 3-line block ×7, first 2 shown]
	s_waitcnt vmcnt(7)
	v_ashrrev_i32_e32 v2, v165, v161
	v_and_b32_e32 v148, 0xf0f0f0f, v2
	v_add_u32_e32 v2, v152, v61
	v_mad_i64_i32 v[2:3], s[18:19], v2, 36, v[52:53]
	v_mad_i64_i32 v[156:157], s[18:19], v154, 36, v[52:53]
	global_load_dword v154, v[0:1], off offset:4
	global_load_dword v158, v[2:3], off offset:4
	;; [unrolled: 1-line block ×4, first 2 shown]
	s_nop 0
	global_load_dword v156, v[156:157], off offset:4
	v_add_u32_e32 v0, v152, v69
	v_add_u32_e32 v2, v152, v71
	v_mad_i64_i32 v[0:1], s[18:19], v0, 36, v[52:53]
	v_mad_i64_i32 v[2:3], s[18:19], v2, 36, v[52:53]
	v_add_u32_e32 v4, v152, v73
	v_mad_u64_u32 v[6:7], s[18:19], v177, 36, s[2:3]
	v_mad_i64_i32 v[4:5], s[18:19], v4, 36, v[52:53]
	global_load_dword v6, v[6:7], off
	s_nop 0
	global_load_dword v0, v[0:1], off offset:4
	s_nop 0
	global_load_dword v1, v[2:3], off offset:4
	;; [unrolled: 2-line block ×3, first 2 shown]
	s_waitcnt vmcnt(12)
	v_ashrrev_i32_e32 v3, v19, v193
	v_lshlrev_b32_e32 v3, 4, v3
	v_and_or_b32 v3, v3, s9, v148
	v_lshlrev_b16_e32 v5, 8, v3
	v_add_u16_e32 v5, 0xe000, v5
	v_lshrrev_b32_e32 v4, 16, v3
	v_lshrrev_b16_e32 v5, 8, v5
	v_bitop3_b16 v3, v3, v5, s16 bitop3:0xec
	v_lshlrev_b16_e32 v5, 8, v4
	v_add_u16_e32 v5, 0xe000, v5
	v_lshrrev_b16_e32 v5, 8, v5
	v_bitop3_b16 v4, v4, v5, s16 bitop3:0xec
	v_add_u16_e32 v3, 0xe000, v3
	v_add_u16_sdwa v4, v4, s11 dst_sel:WORD_1 dst_unused:UNUSED_PAD src0_sel:DWORD src1_sel:DWORD
	v_mov_b32_e32 v179, v173
	v_or_b32_e32 v3, v3, v4
	ds_write_b32 v77, v3
	s_waitcnt vmcnt(11)
	v_ashrrev_i32_e32 v3, v165, v194
	v_ashrrev_i32_e32 v4, v19, v192
	v_and_b32_e32 v3, 0xf0f0f0f, v3
	v_lshlrev_b32_e32 v4, 4, v4
	v_and_or_b32 v3, v4, s9, v3
	v_lshlrev_b16_e32 v5, 8, v3
	v_add_u16_e32 v5, 0xe000, v5
	v_lshrrev_b32_e32 v4, 16, v3
	v_lshrrev_b16_e32 v5, 8, v5
	v_bitop3_b16 v3, v3, v5, s16 bitop3:0xec
	v_lshlrev_b16_e32 v5, 8, v4
	v_add_u16_e32 v5, 0xe000, v5
	v_lshrrev_b16_e32 v5, 8, v5
	v_bitop3_b16 v4, v4, v5, s16 bitop3:0xec
	v_add_u16_e32 v3, 0xe000, v3
	v_add_u16_sdwa v4, v4, s11 dst_sel:WORD_1 dst_unused:UNUSED_PAD src0_sel:DWORD src1_sel:DWORD
	v_mov_b32_e32 v180, v103
	v_or_b32_e32 v3, v3, v4
	ds_write_b32 v79, v3
	s_waitcnt vmcnt(10)
	v_ashrrev_i32_e32 v3, v165, v195
	v_ashrrev_i32_e32 v4, v19, v175
	v_and_b32_e32 v3, 0xf0f0f0f, v3
	v_lshlrev_b32_e32 v4, 4, v4
	v_and_or_b32 v3, v4, s9, v3
	v_lshlrev_b16_e32 v5, 8, v3
	v_add_u16_e32 v5, 0xe000, v5
	v_lshrrev_b32_e32 v4, 16, v3
	v_lshrrev_b16_e32 v5, 8, v5
	v_bitop3_b16 v3, v3, v5, s16 bitop3:0xec
	v_lshlrev_b16_e32 v5, 8, v4
	v_add_u16_e32 v5, 0xe000, v5
	v_lshrrev_b16_e32 v5, 8, v5
	v_bitop3_b16 v4, v4, v5, s16 bitop3:0xec
	v_add_u16_e32 v3, 0xe000, v3
	v_add_u16_sdwa v4, v4, s11 dst_sel:WORD_1 dst_unused:UNUSED_PAD src0_sel:DWORD src1_sel:DWORD
	s_mov_b32 s18, 0
	v_or_b32_e32 v3, v3, v4
	ds_write_b32 v81, v3
	s_waitcnt vmcnt(9)
	v_ashrrev_i32_e32 v3, v165, v150
	v_ashrrev_i32_e32 v4, v19, v174
	v_and_b32_e32 v3, 0xf0f0f0f, v3
	v_lshlrev_b32_e32 v4, 4, v4
	v_and_or_b32 v3, v4, s9, v3
	v_lshlrev_b16_e32 v5, 8, v3
	v_add_u16_e32 v5, 0xe000, v5
	v_lshrrev_b32_e32 v4, 16, v3
	v_lshrrev_b16_e32 v5, 8, v5
	v_bitop3_b16 v3, v3, v5, s16 bitop3:0xec
	v_lshlrev_b16_e32 v5, 8, v4
	v_add_u16_e32 v5, 0xe000, v5
	v_lshrrev_b16_e32 v5, 8, v5
	v_bitop3_b16 v4, v4, v5, s16 bitop3:0xec
	v_add_u16_e32 v3, 0xe000, v3
	v_add_u16_sdwa v4, v4, s11 dst_sel:WORD_1 dst_unused:UNUSED_PAD src0_sel:DWORD src1_sel:DWORD
	s_mov_b32 s22, -2
	v_or_b32_e32 v3, v3, v4
	ds_write_b32 v85, v3
	s_mov_b32 s19, 0
	s_waitcnt vmcnt(8)
	ds_write_b32 v178, v154
	s_waitcnt vmcnt(7)
	ds_write_b32 v105, v158
	;; [unrolled: 2-line block ×5, first 2 shown]
	s_waitcnt vmcnt(3)
	v_cvt_f32_f16_e32 v3, v6
	s_waitcnt vmcnt(2)
	ds_write_b32 v113, v0
	s_waitcnt vmcnt(1)
	ds_write_b32 v127, v1
	;; [unrolled: 2-line block ×3, first 2 shown]
	ds_write_b32 v57, v3
	s_waitcnt lgkmcnt(0)
	s_barrier
.LBB150_7:                              ;   Parent Loop BB150_6 Depth=1
                                        ; =>  This Inner Loop Header: Depth=2
	s_add_i32 s20, s22, 2
	s_lshr_b32 s24, s20, 4
	s_and_b32 s21, s20, 0x3ffffff8
	v_lshl_add_u32 v154, s21, 2, v167
	s_lshl_b32 s21, s24, 5
	s_addk_i32 s21, 0x4200
	v_lshlrev_b32_e32 v174, 2, v13
	v_add3_u32 v152, s21, v174, v168
	ds_read2_b32 v[156:157], v180 offset1:32
	ds_read_b128 v[4:7], v179
	ds_read_b128 v[0:3], v179 offset:16
	ds_read2_b32 v[158:159], v154 offset1:1
	ds_read2_b32 v[160:161], v152 offset1:1
	ds_read2_b32 v[182:183], v152 offset0:2 offset1:3
	ds_read2_b32 v[184:185], v152 offset0:4 offset1:5
	s_and_b32 s23, s19, -16
	s_waitcnt lgkmcnt(3)
	v_ashrrev_i32_e32 v148, s20, v158
	s_waitcnt lgkmcnt(2)
	v_ashrrev_i32_e32 v158, s18, v160
	v_lshlrev_b32_e32 v158, 2, v158
	v_bfe_u32 v150, v148, 24, 2
	v_and_b32_e32 v148, 0x3030303, v148
	v_and_b32_e32 v158, 0x4040404, v158
	v_sub_u16_e32 v160, v148, v158
	v_sub_u16_sdwa v175, v148, v158 dst_sel:BYTE_1 dst_unused:UNUSED_PAD src0_sel:BYTE_1 src1_sel:BYTE_1
	v_sub_u16_sdwa v148, v148, v158 dst_sel:DWORD dst_unused:UNUSED_PAD src0_sel:WORD_1 src1_sel:WORD_1
	v_sub_u16_sdwa v150, v150, v158 dst_sel:BYTE_1 dst_unused:UNUSED_PAD src0_sel:DWORD src1_sel:BYTE_3
	v_bitop3_b16 v160, v160, v175, s8 bitop3:0xec
	v_bitop3_b16 v148, v148, v150, s8 bitop3:0xec
	v_lshlrev_b32_e32 v148, 16, v148
	v_or_b32_sdwa v158, v160, v148 dst_sel:DWORD dst_unused:UNUSED_PAD src0_sel:WORD_0 src1_sel:DWORD
	v_ashrrev_i32_e32 v148, s20, v159
	v_ashrrev_i32_e32 v159, s18, v161
	v_lshlrev_b32_e32 v159, 2, v159
	v_bfe_u32 v150, v148, 24, 2
	v_and_b32_e32 v148, 0x3030303, v148
	v_and_b32_e32 v159, 0x4040404, v159
	v_sub_u16_e32 v160, v148, v159
	v_sub_u16_sdwa v161, v148, v159 dst_sel:BYTE_1 dst_unused:UNUSED_PAD src0_sel:BYTE_1 src1_sel:BYTE_1
	v_sub_u16_sdwa v148, v148, v159 dst_sel:DWORD dst_unused:UNUSED_PAD src0_sel:WORD_1 src1_sel:WORD_1
	v_sub_u16_sdwa v150, v150, v159 dst_sel:BYTE_1 dst_unused:UNUSED_PAD src0_sel:DWORD src1_sel:BYTE_3
	v_bitop3_b16 v160, v160, v161, s8 bitop3:0xec
	v_bitop3_b16 v148, v148, v150, s8 bitop3:0xec
	v_lshlrev_b32_e32 v148, 16, v148
	v_or_b32_sdwa v159, v160, v148 dst_sel:DWORD dst_unused:UNUSED_PAD src0_sel:WORD_0 src1_sel:DWORD
	ds_read2_b32 v[160:161], v154 offset0:2 offset1:3
	s_add_i32 s22, s22, s23
	s_lshl_b32 s23, s24, 2
	s_add_i32 s23, s23, 0x9380
	v_add3_u32 v188, s21, v149, v83
	s_waitcnt lgkmcnt(0)
	v_ashrrev_i32_e32 v148, s20, v160
	v_ashrrev_i32_e32 v160, s18, v182
	v_lshlrev_b32_e32 v160, 2, v160
	v_bfe_u32 v150, v148, 24, 2
	v_and_b32_e32 v148, 0x3030303, v148
	v_and_b32_e32 v160, 0x4040404, v160
	v_sub_u16_e32 v175, v148, v160
	v_sub_u16_sdwa v176, v148, v160 dst_sel:BYTE_1 dst_unused:UNUSED_PAD src0_sel:BYTE_1 src1_sel:BYTE_1
	v_sub_u16_sdwa v148, v148, v160 dst_sel:DWORD dst_unused:UNUSED_PAD src0_sel:WORD_1 src1_sel:WORD_1
	v_sub_u16_sdwa v150, v150, v160 dst_sel:BYTE_1 dst_unused:UNUSED_PAD src0_sel:DWORD src1_sel:BYTE_3
	v_bitop3_b16 v175, v175, v176, s8 bitop3:0xec
	v_bitop3_b16 v148, v148, v150, s8 bitop3:0xec
	v_lshlrev_b32_e32 v148, 16, v148
	v_or_b32_sdwa v160, v175, v148 dst_sel:DWORD dst_unused:UNUSED_PAD src0_sel:WORD_0 src1_sel:DWORD
	v_ashrrev_i32_e32 v148, s20, v161
	v_ashrrev_i32_e32 v161, s18, v183
	v_lshlrev_b32_e32 v161, 2, v161
	v_bfe_u32 v150, v148, 24, 2
	v_and_b32_e32 v148, 0x3030303, v148
	v_and_b32_e32 v161, 0x4040404, v161
	ds_read2_b32 v[182:183], v154 offset0:4 offset1:5
	v_sub_u16_e32 v175, v148, v161
	v_sub_u16_sdwa v176, v148, v161 dst_sel:BYTE_1 dst_unused:UNUSED_PAD src0_sel:BYTE_1 src1_sel:BYTE_1
	v_sub_u16_sdwa v148, v148, v161 dst_sel:DWORD dst_unused:UNUSED_PAD src0_sel:WORD_1 src1_sel:WORD_1
	v_sub_u16_sdwa v150, v150, v161 dst_sel:BYTE_1 dst_unused:UNUSED_PAD src0_sel:DWORD src1_sel:BYTE_3
	v_bitop3_b16 v175, v175, v176, s8 bitop3:0xec
	v_bitop3_b16 v148, v148, v150, s8 bitop3:0xec
	v_lshlrev_b32_e32 v148, 16, v148
	v_or_b32_sdwa v161, v175, v148 dst_sel:DWORD dst_unused:UNUSED_PAD src0_sel:WORD_0 src1_sel:DWORD
	v_ashrrev_i32_e32 v175, s18, v184
	s_waitcnt lgkmcnt(0)
	v_ashrrev_i32_e32 v148, s20, v182
	v_lshlrev_b32_e32 v175, 2, v175
	v_bfe_u32 v150, v148, 24, 2
	v_and_b32_e32 v148, 0x3030303, v148
	v_and_b32_e32 v175, 0x4040404, v175
	v_sub_u16_e32 v176, v148, v175
	v_sub_u16_sdwa v181, v148, v175 dst_sel:BYTE_1 dst_unused:UNUSED_PAD src0_sel:BYTE_1 src1_sel:BYTE_1
	v_sub_u16_sdwa v148, v148, v175 dst_sel:DWORD dst_unused:UNUSED_PAD src0_sel:WORD_1 src1_sel:WORD_1
	v_sub_u16_sdwa v150, v150, v175 dst_sel:BYTE_1 dst_unused:UNUSED_PAD src0_sel:DWORD src1_sel:BYTE_3
	v_bitop3_b16 v176, v176, v181, s8 bitop3:0xec
	v_bitop3_b16 v148, v148, v150, s8 bitop3:0xec
	v_lshlrev_b32_e32 v148, 16, v148
	v_or_b32_sdwa v189, v176, v148 dst_sel:DWORD dst_unused:UNUSED_PAD src0_sel:WORD_0 src1_sel:DWORD
	v_ashrrev_i32_e32 v148, s20, v183
	v_ashrrev_i32_e32 v175, s18, v185
	ds_read2_b32 v[182:183], v154 offset0:6 offset1:7
	ds_read2_b32 v[184:185], v152 offset0:6 offset1:7
	v_lshlrev_b32_e32 v175, 2, v175
	v_bfe_u32 v150, v148, 24, 2
	v_and_b32_e32 v148, 0x3030303, v148
	v_and_b32_e32 v175, 0x4040404, v175
	v_sub_u16_e32 v176, v148, v175
	v_sub_u16_sdwa v181, v148, v175 dst_sel:BYTE_1 dst_unused:UNUSED_PAD src0_sel:BYTE_1 src1_sel:BYTE_1
	v_sub_u16_sdwa v148, v148, v175 dst_sel:DWORD dst_unused:UNUSED_PAD src0_sel:WORD_1 src1_sel:WORD_1
	v_sub_u16_sdwa v150, v150, v175 dst_sel:BYTE_1 dst_unused:UNUSED_PAD src0_sel:DWORD src1_sel:BYTE_3
	v_bitop3_b16 v176, v176, v181, s8 bitop3:0xec
	v_bitop3_b16 v148, v148, v150, s8 bitop3:0xec
	v_lshlrev_b32_e32 v148, 16, v148
	s_waitcnt lgkmcnt(0)
	v_ashrrev_i32_e32 v152, s18, v184
	v_or_b32_sdwa v190, v176, v148 dst_sel:DWORD dst_unused:UNUSED_PAD src0_sel:WORD_0 src1_sel:DWORD
	v_ashrrev_i32_e32 v148, s20, v182
	v_lshlrev_b32_e32 v152, 2, v152
	v_bfe_u32 v150, v148, 24, 2
	v_and_b32_e32 v148, 0x3030303, v148
	v_and_b32_e32 v152, 0x4040404, v152
	v_sub_u16_e32 v175, v148, v152
	v_sub_u16_sdwa v176, v148, v152 dst_sel:BYTE_1 dst_unused:UNUSED_PAD src0_sel:BYTE_1 src1_sel:BYTE_1
	v_sub_u16_sdwa v148, v148, v152 dst_sel:DWORD dst_unused:UNUSED_PAD src0_sel:WORD_1 src1_sel:WORD_1
	v_sub_u16_sdwa v150, v150, v152 dst_sel:BYTE_1 dst_unused:UNUSED_PAD src0_sel:DWORD src1_sel:BYTE_3
	v_bitop3_b16 v175, v175, v176, s8 bitop3:0xec
	v_bitop3_b16 v148, v148, v150, s8 bitop3:0xec
	v_lshlrev_b32_e32 v148, 16, v148
	v_ashrrev_i32_e32 v152, s18, v185
	v_or_b32_sdwa v191, v175, v148 dst_sel:DWORD dst_unused:UNUSED_PAD src0_sel:WORD_0 src1_sel:DWORD
	v_ashrrev_i32_e32 v148, s20, v183
	v_lshlrev_b32_e32 v152, 2, v152
	v_bfe_u32 v150, v148, 24, 2
	v_and_b32_e32 v148, 0x3030303, v148
	v_and_b32_e32 v152, 0x4040404, v152
	v_sub_u16_e32 v175, v148, v152
	v_sub_u16_sdwa v176, v148, v152 dst_sel:BYTE_1 dst_unused:UNUSED_PAD src0_sel:BYTE_1 src1_sel:BYTE_1
	v_sub_u16_sdwa v148, v148, v152 dst_sel:DWORD dst_unused:UNUSED_PAD src0_sel:WORD_1 src1_sel:WORD_1
	v_sub_u16_sdwa v150, v150, v152 dst_sel:BYTE_1 dst_unused:UNUSED_PAD src0_sel:DWORD src1_sel:BYTE_3
	v_bitop3_b16 v175, v175, v176, s8 bitop3:0xec
	v_bitop3_b16 v148, v148, v150, s8 bitop3:0xec
	v_lshlrev_b32_e32 v148, 16, v148
	v_or_b32_sdwa v192, v175, v148 dst_sel:DWORD dst_unused:UNUSED_PAD src0_sel:WORD_0 src1_sel:DWORD
	v_lshlrev_b32_e32 v175, 2, v8
	v_lshlrev_b32_e32 v176, 2, v164
	v_add3_u32 v148, s23, v175, v176
	v_add_u32_e32 v150, 0x1080, v154
	ds_read_b32 v148, v148
	ds_read2_b32 v[182:183], v150 offset1:1
	ds_read2_b32 v[184:185], v188 offset1:1
	ds_read2_b32 v[186:187], v188 offset0:2 offset1:3
	ds_read2_b32 v[194:195], v188 offset0:4 offset1:5
	;; [unrolled: 1-line block ×3, first 2 shown]
	s_waitcnt lgkmcnt(4)
	v_ashrrev_i32_e32 v150, s20, v182
	s_waitcnt lgkmcnt(3)
	v_ashrrev_i32_e32 v181, s18, v184
	v_lshlrev_b32_e32 v181, 2, v181
	v_bfe_u32 v152, v150, 24, 2
	v_and_b32_e32 v150, 0x3030303, v150
	v_and_b32_e32 v181, 0x4040404, v181
	v_sub_u16_e32 v182, v150, v181
	v_sub_u16_sdwa v184, v150, v181 dst_sel:BYTE_1 dst_unused:UNUSED_PAD src0_sel:BYTE_1 src1_sel:BYTE_1
	v_sub_u16_sdwa v150, v150, v181 dst_sel:DWORD dst_unused:UNUSED_PAD src0_sel:WORD_1 src1_sel:WORD_1
	v_sub_u16_sdwa v152, v152, v181 dst_sel:BYTE_1 dst_unused:UNUSED_PAD src0_sel:DWORD src1_sel:BYTE_3
	v_bitop3_b16 v182, v182, v184, s8 bitop3:0xec
	v_bitop3_b16 v150, v150, v152, s8 bitop3:0xec
	v_lshlrev_b32_e32 v150, 16, v150
	v_or_b32_sdwa v181, v182, v150 dst_sel:DWORD dst_unused:UNUSED_PAD src0_sel:WORD_0 src1_sel:DWORD
	v_ashrrev_i32_e32 v182, s18, v185
	v_ashrrev_i32_e32 v150, s20, v183
	v_lshlrev_b32_e32 v182, 2, v182
	v_bfe_u32 v152, v150, 24, 2
	v_and_b32_e32 v150, 0x3030303, v150
	v_and_b32_e32 v182, 0x4040404, v182
	v_sub_u16_e32 v183, v150, v182
	v_sub_u16_sdwa v184, v150, v182 dst_sel:BYTE_1 dst_unused:UNUSED_PAD src0_sel:BYTE_1 src1_sel:BYTE_1
	v_sub_u16_sdwa v150, v150, v182 dst_sel:DWORD dst_unused:UNUSED_PAD src0_sel:WORD_1 src1_sel:WORD_1
	v_sub_u16_sdwa v152, v152, v182 dst_sel:BYTE_1 dst_unused:UNUSED_PAD src0_sel:DWORD src1_sel:BYTE_3
	v_bitop3_b16 v183, v183, v184, s8 bitop3:0xec
	v_bitop3_b16 v150, v150, v152, s8 bitop3:0xec
	v_lshlrev_b32_e32 v150, 16, v150
	v_or_b32_sdwa v182, v183, v150 dst_sel:DWORD dst_unused:UNUSED_PAD src0_sel:WORD_0 src1_sel:DWORD
	v_add_u32_e32 v150, 0x1088, v154
	ds_read2_b32 v[184:185], v150 offset1:1
	s_waitcnt lgkmcnt(3)
	v_ashrrev_i32_e32 v183, s18, v186
	v_lshlrev_b32_e32 v183, 2, v183
	v_and_b32_e32 v183, 0x4040404, v183
	v_add3_u32 v202, s21, v153, v91
	s_waitcnt lgkmcnt(0)
	v_ashrrev_i32_e32 v150, s20, v184
	v_bfe_u32 v152, v150, 24, 2
	v_and_b32_e32 v150, 0x3030303, v150
	v_sub_u16_e32 v184, v150, v183
	v_sub_u16_sdwa v186, v150, v183 dst_sel:BYTE_1 dst_unused:UNUSED_PAD src0_sel:BYTE_1 src1_sel:BYTE_1
	v_sub_u16_sdwa v150, v150, v183 dst_sel:DWORD dst_unused:UNUSED_PAD src0_sel:WORD_1 src1_sel:WORD_1
	v_sub_u16_sdwa v152, v152, v183 dst_sel:BYTE_1 dst_unused:UNUSED_PAD src0_sel:DWORD src1_sel:BYTE_3
	v_bitop3_b16 v184, v184, v186, s8 bitop3:0xec
	v_bitop3_b16 v150, v150, v152, s8 bitop3:0xec
	v_lshlrev_b32_e32 v150, 16, v150
	v_or_b32_sdwa v183, v184, v150 dst_sel:DWORD dst_unused:UNUSED_PAD src0_sel:WORD_0 src1_sel:DWORD
	v_ashrrev_i32_e32 v184, s18, v187
	v_ashrrev_i32_e32 v150, s20, v185
	v_lshlrev_b32_e32 v184, 2, v184
	v_bfe_u32 v152, v150, 24, 2
	v_and_b32_e32 v150, 0x3030303, v150
	v_and_b32_e32 v184, 0x4040404, v184
	v_sub_u16_e32 v185, v150, v184
	v_sub_u16_sdwa v186, v150, v184 dst_sel:BYTE_1 dst_unused:UNUSED_PAD src0_sel:BYTE_1 src1_sel:BYTE_1
	v_sub_u16_sdwa v150, v150, v184 dst_sel:DWORD dst_unused:UNUSED_PAD src0_sel:WORD_1 src1_sel:WORD_1
	v_sub_u16_sdwa v152, v152, v184 dst_sel:BYTE_1 dst_unused:UNUSED_PAD src0_sel:DWORD src1_sel:BYTE_3
	v_bitop3_b16 v185, v185, v186, s8 bitop3:0xec
	v_bitop3_b16 v150, v150, v152, s8 bitop3:0xec
	v_lshlrev_b32_e32 v150, 16, v150
	v_or_b32_sdwa v184, v185, v150 dst_sel:DWORD dst_unused:UNUSED_PAD src0_sel:WORD_0 src1_sel:DWORD
	v_add_u32_e32 v150, 0x1090, v154
	ds_read2_b32 v[186:187], v150 offset1:1
	v_ashrrev_i32_e32 v185, s18, v194
	v_lshlrev_b32_e32 v185, 2, v185
	v_and_b32_e32 v185, 0x4040404, v185
	v_add3_u32 v208, s21, v162, v97
	s_waitcnt lgkmcnt(0)
	v_ashrrev_i32_e32 v150, s20, v186
	v_bfe_u32 v152, v150, 24, 2
	v_and_b32_e32 v150, 0x3030303, v150
	v_sub_u16_e32 v186, v150, v185
	v_sub_u16_sdwa v193, v150, v185 dst_sel:BYTE_1 dst_unused:UNUSED_PAD src0_sel:BYTE_1 src1_sel:BYTE_1
	v_sub_u16_sdwa v150, v150, v185 dst_sel:DWORD dst_unused:UNUSED_PAD src0_sel:WORD_1 src1_sel:WORD_1
	v_sub_u16_sdwa v152, v152, v185 dst_sel:BYTE_1 dst_unused:UNUSED_PAD src0_sel:DWORD src1_sel:BYTE_3
	v_bitop3_b16 v186, v186, v193, s8 bitop3:0xec
	v_bitop3_b16 v150, v150, v152, s8 bitop3:0xec
	v_lshlrev_b32_e32 v150, 16, v150
	v_or_b32_sdwa v185, v186, v150 dst_sel:DWORD dst_unused:UNUSED_PAD src0_sel:WORD_0 src1_sel:DWORD
	v_ashrrev_i32_e32 v186, s18, v195
	v_ashrrev_i32_e32 v150, s20, v187
	v_lshlrev_b32_e32 v186, 2, v186
	v_bfe_u32 v152, v150, 24, 2
	v_and_b32_e32 v150, 0x3030303, v150
	v_and_b32_e32 v186, 0x4040404, v186
	v_sub_u16_e32 v187, v150, v186
	v_sub_u16_sdwa v193, v150, v186 dst_sel:BYTE_1 dst_unused:UNUSED_PAD src0_sel:BYTE_1 src1_sel:BYTE_1
	v_sub_u16_sdwa v150, v150, v186 dst_sel:DWORD dst_unused:UNUSED_PAD src0_sel:WORD_1 src1_sel:WORD_1
	v_sub_u16_sdwa v152, v152, v186 dst_sel:BYTE_1 dst_unused:UNUSED_PAD src0_sel:DWORD src1_sel:BYTE_3
	v_bitop3_b16 v187, v187, v193, s8 bitop3:0xec
	v_bitop3_b16 v150, v150, v152, s8 bitop3:0xec
	v_lshlrev_b32_e32 v150, 16, v150
	v_or_b32_sdwa v186, v187, v150 dst_sel:DWORD dst_unused:UNUSED_PAD src0_sel:WORD_0 src1_sel:DWORD
	v_add_u32_e32 v150, 0x1098, v154
	ds_read2_b32 v[194:195], v150 offset1:1
	v_ashrrev_i32_e32 v187, s18, v196
	v_lshlrev_b32_e32 v187, 2, v187
	v_and_b32_e32 v187, 0x4040404, v187
	v_mov_b32_e32 v210, 0
	s_waitcnt lgkmcnt(0)
	v_ashrrev_i32_e32 v150, s20, v194
	v_bfe_u32 v152, v150, 24, 2
	v_and_b32_e32 v150, 0x3030303, v150
	v_sub_u16_e32 v188, v150, v187
	v_sub_u16_sdwa v193, v150, v187 dst_sel:BYTE_1 dst_unused:UNUSED_PAD src0_sel:BYTE_1 src1_sel:BYTE_1
	v_sub_u16_sdwa v150, v150, v187 dst_sel:DWORD dst_unused:UNUSED_PAD src0_sel:WORD_1 src1_sel:WORD_1
	v_sub_u16_sdwa v152, v152, v187 dst_sel:BYTE_1 dst_unused:UNUSED_PAD src0_sel:DWORD src1_sel:BYTE_3
	v_bitop3_b16 v188, v188, v193, s8 bitop3:0xec
	v_bitop3_b16 v150, v150, v152, s8 bitop3:0xec
	v_lshlrev_b32_e32 v150, 16, v150
	v_or_b32_sdwa v187, v188, v150 dst_sel:DWORD dst_unused:UNUSED_PAD src0_sel:WORD_0 src1_sel:DWORD
	v_ashrrev_i32_e32 v188, s18, v197
	v_ashrrev_i32_e32 v150, s20, v195
	v_lshlrev_b32_e32 v188, 2, v188
	v_bfe_u32 v152, v150, 24, 2
	v_and_b32_e32 v150, 0x3030303, v150
	v_and_b32_e32 v188, 0x4040404, v188
	v_sub_u16_e32 v193, v150, v188
	v_sub_u16_sdwa v194, v150, v188 dst_sel:BYTE_1 dst_unused:UNUSED_PAD src0_sel:BYTE_1 src1_sel:BYTE_1
	v_sub_u16_sdwa v150, v150, v188 dst_sel:DWORD dst_unused:UNUSED_PAD src0_sel:WORD_1 src1_sel:WORD_1
	v_sub_u16_sdwa v152, v152, v188 dst_sel:BYTE_1 dst_unused:UNUSED_PAD src0_sel:DWORD src1_sel:BYTE_3
	v_bitop3_b16 v193, v193, v194, s8 bitop3:0xec
	v_bitop3_b16 v150, v150, v152, s8 bitop3:0xec
	v_lshlrev_b32_e32 v150, 16, v150
	v_or_b32_sdwa v188, v193, v150 dst_sel:DWORD dst_unused:UNUSED_PAD src0_sel:WORD_0 src1_sel:DWORD
	v_add3_u32 v150, s23, v151, v87
	v_add_u32_e32 v152, 0x2100, v154
	ds_read_b32 v150, v150
	ds_read2_b32 v[194:195], v152 offset1:1
	ds_read2_b32 v[196:197], v202 offset1:1
	ds_read2_b32 v[222:223], v208 offset0:6 offset1:7
	v_mov_b32_e32 v211, 0
	v_mov_b32_e32 v217, 0
	s_waitcnt lgkmcnt(2)
	v_ashrrev_i32_e32 v152, s20, v194
	s_waitcnt lgkmcnt(1)
	v_ashrrev_i32_e32 v194, s18, v196
	v_lshlrev_b32_e32 v194, 2, v194
	v_bfe_u32 v193, v152, 24, 2
	v_and_b32_e32 v152, 0x3030303, v152
	v_and_b32_e32 v194, 0x4040404, v194
	v_sub_u16_e32 v196, v152, v194
	v_sub_u16_sdwa v198, v152, v194 dst_sel:BYTE_1 dst_unused:UNUSED_PAD src0_sel:BYTE_1 src1_sel:BYTE_1
	v_sub_u16_sdwa v152, v152, v194 dst_sel:DWORD dst_unused:UNUSED_PAD src0_sel:WORD_1 src1_sel:WORD_1
	v_sub_u16_sdwa v193, v193, v194 dst_sel:BYTE_1 dst_unused:UNUSED_PAD src0_sel:DWORD src1_sel:BYTE_3
	v_bitop3_b16 v196, v196, v198, s8 bitop3:0xec
	v_bitop3_b16 v152, v152, v193, s8 bitop3:0xec
	v_lshlrev_b32_e32 v152, 16, v152
	v_or_b32_sdwa v193, v196, v152 dst_sel:DWORD dst_unused:UNUSED_PAD src0_sel:WORD_0 src1_sel:DWORD
	v_ashrrev_i32_e32 v152, s20, v195
	v_ashrrev_i32_e32 v195, s18, v197
	v_lshlrev_b32_e32 v195, 2, v195
	v_bfe_u32 v194, v152, 24, 2
	v_and_b32_e32 v152, 0x3030303, v152
	v_and_b32_e32 v195, 0x4040404, v195
	v_sub_u16_e32 v196, v152, v195
	v_sub_u16_sdwa v197, v152, v195 dst_sel:BYTE_1 dst_unused:UNUSED_PAD src0_sel:BYTE_1 src1_sel:BYTE_1
	v_sub_u16_sdwa v152, v152, v195 dst_sel:DWORD dst_unused:UNUSED_PAD src0_sel:WORD_1 src1_sel:WORD_1
	v_sub_u16_sdwa v194, v194, v195 dst_sel:BYTE_1 dst_unused:UNUSED_PAD src0_sel:DWORD src1_sel:BYTE_3
	v_bitop3_b16 v196, v196, v197, s8 bitop3:0xec
	v_bitop3_b16 v152, v152, v194, s8 bitop3:0xec
	v_lshlrev_b32_e32 v152, 16, v152
	v_or_b32_sdwa v194, v196, v152 dst_sel:DWORD dst_unused:UNUSED_PAD src0_sel:WORD_0 src1_sel:DWORD
	v_add_u32_e32 v152, 0x2108, v154
	ds_read2_b32 v[196:197], v152 offset1:1
	ds_read2_b32 v[198:199], v202 offset0:2 offset1:3
	v_mov_b32_e32 v218, 0
	v_mov_b32_e32 v220, 0
	;; [unrolled: 1-line block ×3, first 2 shown]
	s_waitcnt lgkmcnt(1)
	v_ashrrev_i32_e32 v152, s20, v196
	s_waitcnt lgkmcnt(0)
	v_ashrrev_i32_e32 v196, s18, v198
	v_lshlrev_b32_e32 v196, 2, v196
	v_bfe_u32 v195, v152, 24, 2
	v_and_b32_e32 v152, 0x3030303, v152
	v_and_b32_e32 v196, 0x4040404, v196
	v_sub_u16_e32 v198, v152, v196
	v_sub_u16_sdwa v200, v152, v196 dst_sel:BYTE_1 dst_unused:UNUSED_PAD src0_sel:BYTE_1 src1_sel:BYTE_1
	v_sub_u16_sdwa v152, v152, v196 dst_sel:DWORD dst_unused:UNUSED_PAD src0_sel:WORD_1 src1_sel:WORD_1
	v_sub_u16_sdwa v195, v195, v196 dst_sel:BYTE_1 dst_unused:UNUSED_PAD src0_sel:DWORD src1_sel:BYTE_3
	v_bitop3_b16 v198, v198, v200, s8 bitop3:0xec
	v_bitop3_b16 v152, v152, v195, s8 bitop3:0xec
	v_lshlrev_b32_e32 v152, 16, v152
	v_or_b32_sdwa v195, v198, v152 dst_sel:DWORD dst_unused:UNUSED_PAD src0_sel:WORD_0 src1_sel:DWORD
	v_ashrrev_i32_e32 v152, s20, v197
	v_ashrrev_i32_e32 v197, s18, v199
	v_lshlrev_b32_e32 v197, 2, v197
	v_bfe_u32 v196, v152, 24, 2
	v_and_b32_e32 v152, 0x3030303, v152
	v_and_b32_e32 v197, 0x4040404, v197
	v_sub_u16_e32 v198, v152, v197
	v_sub_u16_sdwa v199, v152, v197 dst_sel:BYTE_1 dst_unused:UNUSED_PAD src0_sel:BYTE_1 src1_sel:BYTE_1
	v_sub_u16_sdwa v152, v152, v197 dst_sel:DWORD dst_unused:UNUSED_PAD src0_sel:WORD_1 src1_sel:WORD_1
	v_sub_u16_sdwa v196, v196, v197 dst_sel:BYTE_1 dst_unused:UNUSED_PAD src0_sel:DWORD src1_sel:BYTE_3
	v_bitop3_b16 v198, v198, v199, s8 bitop3:0xec
	v_bitop3_b16 v152, v152, v196, s8 bitop3:0xec
	v_lshlrev_b32_e32 v152, 16, v152
	v_or_b32_sdwa v196, v198, v152 dst_sel:DWORD dst_unused:UNUSED_PAD src0_sel:WORD_0 src1_sel:DWORD
	v_add_u32_e32 v152, 0x2110, v154
	ds_read2_b32 v[198:199], v152 offset1:1
	ds_read2_b32 v[200:201], v202 offset0:4 offset1:5
	v_mov_b32_e32 v228, 0
	v_dot4c_i32_i8_e32 v210, v158, v4
	v_dot4c_i32_i8_e32 v211, v189, v0
	s_waitcnt lgkmcnt(1)
	v_ashrrev_i32_e32 v152, s20, v198
	s_waitcnt lgkmcnt(0)
	v_ashrrev_i32_e32 v198, s18, v200
	v_lshlrev_b32_e32 v198, 2, v198
	v_bfe_u32 v197, v152, 24, 2
	v_and_b32_e32 v152, 0x3030303, v152
	v_and_b32_e32 v198, 0x4040404, v198
	v_sub_u16_e32 v200, v152, v198
	v_sub_u16_sdwa v203, v152, v198 dst_sel:BYTE_1 dst_unused:UNUSED_PAD src0_sel:BYTE_1 src1_sel:BYTE_1
	v_sub_u16_sdwa v152, v152, v198 dst_sel:DWORD dst_unused:UNUSED_PAD src0_sel:WORD_1 src1_sel:WORD_1
	v_sub_u16_sdwa v197, v197, v198 dst_sel:BYTE_1 dst_unused:UNUSED_PAD src0_sel:DWORD src1_sel:BYTE_3
	v_bitop3_b16 v200, v200, v203, s8 bitop3:0xec
	v_bitop3_b16 v152, v152, v197, s8 bitop3:0xec
	v_lshlrev_b32_e32 v152, 16, v152
	v_or_b32_sdwa v197, v200, v152 dst_sel:DWORD dst_unused:UNUSED_PAD src0_sel:WORD_0 src1_sel:DWORD
	v_ashrrev_i32_e32 v152, s20, v199
	v_ashrrev_i32_e32 v199, s18, v201
	v_lshlrev_b32_e32 v199, 2, v199
	v_bfe_u32 v198, v152, 24, 2
	v_and_b32_e32 v152, 0x3030303, v152
	v_and_b32_e32 v199, 0x4040404, v199
	v_sub_u16_e32 v200, v152, v199
	v_sub_u16_sdwa v201, v152, v199 dst_sel:BYTE_1 dst_unused:UNUSED_PAD src0_sel:BYTE_1 src1_sel:BYTE_1
	v_sub_u16_sdwa v152, v152, v199 dst_sel:DWORD dst_unused:UNUSED_PAD src0_sel:WORD_1 src1_sel:WORD_1
	v_sub_u16_sdwa v198, v198, v199 dst_sel:BYTE_1 dst_unused:UNUSED_PAD src0_sel:DWORD src1_sel:BYTE_3
	v_bitop3_b16 v200, v200, v201, s8 bitop3:0xec
	v_bitop3_b16 v152, v152, v198, s8 bitop3:0xec
	v_lshlrev_b32_e32 v152, 16, v152
	v_or_b32_sdwa v198, v200, v152 dst_sel:DWORD dst_unused:UNUSED_PAD src0_sel:WORD_0 src1_sel:DWORD
	v_add_u32_e32 v152, 0x2118, v154
	ds_read2_b32 v[200:201], v152 offset1:1
	ds_read2_b32 v[202:203], v202 offset0:6 offset1:7
	v_dot4c_i32_i8_e32 v217, v181, v4
	v_dot4c_i32_i8_e32 v218, v185, v0
	;; [unrolled: 1-line block ×3, first 2 shown]
	s_waitcnt lgkmcnt(1)
	v_ashrrev_i32_e32 v152, s20, v200
	s_waitcnt lgkmcnt(0)
	v_ashrrev_i32_e32 v200, s18, v202
	v_lshlrev_b32_e32 v200, 2, v200
	v_bfe_u32 v199, v152, 24, 2
	v_and_b32_e32 v152, 0x3030303, v152
	v_and_b32_e32 v200, 0x4040404, v200
	v_sub_u16_e32 v202, v152, v200
	v_sub_u16_sdwa v204, v152, v200 dst_sel:BYTE_1 dst_unused:UNUSED_PAD src0_sel:BYTE_1 src1_sel:BYTE_1
	v_sub_u16_sdwa v152, v152, v200 dst_sel:DWORD dst_unused:UNUSED_PAD src0_sel:WORD_1 src1_sel:WORD_1
	v_sub_u16_sdwa v199, v199, v200 dst_sel:BYTE_1 dst_unused:UNUSED_PAD src0_sel:DWORD src1_sel:BYTE_3
	v_bitop3_b16 v202, v202, v204, s8 bitop3:0xec
	v_bitop3_b16 v152, v152, v199, s8 bitop3:0xec
	v_lshlrev_b32_e32 v152, 16, v152
	v_or_b32_sdwa v199, v202, v152 dst_sel:DWORD dst_unused:UNUSED_PAD src0_sel:WORD_0 src1_sel:DWORD
	v_ashrrev_i32_e32 v152, s20, v201
	v_ashrrev_i32_e32 v201, s18, v203
	v_lshlrev_b32_e32 v201, 2, v201
	v_bfe_u32 v200, v152, 24, 2
	v_and_b32_e32 v152, 0x3030303, v152
	v_and_b32_e32 v201, 0x4040404, v201
	v_sub_u16_e32 v202, v152, v201
	v_sub_u16_sdwa v203, v152, v201 dst_sel:BYTE_1 dst_unused:UNUSED_PAD src0_sel:BYTE_1 src1_sel:BYTE_1
	v_sub_u16_sdwa v152, v152, v201 dst_sel:DWORD dst_unused:UNUSED_PAD src0_sel:WORD_1 src1_sel:WORD_1
	v_sub_u16_sdwa v200, v200, v201 dst_sel:BYTE_1 dst_unused:UNUSED_PAD src0_sel:DWORD src1_sel:BYTE_3
	v_bitop3_b16 v202, v202, v203, s8 bitop3:0xec
	v_bitop3_b16 v152, v152, v200, s8 bitop3:0xec
	v_lshlrev_b32_e32 v152, 16, v152
	v_add_u32_e32 v201, 0x3180, v154
	v_or_b32_sdwa v200, v202, v152 dst_sel:DWORD dst_unused:UNUSED_PAD src0_sel:WORD_0 src1_sel:DWORD
	ds_read2_b32 v[202:203], v201 offset1:1
	ds_read2_b32 v[204:205], v208 offset1:1
	v_add3_u32 v152, s23, v155, v93
	ds_read_b32 v152, v152
	v_dot4c_i32_i8_e32 v221, v197, v0
	s_waitcnt lgkmcnt(2)
	v_ashrrev_i32_e32 v201, s20, v202
	s_waitcnt lgkmcnt(1)
	v_ashrrev_i32_e32 v204, s18, v204
	v_lshlrev_b32_e32 v204, 2, v204
	v_bfe_u32 v202, v201, 24, 2
	v_and_b32_e32 v201, 0x3030303, v201
	v_and_b32_e32 v204, 0x4040404, v204
	v_sub_u16_e32 v206, v201, v204
	v_sub_u16_sdwa v207, v201, v204 dst_sel:BYTE_1 dst_unused:UNUSED_PAD src0_sel:BYTE_1 src1_sel:BYTE_1
	v_sub_u16_sdwa v201, v201, v204 dst_sel:DWORD dst_unused:UNUSED_PAD src0_sel:WORD_1 src1_sel:WORD_1
	v_sub_u16_sdwa v202, v202, v204 dst_sel:BYTE_1 dst_unused:UNUSED_PAD src0_sel:DWORD src1_sel:BYTE_3
	v_ashrrev_i32_e32 v204, s18, v205
	v_bitop3_b16 v201, v201, v202, s8 bitop3:0xec
	v_ashrrev_i32_e32 v202, s20, v203
	v_lshlrev_b32_e32 v204, 2, v204
	v_bitop3_b16 v206, v206, v207, s8 bitop3:0xec
	v_lshlrev_b32_e32 v201, 16, v201
	v_bfe_u32 v203, v202, 24, 2
	v_and_b32_e32 v202, 0x3030303, v202
	v_and_b32_e32 v204, 0x4040404, v204
	v_or_b32_sdwa v201, v206, v201 dst_sel:DWORD dst_unused:UNUSED_PAD src0_sel:WORD_0 src1_sel:DWORD
	v_sub_u16_e32 v205, v202, v204
	v_sub_u16_sdwa v206, v202, v204 dst_sel:BYTE_1 dst_unused:UNUSED_PAD src0_sel:BYTE_1 src1_sel:BYTE_1
	v_sub_u16_sdwa v202, v202, v204 dst_sel:DWORD dst_unused:UNUSED_PAD src0_sel:WORD_1 src1_sel:WORD_1
	v_sub_u16_sdwa v203, v203, v204 dst_sel:BYTE_1 dst_unused:UNUSED_PAD src0_sel:DWORD src1_sel:BYTE_3
	v_bitop3_b16 v205, v205, v206, s8 bitop3:0xec
	v_bitop3_b16 v202, v202, v203, s8 bitop3:0xec
	v_lshlrev_b32_e32 v202, 16, v202
	v_add_u32_e32 v203, 0x3188, v154
	v_or_b32_sdwa v202, v205, v202 dst_sel:DWORD dst_unused:UNUSED_PAD src0_sel:WORD_0 src1_sel:DWORD
	ds_read2_b32 v[204:205], v203 offset1:1
	ds_read2_b32 v[206:207], v208 offset0:2 offset1:3
	v_dot4c_i32_i8_e32 v210, v159, v5
	v_dot4c_i32_i8_e32 v211, v190, v1
	;; [unrolled: 1-line block ×3, first 2 shown]
	s_waitcnt lgkmcnt(1)
	v_ashrrev_i32_e32 v203, s20, v204
	s_waitcnt lgkmcnt(0)
	v_ashrrev_i32_e32 v206, s18, v206
	v_lshlrev_b32_e32 v206, 2, v206
	v_bfe_u32 v204, v203, 24, 2
	v_and_b32_e32 v203, 0x3030303, v203
	v_and_b32_e32 v206, 0x4040404, v206
	v_sub_u16_e32 v213, v203, v206
	v_sub_u16_sdwa v214, v203, v206 dst_sel:BYTE_1 dst_unused:UNUSED_PAD src0_sel:BYTE_1 src1_sel:BYTE_1
	v_sub_u16_sdwa v203, v203, v206 dst_sel:DWORD dst_unused:UNUSED_PAD src0_sel:WORD_1 src1_sel:WORD_1
	v_sub_u16_sdwa v204, v204, v206 dst_sel:BYTE_1 dst_unused:UNUSED_PAD src0_sel:DWORD src1_sel:BYTE_3
	v_ashrrev_i32_e32 v206, s18, v207
	v_bitop3_b16 v203, v203, v204, s8 bitop3:0xec
	v_ashrrev_i32_e32 v204, s20, v205
	v_lshlrev_b32_e32 v206, 2, v206
	v_bitop3_b16 v213, v213, v214, s8 bitop3:0xec
	v_lshlrev_b32_e32 v203, 16, v203
	v_bfe_u32 v205, v204, 24, 2
	v_and_b32_e32 v204, 0x3030303, v204
	v_and_b32_e32 v206, 0x4040404, v206
	v_or_b32_sdwa v203, v213, v203 dst_sel:DWORD dst_unused:UNUSED_PAD src0_sel:WORD_0 src1_sel:DWORD
	v_sub_u16_e32 v207, v204, v206
	v_sub_u16_sdwa v213, v204, v206 dst_sel:BYTE_1 dst_unused:UNUSED_PAD src0_sel:BYTE_1 src1_sel:BYTE_1
	v_sub_u16_sdwa v204, v204, v206 dst_sel:DWORD dst_unused:UNUSED_PAD src0_sel:WORD_1 src1_sel:WORD_1
	v_sub_u16_sdwa v205, v205, v206 dst_sel:BYTE_1 dst_unused:UNUSED_PAD src0_sel:DWORD src1_sel:BYTE_3
	v_bitop3_b16 v207, v207, v213, s8 bitop3:0xec
	v_bitop3_b16 v204, v204, v205, s8 bitop3:0xec
	v_lshlrev_b32_e32 v204, 16, v204
	v_add_u32_e32 v205, 0x3190, v154
	v_or_b32_sdwa v204, v207, v204 dst_sel:DWORD dst_unused:UNUSED_PAD src0_sel:WORD_0 src1_sel:DWORD
	ds_read2_b32 v[206:207], v205 offset1:1
	ds_read2_b32 v[214:215], v208 offset0:4 offset1:5
	v_add_u32_e32 v154, 0x3198, v154
	v_ashrrev_i32_e32 v208, s18, v222
	v_lshlrev_b32_e32 v208, 2, v208
	s_waitcnt lgkmcnt(1)
	v_ashrrev_i32_e32 v205, s20, v206
	s_waitcnt lgkmcnt(0)
	v_ashrrev_i32_e32 v213, s18, v214
	v_lshlrev_b32_e32 v213, 2, v213
	v_bfe_u32 v206, v205, 24, 2
	v_and_b32_e32 v205, 0x3030303, v205
	v_and_b32_e32 v213, 0x4040404, v213
	v_sub_u16_e32 v214, v205, v213
	v_sub_u16_sdwa v216, v205, v213 dst_sel:BYTE_1 dst_unused:UNUSED_PAD src0_sel:BYTE_1 src1_sel:BYTE_1
	v_sub_u16_sdwa v205, v205, v213 dst_sel:DWORD dst_unused:UNUSED_PAD src0_sel:WORD_1 src1_sel:WORD_1
	v_sub_u16_sdwa v206, v206, v213 dst_sel:BYTE_1 dst_unused:UNUSED_PAD src0_sel:DWORD src1_sel:BYTE_3
	v_ashrrev_i32_e32 v213, s18, v215
	v_bitop3_b16 v205, v205, v206, s8 bitop3:0xec
	v_ashrrev_i32_e32 v206, s20, v207
	v_lshlrev_b32_e32 v213, 2, v213
	v_bitop3_b16 v214, v214, v216, s8 bitop3:0xec
	v_lshlrev_b32_e32 v205, 16, v205
	v_bfe_u32 v207, v206, 24, 2
	v_and_b32_e32 v206, 0x3030303, v206
	v_and_b32_e32 v213, 0x4040404, v213
	v_or_b32_sdwa v205, v214, v205 dst_sel:DWORD dst_unused:UNUSED_PAD src0_sel:WORD_0 src1_sel:DWORD
	v_sub_u16_e32 v214, v206, v213
	v_sub_u16_sdwa v215, v206, v213 dst_sel:BYTE_1 dst_unused:UNUSED_PAD src0_sel:BYTE_1 src1_sel:BYTE_1
	v_sub_u16_sdwa v206, v206, v213 dst_sel:DWORD dst_unused:UNUSED_PAD src0_sel:WORD_1 src1_sel:WORD_1
	v_sub_u16_sdwa v207, v207, v213 dst_sel:BYTE_1 dst_unused:UNUSED_PAD src0_sel:DWORD src1_sel:BYTE_3
	v_bitop3_b16 v214, v214, v215, s8 bitop3:0xec
	v_bitop3_b16 v206, v206, v207, s8 bitop3:0xec
	v_lshlrev_b32_e32 v206, 16, v206
	v_or_b32_sdwa v206, v214, v206 dst_sel:DWORD dst_unused:UNUSED_PAD src0_sel:WORD_0 src1_sel:DWORD
	ds_read2_b32 v[214:215], v154 offset1:1
	v_and_b32_e32 v208, 0x4040404, v208
	v_dot4c_i32_i8_e32 v228, v205, v0
	v_dot4c_i32_i8_e32 v218, v186, v1
	;; [unrolled: 1-line block ×3, first 2 shown]
	s_waitcnt lgkmcnt(0)
	v_ashrrev_i32_e32 v154, s20, v214
	v_bfe_u32 v207, v154, 24, 2
	v_and_b32_e32 v154, 0x3030303, v154
	v_sub_u16_e32 v213, v154, v208
	v_sub_u16_sdwa v214, v154, v208 dst_sel:BYTE_1 dst_unused:UNUSED_PAD src0_sel:BYTE_1 src1_sel:BYTE_1
	v_sub_u16_sdwa v154, v154, v208 dst_sel:DWORD dst_unused:UNUSED_PAD src0_sel:WORD_1 src1_sel:WORD_1
	v_sub_u16_sdwa v207, v207, v208 dst_sel:BYTE_1 dst_unused:UNUSED_PAD src0_sel:DWORD src1_sel:BYTE_3
	v_bitop3_b16 v213, v213, v214, s8 bitop3:0xec
	v_bitop3_b16 v154, v154, v207, s8 bitop3:0xec
	v_lshlrev_b32_e32 v154, 16, v154
	v_or_b32_sdwa v207, v213, v154 dst_sel:DWORD dst_unused:UNUSED_PAD src0_sel:WORD_0 src1_sel:DWORD
	v_ashrrev_i32_e32 v213, s18, v223
	v_ashrrev_i32_e32 v154, s20, v215
	v_lshlrev_b32_e32 v213, 2, v213
	v_bfe_u32 v208, v154, 24, 2
	v_and_b32_e32 v154, 0x3030303, v154
	v_and_b32_e32 v213, 0x4040404, v213
	v_sub_u16_e32 v214, v154, v213
	v_sub_u16_sdwa v215, v154, v213 dst_sel:BYTE_1 dst_unused:UNUSED_PAD src0_sel:BYTE_1 src1_sel:BYTE_1
	v_sub_u16_sdwa v154, v154, v213 dst_sel:DWORD dst_unused:UNUSED_PAD src0_sel:WORD_1 src1_sel:WORD_1
	v_sub_u16_sdwa v208, v208, v213 dst_sel:BYTE_1 dst_unused:UNUSED_PAD src0_sel:DWORD src1_sel:BYTE_3
	v_mov_b32_e32 v223, 0
	v_bitop3_b16 v154, v154, v208, s8 bitop3:0xec
	v_dot4c_i32_i8_e32 v223, v201, v4
	v_dot4c_i32_i8_e32 v221, v198, v1
	v_bitop3_b16 v214, v214, v215, s8 bitop3:0xec
	v_lshlrev_b32_e32 v154, 16, v154
	v_dot4c_i32_i8_e32 v223, v202, v5
	v_dot4c_i32_i8_e32 v228, v206, v1
	v_dot4c_i32_i8_e32 v210, v160, v6
	v_dot4c_i32_i8_e32 v211, v191, v2
	v_dot4c_i32_i8_e32 v217, v183, v6
	v_dot4c_i32_i8_e32 v218, v187, v2
	v_dot4c_i32_i8_e32 v220, v195, v6
	v_dot4c_i32_i8_e32 v221, v199, v2
	v_or_b32_sdwa v208, v214, v154 dst_sel:DWORD dst_unused:UNUSED_PAD src0_sel:WORD_0 src1_sel:DWORD
	v_add3_u32 v154, s23, v163, v99
	v_dot4c_i32_i8_e32 v223, v203, v6
	v_dot4c_i32_i8_e32 v228, v207, v2
	v_add_u32_e32 v209, s22, v169
	v_dot4c_i32_i8_e32 v210, v161, v7
	v_dot4c_i32_i8_e32 v211, v192, v3
	;; [unrolled: 1-line block ×6, first 2 shown]
	ds_read_b32 v154, v154
	v_dot4c_i32_i8_e32 v223, v204, v7
	v_dot4c_i32_i8_e32 v228, v208, v3
	ds_read_b128 v[0:3], v179 offset:1024
	ds_read_b128 v[4:7], v179 offset:1040
	ds_read_u16 v209, v209 offset:2
	v_mov_b32_e32 v213, 0
	v_mov_b32_e32 v225, 0
	s_waitcnt lgkmcnt(2)
	v_dot4c_i32_i8_e32 v213, v158, v0
	v_dot4c_i32_i8_e32 v213, v159, v1
	s_waitcnt lgkmcnt(1)
	v_dot4c_i32_i8_e32 v225, v189, v4
	v_dot4c_i32_i8_e32 v213, v160, v2
	;; [unrolled: 1-line block ×3, first 2 shown]
	s_waitcnt lgkmcnt(0)
	v_lshrrev_b16_e32 v214, 8, v209
	v_dot4c_i32_i8_e32 v213, v161, v3
	v_dot4c_i32_i8_e32 v225, v191, v6
	v_bfe_i32 v215, v214, 0, 8
	v_bfe_i32 v216, v209, 0, 8
	v_dot4c_i32_i8_e32 v225, v192, v7
	v_mul_lo_u32 v214, v213, v216
	v_mul_lo_u32 v224, v211, v215
	v_add_u32_e32 v212, s22, v170
	v_add_u32_e32 v219, s22, v171
	;; [unrolled: 1-line block ×3, first 2 shown]
	v_mad_u64_u32 v[210:211], s[22:23], v210, v216, v[224:225]
	v_mad_u64_u32 v[224:225], s[22:23], v225, v215, v[214:215]
	v_cvt_f32_i32_e32 v211, v224
	v_cvt_f32_i32_e32 v210, v210
	v_pk_mul_f32 v[226:227], v[148:149], v[156:157] op_sel_hi:[0,1]
	v_mov_b32_e32 v209, 0
	v_dot4c_i32_i8_e32 v209, v181, v0
	v_pk_fma_f32 v[54:55], v[226:227], v[210:211], v[54:55]
	ds_read_u16 v210, v212 offset:2
	v_mov_b32_e32 v211, 0
	v_dot4c_i32_i8_e32 v209, v182, v1
	v_dot4c_i32_i8_e32 v211, v185, v4
	;; [unrolled: 1-line block ×4, first 2 shown]
	s_waitcnt lgkmcnt(0)
	v_lshrrev_b16_e32 v212, 8, v210
	v_dot4c_i32_i8_e32 v209, v184, v3
	v_dot4c_i32_i8_e32 v211, v187, v6
	v_bfe_i32 v213, v212, 0, 8
	v_bfe_i32 v214, v210, 0, 8
	v_dot4c_i32_i8_e32 v211, v188, v7
	v_mul_lo_u32 v210, v209, v214
	v_mul_lo_u32 v212, v218, v213
	v_mad_u64_u32 v[224:225], s[22:23], v217, v214, v[212:213]
	v_mad_u64_u32 v[210:211], s[22:23], v211, v213, v[210:211]
	v_cvt_f32_i32_e32 v211, v210
	v_cvt_f32_i32_e32 v210, v224
	v_pk_mul_f32 v[226:227], v[150:151], v[156:157] op_sel_hi:[0,1]
	v_mov_b32_e32 v209, 0
	v_dot4c_i32_i8_e32 v209, v193, v0
	v_pk_fma_f32 v[136:137], v[226:227], v[210:211], v[136:137]
	ds_read_u16 v210, v219 offset:2
	v_mov_b32_e32 v217, 0
	v_dot4c_i32_i8_e32 v209, v194, v1
	v_dot4c_i32_i8_e32 v217, v197, v4
	;; [unrolled: 1-line block ×4, first 2 shown]
	s_waitcnt lgkmcnt(0)
	v_lshrrev_b16_e32 v211, 8, v210
	v_dot4c_i32_i8_e32 v209, v196, v3
	v_dot4c_i32_i8_e32 v217, v199, v6
	v_bfe_i32 v211, v211, 0, 8
	v_bfe_i32 v212, v210, 0, 8
	v_dot4c_i32_i8_e32 v217, v200, v7
	v_mul_lo_u32 v210, v209, v212
	v_mul_lo_u32 v218, v221, v211
	v_mad_u64_u32 v[218:219], s[22:23], v220, v212, v[218:219]
	v_mad_u64_u32 v[220:221], s[22:23], v217, v211, v[210:211]
	v_mov_b32_e32 v217, 0
	v_dot4c_i32_i8_e32 v217, v201, v0
	ds_read_u16 v0, v222 offset:2
	v_dot4c_i32_i8_e32 v217, v202, v1
	v_mov_b32_e32 v1, 0
	v_dot4c_i32_i8_e32 v1, v205, v4
	v_dot4c_i32_i8_e32 v217, v203, v2
	;; [unrolled: 1-line block ×3, first 2 shown]
	s_waitcnt lgkmcnt(0)
	v_lshrrev_b16_e32 v2, 8, v0
	v_dot4c_i32_i8_e32 v217, v204, v3
	v_dot4c_i32_i8_e32 v1, v207, v6
	v_bfe_i32 v209, v2, 0, 8
	v_bfe_i32 v210, v0, 0, 8
	v_dot4c_i32_i8_e32 v1, v208, v7
	v_mul_lo_u32 v0, v217, v210
	v_mul_lo_u32 v2, v228, v209
                                        ; kill: def $vgpr3 killed $sgpr0 killed $exec
	v_pk_mul_f32 v[4:5], v[154:155], v[156:157] op_sel_hi:[0,1]
	v_mad_u64_u32 v[2:3], s[22:23], v223, v210, v[2:3]
	v_mad_u64_u32 v[0:1], s[22:23], v1, v209, v[0:1]
	v_cvt_f32_i32_e32 v1, v0
	v_cvt_f32_i32_e32 v0, v2
	v_pk_mul_f32 v[224:225], v[152:153], v[156:157] op_sel_hi:[0,1]
	v_cvt_f32_i32_e32 v219, v220
	v_cvt_f32_i32_e32 v218, v218
	v_pk_fma_f32 v[146:147], v[4:5], v[0:1], v[146:147]
	ds_read2_b32 v[156:157], v180 offset0:64 offset1:96
	ds_read_b128 v[0:3], v179 offset:2048
	ds_read_b128 v[4:7], v179 offset:2064
	v_mov_b32_e32 v217, 0
	v_pk_fma_f32 v[142:143], v[224:225], v[218:219], v[142:143]
	v_mov_b32_e32 v219, 0
	v_mov_b32_e32 v224, 0
	;; [unrolled: 1-line block ×7, first 2 shown]
	s_waitcnt lgkmcnt(1)
	v_dot4c_i32_i8_e32 v217, v158, v0
	s_waitcnt lgkmcnt(0)
	v_dot4c_i32_i8_e32 v219, v189, v4
	v_dot4c_i32_i8_e32 v224, v181, v0
	;; [unrolled: 1-line block ×31, first 2 shown]
	ds_read_b128 v[0:3], v179 offset:3072
	ds_read_b128 v[4:7], v179 offset:3088
	v_mov_b32_e32 v218, 0
	v_mov_b32_e32 v222, 0
	v_mul_lo_u32 v220, v219, v215
	s_waitcnt lgkmcnt(1)
	v_dot4c_i32_i8_e32 v218, v158, v0
	v_dot4c_i32_i8_e32 v218, v159, v1
	s_waitcnt lgkmcnt(0)
	v_dot4c_i32_i8_e32 v222, v189, v4
	v_dot4c_i32_i8_e32 v218, v160, v2
	v_dot4c_i32_i8_e32 v222, v190, v5
	v_dot4c_i32_i8_e32 v218, v161, v3
	v_dot4c_i32_i8_e32 v222, v191, v6
	v_dot4c_i32_i8_e32 v222, v192, v7
                                        ; kill: def $vgpr219 killed $sgpr0 killed $exec
	v_mad_u64_u32 v[220:221], s[22:23], v217, v216, v[220:221]
	v_mul_lo_u32 v218, v218, v216
	s_nop 0
	v_mad_u64_u32 v[218:219], s[22:23], v222, v215, v[218:219]
	v_cvt_f32_i32_e32 v219, v218
	v_cvt_f32_i32_e32 v218, v220
	v_pk_mul_f32 v[222:223], v[148:149], v[156:157] op_sel_hi:[0,1]
	v_mov_b32_e32 v217, 0
	v_dot4c_i32_i8_e32 v217, v181, v0
	v_pk_fma_f32 v[120:121], v[222:223], v[218:219], v[120:121]
	v_mov_b32_e32 v219, 0
	v_dot4c_i32_i8_e32 v217, v182, v1
	v_dot4c_i32_i8_e32 v219, v185, v4
	;; [unrolled: 1-line block ×7, first 2 shown]
	v_mul_lo_u32 v220, v225, v213
	v_mul_lo_u32 v218, v217, v214
	v_mad_u64_u32 v[220:221], s[22:23], v224, v214, v[220:221]
	v_mad_u64_u32 v[218:219], s[22:23], v219, v213, v[218:219]
	v_mov_b32_e32 v217, 0
	v_cvt_f32_i32_e32 v219, v218
	v_cvt_f32_i32_e32 v218, v220
	v_dot4c_i32_i8_e32 v217, v193, v0
	v_dot4c_i32_i8_e32 v217, v194, v1
	v_dot4c_i32_i8_e32 v217, v195, v2
	v_pk_mul_f32 v[222:223], v[150:151], v[156:157] op_sel_hi:[0,1]
	v_dot4c_i32_i8_e32 v217, v196, v3
	v_pk_fma_f32 v[130:131], v[222:223], v[218:219], v[130:131]
	v_mov_b32_e32 v219, 0
	v_dot4c_i32_i8_e32 v219, v197, v4
	v_mul_lo_u32 v218, v217, v212
	v_mov_b32_e32 v217, 0
	v_dot4c_i32_i8_e32 v217, v201, v0
	v_dot4c_i32_i8_e32 v217, v202, v1
	v_mov_b32_e32 v1, 0
	v_dot4c_i32_i8_e32 v1, v205, v4
	v_dot4c_i32_i8_e32 v217, v203, v2
	;; [unrolled: 1-line block ×6, first 2 shown]
	v_mul_lo_u32 v2, v229, v209
	v_mul_lo_u32 v0, v217, v210
                                        ; kill: def $vgpr3 killed $sgpr0 killed $exec
	v_dot4c_i32_i8_e32 v219, v198, v5
	v_mad_u64_u32 v[2:3], s[22:23], v228, v210, v[2:3]
	v_mad_u64_u32 v[0:1], s[22:23], v1, v209, v[0:1]
	v_cvt_f32_i32_e32 v1, v0
	v_cvt_f32_i32_e32 v0, v2
	v_dot4c_i32_i8_e32 v219, v199, v6
	v_dot4c_i32_i8_e32 v219, v200, v7
	v_mul_lo_u32 v220, v227, v211
	v_mad_u64_u32 v[220:221], s[22:23], v226, v212, v[220:221]
	s_nop 0
	v_mad_u64_u32 v[218:219], s[22:23], v219, v211, v[218:219]
	v_pk_mul_f32 v[4:5], v[154:155], v[156:157] op_sel_hi:[0,1]
	v_pk_mul_f32 v[222:223], v[152:153], v[156:157] op_sel_hi:[0,1]
	v_cvt_f32_i32_e32 v219, v218
	v_cvt_f32_i32_e32 v218, v220
	v_pk_fma_f32 v[144:145], v[4:5], v[0:1], v[144:145]
	ds_read2_b32 v[156:157], v180 offset0:128 offset1:160
	ds_read_b128 v[0:3], v179 offset:4096
	ds_read_b128 v[4:7], v179 offset:4112
	v_mov_b32_e32 v217, 0
	v_pk_fma_f32 v[138:139], v[222:223], v[218:219], v[138:139]
	v_mov_b32_e32 v219, 0
	v_mov_b32_e32 v224, 0
	;; [unrolled: 1-line block ×7, first 2 shown]
	s_waitcnt lgkmcnt(1)
	v_dot4c_i32_i8_e32 v217, v158, v0
	s_waitcnt lgkmcnt(0)
	v_dot4c_i32_i8_e32 v219, v189, v4
	v_dot4c_i32_i8_e32 v224, v181, v0
	v_dot4c_i32_i8_e32 v225, v185, v4
	v_dot4c_i32_i8_e32 v226, v193, v0
	v_dot4c_i32_i8_e32 v227, v197, v4
	v_dot4c_i32_i8_e32 v228, v201, v0
	v_dot4c_i32_i8_e32 v229, v205, v4
	v_dot4c_i32_i8_e32 v217, v159, v1
	v_dot4c_i32_i8_e32 v219, v190, v5
	v_dot4c_i32_i8_e32 v224, v182, v1
	v_dot4c_i32_i8_e32 v225, v186, v5
	v_dot4c_i32_i8_e32 v226, v194, v1
	v_dot4c_i32_i8_e32 v227, v198, v5
	v_dot4c_i32_i8_e32 v228, v202, v1
	v_dot4c_i32_i8_e32 v229, v206, v5
	v_dot4c_i32_i8_e32 v217, v160, v2
	v_dot4c_i32_i8_e32 v219, v191, v6
	v_dot4c_i32_i8_e32 v224, v183, v2
	v_dot4c_i32_i8_e32 v225, v187, v6
	v_dot4c_i32_i8_e32 v226, v195, v2
	v_dot4c_i32_i8_e32 v227, v199, v6
	v_dot4c_i32_i8_e32 v228, v203, v2
	v_dot4c_i32_i8_e32 v229, v207, v6
	v_dot4c_i32_i8_e32 v217, v161, v3
	v_dot4c_i32_i8_e32 v219, v192, v7
	v_dot4c_i32_i8_e32 v224, v184, v3
	v_dot4c_i32_i8_e32 v225, v188, v7
	v_dot4c_i32_i8_e32 v226, v196, v3
	v_dot4c_i32_i8_e32 v227, v200, v7
	v_dot4c_i32_i8_e32 v228, v204, v3
	v_dot4c_i32_i8_e32 v229, v208, v7
	ds_read_b128 v[0:3], v179 offset:5120
	ds_read_b128 v[4:7], v179 offset:5136
	v_mov_b32_e32 v218, 0
	v_mov_b32_e32 v222, 0
	v_mul_lo_u32 v220, v219, v215
	s_waitcnt lgkmcnt(1)
	v_dot4c_i32_i8_e32 v218, v158, v0
	v_dot4c_i32_i8_e32 v218, v159, v1
	s_waitcnt lgkmcnt(0)
	v_dot4c_i32_i8_e32 v222, v189, v4
	v_dot4c_i32_i8_e32 v218, v160, v2
	;; [unrolled: 1-line block ×6, first 2 shown]
                                        ; kill: def $vgpr219 killed $sgpr0 killed $exec
	v_mad_u64_u32 v[220:221], s[22:23], v217, v216, v[220:221]
	v_mul_lo_u32 v218, v218, v216
	s_nop 0
	v_mad_u64_u32 v[218:219], s[22:23], v222, v215, v[218:219]
	v_cvt_f32_i32_e32 v219, v218
	v_cvt_f32_i32_e32 v218, v220
	v_pk_mul_f32 v[222:223], v[148:149], v[156:157] op_sel_hi:[0,1]
	v_mov_b32_e32 v217, 0
	v_dot4c_i32_i8_e32 v217, v181, v0
	v_pk_fma_f32 v[116:117], v[222:223], v[218:219], v[116:117]
	v_mov_b32_e32 v219, 0
	v_dot4c_i32_i8_e32 v217, v182, v1
	v_dot4c_i32_i8_e32 v219, v185, v4
	;; [unrolled: 1-line block ×7, first 2 shown]
	v_mul_lo_u32 v220, v225, v213
	v_mul_lo_u32 v218, v217, v214
	v_mad_u64_u32 v[220:221], s[22:23], v224, v214, v[220:221]
	v_mad_u64_u32 v[218:219], s[22:23], v219, v213, v[218:219]
	v_mov_b32_e32 v217, 0
	v_cvt_f32_i32_e32 v219, v218
	v_cvt_f32_i32_e32 v218, v220
	v_dot4c_i32_i8_e32 v217, v193, v0
	v_dot4c_i32_i8_e32 v217, v194, v1
	;; [unrolled: 1-line block ×3, first 2 shown]
	v_pk_mul_f32 v[222:223], v[150:151], v[156:157] op_sel_hi:[0,1]
	v_dot4c_i32_i8_e32 v217, v196, v3
	v_pk_fma_f32 v[122:123], v[222:223], v[218:219], v[122:123]
	v_mov_b32_e32 v219, 0
	v_dot4c_i32_i8_e32 v219, v197, v4
	v_mul_lo_u32 v218, v217, v212
	v_mov_b32_e32 v217, 0
	v_dot4c_i32_i8_e32 v217, v201, v0
	v_dot4c_i32_i8_e32 v217, v202, v1
	v_mov_b32_e32 v1, 0
	v_dot4c_i32_i8_e32 v1, v205, v4
	v_dot4c_i32_i8_e32 v217, v203, v2
	;; [unrolled: 1-line block ×6, first 2 shown]
	v_mul_lo_u32 v2, v229, v209
	v_mul_lo_u32 v0, v217, v210
                                        ; kill: def $vgpr3 killed $sgpr0 killed $exec
	v_dot4c_i32_i8_e32 v219, v198, v5
	v_mad_u64_u32 v[2:3], s[22:23], v228, v210, v[2:3]
	v_mad_u64_u32 v[0:1], s[22:23], v1, v209, v[0:1]
	v_cvt_f32_i32_e32 v1, v0
	v_cvt_f32_i32_e32 v0, v2
	v_dot4c_i32_i8_e32 v219, v199, v6
	v_dot4c_i32_i8_e32 v219, v200, v7
	v_mul_lo_u32 v220, v227, v211
	v_mad_u64_u32 v[220:221], s[22:23], v226, v212, v[220:221]
	s_nop 0
	v_mad_u64_u32 v[218:219], s[22:23], v219, v211, v[218:219]
	v_pk_mul_f32 v[4:5], v[154:155], v[156:157] op_sel_hi:[0,1]
	v_pk_mul_f32 v[222:223], v[152:153], v[156:157] op_sel_hi:[0,1]
	v_cvt_f32_i32_e32 v219, v218
	v_cvt_f32_i32_e32 v218, v220
	v_pk_fma_f32 v[140:141], v[4:5], v[0:1], v[140:141]
	ds_read2_b32 v[156:157], v180 offset0:192 offset1:224
	ds_read_b128 v[0:3], v179 offset:6144
	ds_read_b128 v[4:7], v179 offset:6160
	v_mov_b32_e32 v224, 0
	v_pk_fma_f32 v[132:133], v[222:223], v[218:219], v[132:133]
	v_mov_b32_e32 v223, 0
	v_mov_b32_e32 v221, 0
	;; [unrolled: 1-line block ×7, first 2 shown]
	s_waitcnt lgkmcnt(1)
	v_dot4c_i32_i8_e32 v223, v158, v0
	s_waitcnt lgkmcnt(0)
	v_dot4c_i32_i8_e32 v224, v189, v4
	v_dot4c_i32_i8_e32 v221, v181, v0
	;; [unrolled: 1-line block ×31, first 2 shown]
	ds_read_b128 v[4:7], v179 offset:7168
	ds_read_b128 v[0:3], v179 offset:7184
	v_mov_b32_e32 v225, 0
	s_add_i32 s19, s19, 2
	s_add_i32 s18, s18, 1
	s_waitcnt lgkmcnt(1)
	v_dot4c_i32_i8_e32 v225, v158, v4
	v_dot4c_i32_i8_e32 v225, v159, v5
	;; [unrolled: 1-line block ×4, first 2 shown]
	v_mov_b32_e32 v161, 0
	s_waitcnt lgkmcnt(0)
	v_dot4c_i32_i8_e32 v161, v189, v0
	v_dot4c_i32_i8_e32 v161, v190, v1
	;; [unrolled: 1-line block ×4, first 2 shown]
	v_mul_lo_u32 v160, v225, v216
	v_mul_lo_u32 v158, v224, v215
                                        ; kill: def $vgpr159 killed $sgpr0 killed $exec
	v_pk_mul_f32 v[190:191], v[148:149], v[156:157] op_sel_hi:[0,1]
	v_mad_u64_u32 v[158:159], s[22:23], v223, v216, v[158:159]
	v_mad_u64_u32 v[160:161], s[22:23], v161, v215, v[160:161]
	v_mov_b32_e32 v148, 0
	v_cvt_f32_i32_e32 v159, v160
	v_cvt_f32_i32_e32 v158, v158
	v_dot4c_i32_i8_e32 v148, v181, v4
	v_mov_b32_e32 v160, 0
	v_dot4c_i32_i8_e32 v148, v182, v5
	v_dot4c_i32_i8_e32 v160, v185, v0
	;; [unrolled: 1-line block ×6, first 2 shown]
	v_pk_fma_f32 v[114:115], v[190:191], v[158:159], v[114:115]
	v_dot4c_i32_i8_e32 v160, v188, v3
	v_mul_lo_u32 v148, v148, v214
	v_mul_lo_u32 v158, v222, v213
                                        ; kill: def $vgpr159 killed $sgpr0 killed $exec
	v_pk_mul_f32 v[182:183], v[150:151], v[156:157] op_sel_hi:[0,1]
	v_mad_u64_u32 v[158:159], s[22:23], v221, v214, v[158:159]
	v_mad_u64_u32 v[160:161], s[22:23], v160, v213, v[148:149]
	v_mov_b32_e32 v148, 0
	v_cvt_f32_i32_e32 v159, v160
	v_dot4c_i32_i8_e32 v148, v193, v4
	v_mov_b32_e32 v160, 0
	v_dot4c_i32_i8_e32 v148, v194, v5
	v_dot4c_i32_i8_e32 v160, v197, v0
	;; [unrolled: 1-line block ×7, first 2 shown]
	v_cvt_f32_i32_e32 v158, v158
	v_mul_lo_u32 v148, v148, v212
	v_mul_lo_u32 v150, v220, v211
	v_mad_u64_u32 v[160:161], s[22:23], v160, v211, v[148:149]
	v_mov_b32_e32 v148, 0
	v_dot4c_i32_i8_e32 v148, v201, v4
	v_mov_b32_e32 v4, 0
	v_dot4c_i32_i8_e32 v148, v202, v5
	v_dot4c_i32_i8_e32 v4, v205, v0
	;; [unrolled: 1-line block ×7, first 2 shown]
	v_mul_lo_u32 v0, v218, v209
	v_mul_lo_u32 v2, v148, v210
                                        ; kill: def $vgpr1 killed $sgpr0 killed $exec
	v_pk_fma_f32 v[118:119], v[182:183], v[158:159], v[118:119]
	v_mad_u64_u32 v[158:159], s[22:23], v219, v212, v[150:151]
	v_mad_u64_u32 v[0:1], s[22:23], v217, v210, v[0:1]
	;; [unrolled: 1-line block ×3, first 2 shown]
	v_cvt_f32_i32_e32 v159, v160
	v_cvt_f32_i32_e32 v158, v158
	;; [unrolled: 1-line block ×4, first 2 shown]
	v_pk_mul_f32 v[182:183], v[152:153], v[156:157] op_sel_hi:[0,1]
	v_pk_mul_f32 v[4:5], v[154:155], v[156:157] op_sel_hi:[0,1]
	v_pk_fma_f32 v[124:125], v[182:183], v[158:159], v[124:125]
	v_pk_fma_f32 v[134:135], v[4:5], v[0:1], v[134:135]
	v_add_u32_e32 v180, 4, v180
	v_add_u32_e32 v179, 32, v179
	s_cmp_lt_u32 s20, 6
	s_mov_b32 s22, s20
	s_cbranch_scc1 .LBB150_7
; %bb.8:                                ;   in Loop: Header=BB150_6 Depth=1
	v_add_u32_e32 v148, s17, v89
	v_add_u32_e32 v150, v148, v67
	v_mad_i64_i32 v[156:157], s[18:19], v150, 36, v[52:53]
	v_add_u32_e32 v150, v148, v69
	v_add_u32_e32 v0, v148, v59
	;; [unrolled: 1-line block ×5, first 2 shown]
	v_mad_i64_i32 v[158:159], s[18:19], v150, 36, v[52:53]
	v_add_u32_e32 v150, v148, v71
	v_add_u32_e32 v148, v148, v73
	v_mad_i64_i32 v[180:181], s[18:19], v148, 36, v[52:53]
	v_add_u32_e32 v148, 4, v177
	v_mad_i64_i32 v[0:1], s[18:19], v0, 36, v[52:53]
	v_mad_i64_i32 v[2:3], s[18:19], v2, 36, v[52:53]
	;; [unrolled: 1-line block ×4, first 2 shown]
	v_mad_u64_u32 v[182:183], s[18:19], v148, 36, s[2:3]
	s_barrier
	v_mad_i64_i32 v[160:161], s[18:19], v150, 36, v[52:53]
	global_load_dword v148, v[182:183], off
	s_nop 0
	global_load_dword v0, v[0:1], off offset:4
	s_nop 0
	global_load_dword v1, v[2:3], off offset:4
	;; [unrolled: 2-line block ×3, first 2 shown]
	global_load_dword v3, v[6:7], off offset:4
	s_nop 0
	global_load_dword v4, v[156:157], off offset:4
	global_load_dword v5, v[158:159], off offset:4
	;; [unrolled: 1-line block ×4, first 2 shown]
	s_mov_b32 s18, 4
	s_mov_b32 s19, 8
	;; [unrolled: 1-line block ×3, first 2 shown]
	v_mov_b32_e32 v179, v173
	v_mov_b32_e32 v180, v103
	s_waitcnt vmcnt(8)
	v_cvt_f32_f16_e32 v148, v148
	s_waitcnt vmcnt(7)
	ds_write_b32 v178, v0
	s_waitcnt vmcnt(6)
	ds_write_b32 v105, v1
	;; [unrolled: 2-line block ×8, first 2 shown]
	ds_write_b32 v57, v148
	s_waitcnt lgkmcnt(0)
	s_barrier
.LBB150_9:                              ;   Parent Loop BB150_6 Depth=1
                                        ; =>  This Inner Loop Header: Depth=2
	s_add_i32 s20, s22, 2
	s_lshr_b32 s25, s20, 4
	s_and_b32 s23, s20, 0x3ffffff8
	v_lshl_add_u32 v154, s23, 2, v167
	s_lshl_b32 s23, s25, 5
	s_addk_i32 s23, 0x4200
	v_add3_u32 v152, s23, v174, v168
	ds_read2_b32 v[156:157], v180 offset1:32
	ds_read_b128 v[4:7], v179
	ds_read_b128 v[0:3], v179 offset:16
	ds_read2_b32 v[158:159], v154 offset1:1
	ds_read2_b32 v[160:161], v152 offset1:1
	ds_read2_b32 v[182:183], v152 offset0:2 offset1:3
	ds_read2_b32 v[184:185], v152 offset0:4 offset1:5
	s_add_i32 s21, s22, -6
	s_waitcnt lgkmcnt(3)
	v_ashrrev_i32_e32 v148, s21, v158
	s_waitcnt lgkmcnt(2)
	v_ashrrev_i32_e32 v158, s18, v160
	v_lshlrev_b32_e32 v158, 2, v158
	v_bfe_u32 v150, v148, 24, 2
	v_and_b32_e32 v148, 0x3030303, v148
	v_and_b32_e32 v158, 0x4040404, v158
	v_sub_u16_e32 v160, v148, v158
	v_sub_u16_sdwa v181, v148, v158 dst_sel:BYTE_1 dst_unused:UNUSED_PAD src0_sel:BYTE_1 src1_sel:BYTE_1
	v_sub_u16_sdwa v148, v148, v158 dst_sel:DWORD dst_unused:UNUSED_PAD src0_sel:WORD_1 src1_sel:WORD_1
	v_sub_u16_sdwa v150, v150, v158 dst_sel:BYTE_1 dst_unused:UNUSED_PAD src0_sel:DWORD src1_sel:BYTE_3
	v_bitop3_b16 v160, v160, v181, s8 bitop3:0xec
	v_bitop3_b16 v148, v148, v150, s8 bitop3:0xec
	v_lshlrev_b32_e32 v148, 16, v148
	v_or_b32_sdwa v158, v160, v148 dst_sel:DWORD dst_unused:UNUSED_PAD src0_sel:WORD_0 src1_sel:DWORD
	v_ashrrev_i32_e32 v148, s21, v159
	v_ashrrev_i32_e32 v159, s18, v161
	v_lshlrev_b32_e32 v159, 2, v159
	v_bfe_u32 v150, v148, 24, 2
	v_and_b32_e32 v148, 0x3030303, v148
	v_and_b32_e32 v159, 0x4040404, v159
	v_sub_u16_e32 v160, v148, v159
	v_sub_u16_sdwa v161, v148, v159 dst_sel:BYTE_1 dst_unused:UNUSED_PAD src0_sel:BYTE_1 src1_sel:BYTE_1
	v_sub_u16_sdwa v148, v148, v159 dst_sel:DWORD dst_unused:UNUSED_PAD src0_sel:WORD_1 src1_sel:WORD_1
	v_sub_u16_sdwa v150, v150, v159 dst_sel:BYTE_1 dst_unused:UNUSED_PAD src0_sel:DWORD src1_sel:BYTE_3
	v_bitop3_b16 v160, v160, v161, s8 bitop3:0xec
	v_bitop3_b16 v148, v148, v150, s8 bitop3:0xec
	v_lshlrev_b32_e32 v148, 16, v148
	v_or_b32_sdwa v159, v160, v148 dst_sel:DWORD dst_unused:UNUSED_PAD src0_sel:WORD_0 src1_sel:DWORD
	ds_read2_b32 v[160:161], v154 offset0:2 offset1:3
	s_and_b32 s24, s19, -16
	s_add_i32 s22, s22, s24
	s_lshl_b32 s24, s25, 2
	s_add_i32 s24, s24, 0x9380
	s_waitcnt lgkmcnt(0)
	v_ashrrev_i32_e32 v148, s21, v160
	v_ashrrev_i32_e32 v160, s18, v182
	v_lshlrev_b32_e32 v160, 2, v160
	v_bfe_u32 v150, v148, 24, 2
	v_and_b32_e32 v148, 0x3030303, v148
	v_and_b32_e32 v160, 0x4040404, v160
	v_sub_u16_e32 v181, v148, v160
	v_sub_u16_sdwa v182, v148, v160 dst_sel:BYTE_1 dst_unused:UNUSED_PAD src0_sel:BYTE_1 src1_sel:BYTE_1
	v_sub_u16_sdwa v148, v148, v160 dst_sel:DWORD dst_unused:UNUSED_PAD src0_sel:WORD_1 src1_sel:WORD_1
	v_sub_u16_sdwa v150, v150, v160 dst_sel:BYTE_1 dst_unused:UNUSED_PAD src0_sel:DWORD src1_sel:BYTE_3
	v_bitop3_b16 v181, v181, v182, s8 bitop3:0xec
	v_bitop3_b16 v148, v148, v150, s8 bitop3:0xec
	v_lshlrev_b32_e32 v148, 16, v148
	v_or_b32_sdwa v160, v181, v148 dst_sel:DWORD dst_unused:UNUSED_PAD src0_sel:WORD_0 src1_sel:DWORD
	v_ashrrev_i32_e32 v148, s21, v161
	v_ashrrev_i32_e32 v161, s18, v183
	v_lshlrev_b32_e32 v161, 2, v161
	v_bfe_u32 v150, v148, 24, 2
	v_and_b32_e32 v148, 0x3030303, v148
	v_and_b32_e32 v161, 0x4040404, v161
	v_sub_u16_e32 v181, v148, v161
	v_sub_u16_sdwa v182, v148, v161 dst_sel:BYTE_1 dst_unused:UNUSED_PAD src0_sel:BYTE_1 src1_sel:BYTE_1
	v_sub_u16_sdwa v148, v148, v161 dst_sel:DWORD dst_unused:UNUSED_PAD src0_sel:WORD_1 src1_sel:WORD_1
	v_bitop3_b16 v181, v181, v182, s8 bitop3:0xec
	ds_read2_b32 v[182:183], v154 offset0:4 offset1:5
	v_sub_u16_sdwa v150, v150, v161 dst_sel:BYTE_1 dst_unused:UNUSED_PAD src0_sel:DWORD src1_sel:BYTE_3
	v_add3_u32 v188, s23, v149, v83
	v_bitop3_b16 v148, v148, v150, s8 bitop3:0xec
	v_lshlrev_b32_e32 v148, 16, v148
	v_or_b32_sdwa v161, v181, v148 dst_sel:DWORD dst_unused:UNUSED_PAD src0_sel:WORD_0 src1_sel:DWORD
	v_ashrrev_i32_e32 v181, s18, v184
	s_waitcnt lgkmcnt(0)
	v_ashrrev_i32_e32 v148, s21, v182
	v_lshlrev_b32_e32 v181, 2, v181
	v_bfe_u32 v150, v148, 24, 2
	v_and_b32_e32 v148, 0x3030303, v148
	v_and_b32_e32 v181, 0x4040404, v181
	v_sub_u16_e32 v182, v148, v181
	v_sub_u16_sdwa v184, v148, v181 dst_sel:BYTE_1 dst_unused:UNUSED_PAD src0_sel:BYTE_1 src1_sel:BYTE_1
	v_sub_u16_sdwa v148, v148, v181 dst_sel:DWORD dst_unused:UNUSED_PAD src0_sel:WORD_1 src1_sel:WORD_1
	v_sub_u16_sdwa v150, v150, v181 dst_sel:BYTE_1 dst_unused:UNUSED_PAD src0_sel:DWORD src1_sel:BYTE_3
	v_bitop3_b16 v182, v182, v184, s8 bitop3:0xec
	v_bitop3_b16 v148, v148, v150, s8 bitop3:0xec
	v_lshlrev_b32_e32 v148, 16, v148
	v_ashrrev_i32_e32 v181, s18, v185
	v_or_b32_sdwa v189, v182, v148 dst_sel:DWORD dst_unused:UNUSED_PAD src0_sel:WORD_0 src1_sel:DWORD
	v_ashrrev_i32_e32 v148, s21, v183
	v_lshlrev_b32_e32 v181, 2, v181
	v_bfe_u32 v150, v148, 24, 2
	v_and_b32_e32 v148, 0x3030303, v148
	v_and_b32_e32 v181, 0x4040404, v181
	v_sub_u16_e32 v182, v148, v181
	v_sub_u16_sdwa v183, v148, v181 dst_sel:BYTE_1 dst_unused:UNUSED_PAD src0_sel:BYTE_1 src1_sel:BYTE_1
	v_sub_u16_sdwa v148, v148, v181 dst_sel:DWORD dst_unused:UNUSED_PAD src0_sel:WORD_1 src1_sel:WORD_1
	v_sub_u16_sdwa v150, v150, v181 dst_sel:BYTE_1 dst_unused:UNUSED_PAD src0_sel:DWORD src1_sel:BYTE_3
	v_bitop3_b16 v182, v182, v183, s8 bitop3:0xec
	v_bitop3_b16 v148, v148, v150, s8 bitop3:0xec
	v_lshlrev_b32_e32 v148, 16, v148
	v_or_b32_sdwa v190, v182, v148 dst_sel:DWORD dst_unused:UNUSED_PAD src0_sel:WORD_0 src1_sel:DWORD
	ds_read2_b32 v[182:183], v154 offset0:6 offset1:7
	ds_read2_b32 v[184:185], v152 offset0:6 offset1:7
	;; [unrolled: 1-line block ×4, first 2 shown]
	v_add3_u32 v202, s23, v153, v91
	s_waitcnt lgkmcnt(3)
	v_ashrrev_i32_e32 v148, s21, v182
	s_waitcnt lgkmcnt(2)
	v_ashrrev_i32_e32 v152, s18, v184
	v_lshlrev_b32_e32 v152, 2, v152
	v_bfe_u32 v150, v148, 24, 2
	v_and_b32_e32 v148, 0x3030303, v148
	v_and_b32_e32 v152, 0x4040404, v152
	v_sub_u16_e32 v181, v148, v152
	v_sub_u16_sdwa v182, v148, v152 dst_sel:BYTE_1 dst_unused:UNUSED_PAD src0_sel:BYTE_1 src1_sel:BYTE_1
	v_sub_u16_sdwa v148, v148, v152 dst_sel:DWORD dst_unused:UNUSED_PAD src0_sel:WORD_1 src1_sel:WORD_1
	v_sub_u16_sdwa v150, v150, v152 dst_sel:BYTE_1 dst_unused:UNUSED_PAD src0_sel:DWORD src1_sel:BYTE_3
	v_bitop3_b16 v181, v181, v182, s8 bitop3:0xec
	v_bitop3_b16 v148, v148, v150, s8 bitop3:0xec
	v_lshlrev_b32_e32 v148, 16, v148
	v_ashrrev_i32_e32 v152, s18, v185
	v_or_b32_sdwa v191, v181, v148 dst_sel:DWORD dst_unused:UNUSED_PAD src0_sel:WORD_0 src1_sel:DWORD
	v_ashrrev_i32_e32 v148, s21, v183
	v_lshlrev_b32_e32 v152, 2, v152
	v_bfe_u32 v150, v148, 24, 2
	v_and_b32_e32 v148, 0x3030303, v148
	v_and_b32_e32 v152, 0x4040404, v152
	v_sub_u16_e32 v181, v148, v152
	v_sub_u16_sdwa v182, v148, v152 dst_sel:BYTE_1 dst_unused:UNUSED_PAD src0_sel:BYTE_1 src1_sel:BYTE_1
	v_sub_u16_sdwa v148, v148, v152 dst_sel:DWORD dst_unused:UNUSED_PAD src0_sel:WORD_1 src1_sel:WORD_1
	v_sub_u16_sdwa v150, v150, v152 dst_sel:BYTE_1 dst_unused:UNUSED_PAD src0_sel:DWORD src1_sel:BYTE_3
	v_bitop3_b16 v181, v181, v182, s8 bitop3:0xec
	v_bitop3_b16 v148, v148, v150, s8 bitop3:0xec
	v_lshlrev_b32_e32 v148, 16, v148
	v_or_b32_sdwa v192, v181, v148 dst_sel:DWORD dst_unused:UNUSED_PAD src0_sel:WORD_0 src1_sel:DWORD
	v_add3_u32 v148, s24, v175, v176
	v_add_u32_e32 v150, 0x1080, v154
	ds_read_b32 v148, v148
	ds_read2_b32 v[182:183], v150 offset1:1
	ds_read2_b32 v[184:185], v188 offset1:1
	ds_read2_b32 v[196:197], v188 offset0:6 offset1:7
	v_add3_u32 v208, s23, v162, v97
	v_mov_b32_e32 v210, 0
	s_waitcnt lgkmcnt(2)
	v_ashrrev_i32_e32 v150, s21, v182
	s_waitcnt lgkmcnt(1)
	v_ashrrev_i32_e32 v181, s18, v184
	v_lshlrev_b32_e32 v181, 2, v181
	v_bfe_u32 v152, v150, 24, 2
	v_and_b32_e32 v150, 0x3030303, v150
	v_and_b32_e32 v181, 0x4040404, v181
	v_sub_u16_e32 v182, v150, v181
	v_sub_u16_sdwa v184, v150, v181 dst_sel:BYTE_1 dst_unused:UNUSED_PAD src0_sel:BYTE_1 src1_sel:BYTE_1
	v_sub_u16_sdwa v150, v150, v181 dst_sel:DWORD dst_unused:UNUSED_PAD src0_sel:WORD_1 src1_sel:WORD_1
	v_sub_u16_sdwa v152, v152, v181 dst_sel:BYTE_1 dst_unused:UNUSED_PAD src0_sel:DWORD src1_sel:BYTE_3
	v_bitop3_b16 v182, v182, v184, s8 bitop3:0xec
	v_bitop3_b16 v150, v150, v152, s8 bitop3:0xec
	v_lshlrev_b32_e32 v150, 16, v150
	v_or_b32_sdwa v181, v182, v150 dst_sel:DWORD dst_unused:UNUSED_PAD src0_sel:WORD_0 src1_sel:DWORD
	v_ashrrev_i32_e32 v182, s18, v185
	v_ashrrev_i32_e32 v150, s21, v183
	v_lshlrev_b32_e32 v182, 2, v182
	v_bfe_u32 v152, v150, 24, 2
	v_and_b32_e32 v150, 0x3030303, v150
	v_and_b32_e32 v182, 0x4040404, v182
	v_sub_u16_e32 v183, v150, v182
	v_sub_u16_sdwa v184, v150, v182 dst_sel:BYTE_1 dst_unused:UNUSED_PAD src0_sel:BYTE_1 src1_sel:BYTE_1
	v_sub_u16_sdwa v150, v150, v182 dst_sel:DWORD dst_unused:UNUSED_PAD src0_sel:WORD_1 src1_sel:WORD_1
	v_sub_u16_sdwa v152, v152, v182 dst_sel:BYTE_1 dst_unused:UNUSED_PAD src0_sel:DWORD src1_sel:BYTE_3
	v_bitop3_b16 v183, v183, v184, s8 bitop3:0xec
	v_bitop3_b16 v150, v150, v152, s8 bitop3:0xec
	v_lshlrev_b32_e32 v150, 16, v150
	v_or_b32_sdwa v182, v183, v150 dst_sel:DWORD dst_unused:UNUSED_PAD src0_sel:WORD_0 src1_sel:DWORD
	v_add_u32_e32 v150, 0x1088, v154
	ds_read2_b32 v[184:185], v150 offset1:1
	v_ashrrev_i32_e32 v183, s18, v186
	v_lshlrev_b32_e32 v183, 2, v183
	v_and_b32_e32 v183, 0x4040404, v183
	v_mov_b32_e32 v211, 0
	s_waitcnt lgkmcnt(0)
	v_ashrrev_i32_e32 v150, s21, v184
	v_bfe_u32 v152, v150, 24, 2
	v_and_b32_e32 v150, 0x3030303, v150
	v_sub_u16_e32 v184, v150, v183
	v_sub_u16_sdwa v186, v150, v183 dst_sel:BYTE_1 dst_unused:UNUSED_PAD src0_sel:BYTE_1 src1_sel:BYTE_1
	v_sub_u16_sdwa v150, v150, v183 dst_sel:DWORD dst_unused:UNUSED_PAD src0_sel:WORD_1 src1_sel:WORD_1
	v_sub_u16_sdwa v152, v152, v183 dst_sel:BYTE_1 dst_unused:UNUSED_PAD src0_sel:DWORD src1_sel:BYTE_3
	v_bitop3_b16 v184, v184, v186, s8 bitop3:0xec
	v_bitop3_b16 v150, v150, v152, s8 bitop3:0xec
	v_lshlrev_b32_e32 v150, 16, v150
	v_or_b32_sdwa v183, v184, v150 dst_sel:DWORD dst_unused:UNUSED_PAD src0_sel:WORD_0 src1_sel:DWORD
	v_ashrrev_i32_e32 v184, s18, v187
	v_ashrrev_i32_e32 v150, s21, v185
	v_lshlrev_b32_e32 v184, 2, v184
	v_bfe_u32 v152, v150, 24, 2
	v_and_b32_e32 v150, 0x3030303, v150
	v_and_b32_e32 v184, 0x4040404, v184
	v_sub_u16_e32 v185, v150, v184
	v_sub_u16_sdwa v186, v150, v184 dst_sel:BYTE_1 dst_unused:UNUSED_PAD src0_sel:BYTE_1 src1_sel:BYTE_1
	v_sub_u16_sdwa v150, v150, v184 dst_sel:DWORD dst_unused:UNUSED_PAD src0_sel:WORD_1 src1_sel:WORD_1
	v_sub_u16_sdwa v152, v152, v184 dst_sel:BYTE_1 dst_unused:UNUSED_PAD src0_sel:DWORD src1_sel:BYTE_3
	v_bitop3_b16 v185, v185, v186, s8 bitop3:0xec
	v_bitop3_b16 v150, v150, v152, s8 bitop3:0xec
	v_lshlrev_b32_e32 v150, 16, v150
	v_or_b32_sdwa v184, v185, v150 dst_sel:DWORD dst_unused:UNUSED_PAD src0_sel:WORD_0 src1_sel:DWORD
	v_add_u32_e32 v150, 0x1090, v154
	ds_read2_b32 v[186:187], v150 offset1:1
	v_ashrrev_i32_e32 v185, s18, v194
	v_lshlrev_b32_e32 v185, 2, v185
	v_and_b32_e32 v185, 0x4040404, v185
	v_mov_b32_e32 v213, 0
	s_waitcnt lgkmcnt(0)
	v_ashrrev_i32_e32 v150, s21, v186
	v_bfe_u32 v152, v150, 24, 2
	v_and_b32_e32 v150, 0x3030303, v150
	v_sub_u16_e32 v186, v150, v185
	v_sub_u16_sdwa v193, v150, v185 dst_sel:BYTE_1 dst_unused:UNUSED_PAD src0_sel:BYTE_1 src1_sel:BYTE_1
	v_sub_u16_sdwa v150, v150, v185 dst_sel:DWORD dst_unused:UNUSED_PAD src0_sel:WORD_1 src1_sel:WORD_1
	v_sub_u16_sdwa v152, v152, v185 dst_sel:BYTE_1 dst_unused:UNUSED_PAD src0_sel:DWORD src1_sel:BYTE_3
	v_bitop3_b16 v186, v186, v193, s8 bitop3:0xec
	v_bitop3_b16 v150, v150, v152, s8 bitop3:0xec
	v_lshlrev_b32_e32 v150, 16, v150
	v_or_b32_sdwa v185, v186, v150 dst_sel:DWORD dst_unused:UNUSED_PAD src0_sel:WORD_0 src1_sel:DWORD
	v_ashrrev_i32_e32 v186, s18, v195
	v_ashrrev_i32_e32 v150, s21, v187
	v_lshlrev_b32_e32 v186, 2, v186
	v_bfe_u32 v152, v150, 24, 2
	v_and_b32_e32 v150, 0x3030303, v150
	v_and_b32_e32 v186, 0x4040404, v186
	v_sub_u16_e32 v187, v150, v186
	v_sub_u16_sdwa v193, v150, v186 dst_sel:BYTE_1 dst_unused:UNUSED_PAD src0_sel:BYTE_1 src1_sel:BYTE_1
	v_sub_u16_sdwa v150, v150, v186 dst_sel:DWORD dst_unused:UNUSED_PAD src0_sel:WORD_1 src1_sel:WORD_1
	v_sub_u16_sdwa v152, v152, v186 dst_sel:BYTE_1 dst_unused:UNUSED_PAD src0_sel:DWORD src1_sel:BYTE_3
	v_bitop3_b16 v187, v187, v193, s8 bitop3:0xec
	v_bitop3_b16 v150, v150, v152, s8 bitop3:0xec
	v_lshlrev_b32_e32 v150, 16, v150
	v_or_b32_sdwa v186, v187, v150 dst_sel:DWORD dst_unused:UNUSED_PAD src0_sel:WORD_0 src1_sel:DWORD
	v_add_u32_e32 v150, 0x1098, v154
	ds_read2_b32 v[194:195], v150 offset1:1
	v_ashrrev_i32_e32 v187, s18, v196
	v_lshlrev_b32_e32 v187, 2, v187
	v_and_b32_e32 v187, 0x4040404, v187
	v_mov_b32_e32 v217, 0
	s_waitcnt lgkmcnt(0)
	v_ashrrev_i32_e32 v150, s21, v194
	v_bfe_u32 v152, v150, 24, 2
	v_and_b32_e32 v150, 0x3030303, v150
	v_sub_u16_e32 v188, v150, v187
	v_sub_u16_sdwa v193, v150, v187 dst_sel:BYTE_1 dst_unused:UNUSED_PAD src0_sel:BYTE_1 src1_sel:BYTE_1
	v_sub_u16_sdwa v150, v150, v187 dst_sel:DWORD dst_unused:UNUSED_PAD src0_sel:WORD_1 src1_sel:WORD_1
	v_sub_u16_sdwa v152, v152, v187 dst_sel:BYTE_1 dst_unused:UNUSED_PAD src0_sel:DWORD src1_sel:BYTE_3
	v_bitop3_b16 v188, v188, v193, s8 bitop3:0xec
	v_bitop3_b16 v150, v150, v152, s8 bitop3:0xec
	v_lshlrev_b32_e32 v150, 16, v150
	v_or_b32_sdwa v187, v188, v150 dst_sel:DWORD dst_unused:UNUSED_PAD src0_sel:WORD_0 src1_sel:DWORD
	v_ashrrev_i32_e32 v188, s18, v197
	v_ashrrev_i32_e32 v150, s21, v195
	v_lshlrev_b32_e32 v188, 2, v188
	v_bfe_u32 v152, v150, 24, 2
	v_and_b32_e32 v150, 0x3030303, v150
	v_and_b32_e32 v188, 0x4040404, v188
	v_sub_u16_e32 v193, v150, v188
	v_sub_u16_sdwa v194, v150, v188 dst_sel:BYTE_1 dst_unused:UNUSED_PAD src0_sel:BYTE_1 src1_sel:BYTE_1
	v_sub_u16_sdwa v150, v150, v188 dst_sel:DWORD dst_unused:UNUSED_PAD src0_sel:WORD_1 src1_sel:WORD_1
	v_sub_u16_sdwa v152, v152, v188 dst_sel:BYTE_1 dst_unused:UNUSED_PAD src0_sel:DWORD src1_sel:BYTE_3
	v_bitop3_b16 v193, v193, v194, s8 bitop3:0xec
	v_bitop3_b16 v150, v150, v152, s8 bitop3:0xec
	v_lshlrev_b32_e32 v150, 16, v150
	v_or_b32_sdwa v188, v193, v150 dst_sel:DWORD dst_unused:UNUSED_PAD src0_sel:WORD_0 src1_sel:DWORD
	v_add3_u32 v150, s24, v151, v87
	v_add_u32_e32 v152, 0x2100, v154
	ds_read_b32 v150, v150
	ds_read2_b32 v[194:195], v152 offset1:1
	ds_read2_b32 v[196:197], v202 offset1:1
	ds_read2_b32 v[222:223], v208 offset0:6 offset1:7
	v_mov_b32_e32 v219, 0
	v_mov_b32_e32 v220, 0
	s_waitcnt lgkmcnt(2)
	v_ashrrev_i32_e32 v152, s21, v194
	s_waitcnt lgkmcnt(1)
	v_ashrrev_i32_e32 v194, s18, v196
	v_lshlrev_b32_e32 v194, 2, v194
	v_bfe_u32 v193, v152, 24, 2
	v_and_b32_e32 v152, 0x3030303, v152
	v_and_b32_e32 v194, 0x4040404, v194
	v_sub_u16_e32 v196, v152, v194
	v_sub_u16_sdwa v198, v152, v194 dst_sel:BYTE_1 dst_unused:UNUSED_PAD src0_sel:BYTE_1 src1_sel:BYTE_1
	v_sub_u16_sdwa v152, v152, v194 dst_sel:DWORD dst_unused:UNUSED_PAD src0_sel:WORD_1 src1_sel:WORD_1
	v_sub_u16_sdwa v193, v193, v194 dst_sel:BYTE_1 dst_unused:UNUSED_PAD src0_sel:DWORD src1_sel:BYTE_3
	v_bitop3_b16 v196, v196, v198, s8 bitop3:0xec
	v_bitop3_b16 v152, v152, v193, s8 bitop3:0xec
	v_lshlrev_b32_e32 v152, 16, v152
	v_or_b32_sdwa v193, v196, v152 dst_sel:DWORD dst_unused:UNUSED_PAD src0_sel:WORD_0 src1_sel:DWORD
	v_ashrrev_i32_e32 v152, s21, v195
	v_ashrrev_i32_e32 v195, s18, v197
	v_lshlrev_b32_e32 v195, 2, v195
	v_bfe_u32 v194, v152, 24, 2
	v_and_b32_e32 v152, 0x3030303, v152
	v_and_b32_e32 v195, 0x4040404, v195
	v_sub_u16_e32 v196, v152, v195
	v_sub_u16_sdwa v197, v152, v195 dst_sel:BYTE_1 dst_unused:UNUSED_PAD src0_sel:BYTE_1 src1_sel:BYTE_1
	v_sub_u16_sdwa v152, v152, v195 dst_sel:DWORD dst_unused:UNUSED_PAD src0_sel:WORD_1 src1_sel:WORD_1
	v_sub_u16_sdwa v194, v194, v195 dst_sel:BYTE_1 dst_unused:UNUSED_PAD src0_sel:DWORD src1_sel:BYTE_3
	v_bitop3_b16 v196, v196, v197, s8 bitop3:0xec
	v_bitop3_b16 v152, v152, v194, s8 bitop3:0xec
	v_lshlrev_b32_e32 v152, 16, v152
	v_or_b32_sdwa v194, v196, v152 dst_sel:DWORD dst_unused:UNUSED_PAD src0_sel:WORD_0 src1_sel:DWORD
	v_add_u32_e32 v152, 0x2108, v154
	ds_read2_b32 v[196:197], v152 offset1:1
	ds_read2_b32 v[198:199], v202 offset0:2 offset1:3
	v_mov_b32_e32 v226, 0
	v_mov_b32_e32 v227, 0
	v_dot4c_i32_i8_e32 v210, v158, v4
	s_waitcnt lgkmcnt(1)
	v_ashrrev_i32_e32 v152, s21, v196
	s_waitcnt lgkmcnt(0)
	v_ashrrev_i32_e32 v196, s18, v198
	v_lshlrev_b32_e32 v196, 2, v196
	v_bfe_u32 v195, v152, 24, 2
	v_and_b32_e32 v152, 0x3030303, v152
	v_and_b32_e32 v196, 0x4040404, v196
	v_sub_u16_e32 v198, v152, v196
	v_sub_u16_sdwa v200, v152, v196 dst_sel:BYTE_1 dst_unused:UNUSED_PAD src0_sel:BYTE_1 src1_sel:BYTE_1
	v_sub_u16_sdwa v152, v152, v196 dst_sel:DWORD dst_unused:UNUSED_PAD src0_sel:WORD_1 src1_sel:WORD_1
	v_sub_u16_sdwa v195, v195, v196 dst_sel:BYTE_1 dst_unused:UNUSED_PAD src0_sel:DWORD src1_sel:BYTE_3
	v_bitop3_b16 v198, v198, v200, s8 bitop3:0xec
	v_bitop3_b16 v152, v152, v195, s8 bitop3:0xec
	v_lshlrev_b32_e32 v152, 16, v152
	v_or_b32_sdwa v195, v198, v152 dst_sel:DWORD dst_unused:UNUSED_PAD src0_sel:WORD_0 src1_sel:DWORD
	v_ashrrev_i32_e32 v152, s21, v197
	v_ashrrev_i32_e32 v197, s18, v199
	v_lshlrev_b32_e32 v197, 2, v197
	v_bfe_u32 v196, v152, 24, 2
	v_and_b32_e32 v152, 0x3030303, v152
	v_and_b32_e32 v197, 0x4040404, v197
	v_sub_u16_e32 v198, v152, v197
	v_sub_u16_sdwa v199, v152, v197 dst_sel:BYTE_1 dst_unused:UNUSED_PAD src0_sel:BYTE_1 src1_sel:BYTE_1
	v_sub_u16_sdwa v152, v152, v197 dst_sel:DWORD dst_unused:UNUSED_PAD src0_sel:WORD_1 src1_sel:WORD_1
	v_sub_u16_sdwa v196, v196, v197 dst_sel:BYTE_1 dst_unused:UNUSED_PAD src0_sel:DWORD src1_sel:BYTE_3
	v_bitop3_b16 v198, v198, v199, s8 bitop3:0xec
	v_bitop3_b16 v152, v152, v196, s8 bitop3:0xec
	v_lshlrev_b32_e32 v152, 16, v152
	v_or_b32_sdwa v196, v198, v152 dst_sel:DWORD dst_unused:UNUSED_PAD src0_sel:WORD_0 src1_sel:DWORD
	v_add_u32_e32 v152, 0x2110, v154
	ds_read2_b32 v[198:199], v152 offset1:1
	ds_read2_b32 v[200:201], v202 offset0:4 offset1:5
	v_dot4c_i32_i8_e32 v211, v189, v0
	v_dot4c_i32_i8_e32 v213, v181, v4
	;; [unrolled: 1-line block ×3, first 2 shown]
	s_waitcnt lgkmcnt(1)
	v_ashrrev_i32_e32 v152, s21, v198
	s_waitcnt lgkmcnt(0)
	v_ashrrev_i32_e32 v198, s18, v200
	v_lshlrev_b32_e32 v198, 2, v198
	v_bfe_u32 v197, v152, 24, 2
	v_and_b32_e32 v152, 0x3030303, v152
	v_and_b32_e32 v198, 0x4040404, v198
	v_sub_u16_e32 v200, v152, v198
	v_sub_u16_sdwa v203, v152, v198 dst_sel:BYTE_1 dst_unused:UNUSED_PAD src0_sel:BYTE_1 src1_sel:BYTE_1
	v_sub_u16_sdwa v152, v152, v198 dst_sel:DWORD dst_unused:UNUSED_PAD src0_sel:WORD_1 src1_sel:WORD_1
	v_sub_u16_sdwa v197, v197, v198 dst_sel:BYTE_1 dst_unused:UNUSED_PAD src0_sel:DWORD src1_sel:BYTE_3
	v_bitop3_b16 v200, v200, v203, s8 bitop3:0xec
	v_bitop3_b16 v152, v152, v197, s8 bitop3:0xec
	v_lshlrev_b32_e32 v152, 16, v152
	v_or_b32_sdwa v197, v200, v152 dst_sel:DWORD dst_unused:UNUSED_PAD src0_sel:WORD_0 src1_sel:DWORD
	v_ashrrev_i32_e32 v152, s21, v199
	v_ashrrev_i32_e32 v199, s18, v201
	v_lshlrev_b32_e32 v199, 2, v199
	v_bfe_u32 v198, v152, 24, 2
	v_and_b32_e32 v152, 0x3030303, v152
	v_and_b32_e32 v199, 0x4040404, v199
	v_sub_u16_e32 v200, v152, v199
	v_sub_u16_sdwa v201, v152, v199 dst_sel:BYTE_1 dst_unused:UNUSED_PAD src0_sel:BYTE_1 src1_sel:BYTE_1
	v_sub_u16_sdwa v152, v152, v199 dst_sel:DWORD dst_unused:UNUSED_PAD src0_sel:WORD_1 src1_sel:WORD_1
	v_sub_u16_sdwa v198, v198, v199 dst_sel:BYTE_1 dst_unused:UNUSED_PAD src0_sel:DWORD src1_sel:BYTE_3
	v_bitop3_b16 v200, v200, v201, s8 bitop3:0xec
	v_bitop3_b16 v152, v152, v198, s8 bitop3:0xec
	v_lshlrev_b32_e32 v152, 16, v152
	v_or_b32_sdwa v198, v200, v152 dst_sel:DWORD dst_unused:UNUSED_PAD src0_sel:WORD_0 src1_sel:DWORD
	v_add_u32_e32 v152, 0x2118, v154
	ds_read2_b32 v[200:201], v152 offset1:1
	ds_read2_b32 v[202:203], v202 offset0:6 offset1:7
	v_dot4c_i32_i8_e32 v219, v193, v4
	v_dot4c_i32_i8_e32 v220, v197, v0
	;; [unrolled: 1-line block ×3, first 2 shown]
	s_waitcnt lgkmcnt(1)
	v_ashrrev_i32_e32 v152, s21, v200
	s_waitcnt lgkmcnt(0)
	v_ashrrev_i32_e32 v200, s18, v202
	v_lshlrev_b32_e32 v200, 2, v200
	v_bfe_u32 v199, v152, 24, 2
	v_and_b32_e32 v152, 0x3030303, v152
	v_and_b32_e32 v200, 0x4040404, v200
	v_sub_u16_e32 v202, v152, v200
	v_sub_u16_sdwa v204, v152, v200 dst_sel:BYTE_1 dst_unused:UNUSED_PAD src0_sel:BYTE_1 src1_sel:BYTE_1
	v_sub_u16_sdwa v152, v152, v200 dst_sel:DWORD dst_unused:UNUSED_PAD src0_sel:WORD_1 src1_sel:WORD_1
	v_sub_u16_sdwa v199, v199, v200 dst_sel:BYTE_1 dst_unused:UNUSED_PAD src0_sel:DWORD src1_sel:BYTE_3
	v_bitop3_b16 v202, v202, v204, s8 bitop3:0xec
	v_bitop3_b16 v152, v152, v199, s8 bitop3:0xec
	v_lshlrev_b32_e32 v152, 16, v152
	v_or_b32_sdwa v199, v202, v152 dst_sel:DWORD dst_unused:UNUSED_PAD src0_sel:WORD_0 src1_sel:DWORD
	v_ashrrev_i32_e32 v152, s21, v201
	v_ashrrev_i32_e32 v201, s18, v203
	v_lshlrev_b32_e32 v201, 2, v201
	v_bfe_u32 v200, v152, 24, 2
	v_and_b32_e32 v152, 0x3030303, v152
	v_and_b32_e32 v201, 0x4040404, v201
	v_sub_u16_e32 v202, v152, v201
	v_sub_u16_sdwa v203, v152, v201 dst_sel:BYTE_1 dst_unused:UNUSED_PAD src0_sel:BYTE_1 src1_sel:BYTE_1
	v_sub_u16_sdwa v152, v152, v201 dst_sel:DWORD dst_unused:UNUSED_PAD src0_sel:WORD_1 src1_sel:WORD_1
	v_sub_u16_sdwa v200, v200, v201 dst_sel:BYTE_1 dst_unused:UNUSED_PAD src0_sel:DWORD src1_sel:BYTE_3
	v_bitop3_b16 v202, v202, v203, s8 bitop3:0xec
	v_bitop3_b16 v152, v152, v200, s8 bitop3:0xec
	v_lshlrev_b32_e32 v152, 16, v152
	v_add_u32_e32 v201, 0x3180, v154
	v_or_b32_sdwa v200, v202, v152 dst_sel:DWORD dst_unused:UNUSED_PAD src0_sel:WORD_0 src1_sel:DWORD
	ds_read2_b32 v[202:203], v201 offset1:1
	ds_read2_b32 v[204:205], v208 offset1:1
	v_add3_u32 v152, s24, v155, v93
	ds_read_b32 v152, v152
	v_dot4c_i32_i8_e32 v211, v190, v1
	s_waitcnt lgkmcnt(2)
	v_ashrrev_i32_e32 v201, s21, v202
	s_waitcnt lgkmcnt(1)
	v_ashrrev_i32_e32 v204, s18, v204
	v_lshlrev_b32_e32 v204, 2, v204
	v_bfe_u32 v202, v201, 24, 2
	v_and_b32_e32 v201, 0x3030303, v201
	v_and_b32_e32 v204, 0x4040404, v204
	v_sub_u16_e32 v206, v201, v204
	v_sub_u16_sdwa v207, v201, v204 dst_sel:BYTE_1 dst_unused:UNUSED_PAD src0_sel:BYTE_1 src1_sel:BYTE_1
	v_sub_u16_sdwa v201, v201, v204 dst_sel:DWORD dst_unused:UNUSED_PAD src0_sel:WORD_1 src1_sel:WORD_1
	v_sub_u16_sdwa v202, v202, v204 dst_sel:BYTE_1 dst_unused:UNUSED_PAD src0_sel:DWORD src1_sel:BYTE_3
	v_ashrrev_i32_e32 v204, s18, v205
	v_bitop3_b16 v201, v201, v202, s8 bitop3:0xec
	v_ashrrev_i32_e32 v202, s21, v203
	v_lshlrev_b32_e32 v204, 2, v204
	v_bitop3_b16 v206, v206, v207, s8 bitop3:0xec
	v_lshlrev_b32_e32 v201, 16, v201
	v_bfe_u32 v203, v202, 24, 2
	v_and_b32_e32 v202, 0x3030303, v202
	v_and_b32_e32 v204, 0x4040404, v204
	v_or_b32_sdwa v201, v206, v201 dst_sel:DWORD dst_unused:UNUSED_PAD src0_sel:WORD_0 src1_sel:DWORD
	v_sub_u16_e32 v205, v202, v204
	v_sub_u16_sdwa v206, v202, v204 dst_sel:BYTE_1 dst_unused:UNUSED_PAD src0_sel:BYTE_1 src1_sel:BYTE_1
	v_sub_u16_sdwa v202, v202, v204 dst_sel:DWORD dst_unused:UNUSED_PAD src0_sel:WORD_1 src1_sel:WORD_1
	v_sub_u16_sdwa v203, v203, v204 dst_sel:BYTE_1 dst_unused:UNUSED_PAD src0_sel:DWORD src1_sel:BYTE_3
	v_bitop3_b16 v205, v205, v206, s8 bitop3:0xec
	v_bitop3_b16 v202, v202, v203, s8 bitop3:0xec
	v_lshlrev_b32_e32 v202, 16, v202
	v_add_u32_e32 v203, 0x3188, v154
	v_or_b32_sdwa v202, v205, v202 dst_sel:DWORD dst_unused:UNUSED_PAD src0_sel:WORD_0 src1_sel:DWORD
	ds_read2_b32 v[204:205], v203 offset1:1
	ds_read2_b32 v[206:207], v208 offset0:2 offset1:3
	v_dot4c_i32_i8_e32 v226, v201, v4
	v_dot4c_i32_i8_e32 v213, v182, v5
	;; [unrolled: 1-line block ×3, first 2 shown]
	s_waitcnt lgkmcnt(1)
	v_ashrrev_i32_e32 v203, s21, v204
	s_waitcnt lgkmcnt(0)
	v_ashrrev_i32_e32 v206, s18, v206
	v_lshlrev_b32_e32 v206, 2, v206
	v_bfe_u32 v204, v203, 24, 2
	v_and_b32_e32 v203, 0x3030303, v203
	v_and_b32_e32 v206, 0x4040404, v206
	v_sub_u16_e32 v214, v203, v206
	v_sub_u16_sdwa v215, v203, v206 dst_sel:BYTE_1 dst_unused:UNUSED_PAD src0_sel:BYTE_1 src1_sel:BYTE_1
	v_sub_u16_sdwa v203, v203, v206 dst_sel:DWORD dst_unused:UNUSED_PAD src0_sel:WORD_1 src1_sel:WORD_1
	v_sub_u16_sdwa v204, v204, v206 dst_sel:BYTE_1 dst_unused:UNUSED_PAD src0_sel:DWORD src1_sel:BYTE_3
	v_ashrrev_i32_e32 v206, s18, v207
	v_bitop3_b16 v203, v203, v204, s8 bitop3:0xec
	v_ashrrev_i32_e32 v204, s21, v205
	v_lshlrev_b32_e32 v206, 2, v206
	v_bitop3_b16 v214, v214, v215, s8 bitop3:0xec
	v_lshlrev_b32_e32 v203, 16, v203
	v_bfe_u32 v205, v204, 24, 2
	v_and_b32_e32 v204, 0x3030303, v204
	v_and_b32_e32 v206, 0x4040404, v206
	v_or_b32_sdwa v203, v214, v203 dst_sel:DWORD dst_unused:UNUSED_PAD src0_sel:WORD_0 src1_sel:DWORD
	v_sub_u16_e32 v207, v204, v206
	v_sub_u16_sdwa v214, v204, v206 dst_sel:BYTE_1 dst_unused:UNUSED_PAD src0_sel:BYTE_1 src1_sel:BYTE_1
	v_sub_u16_sdwa v204, v204, v206 dst_sel:DWORD dst_unused:UNUSED_PAD src0_sel:WORD_1 src1_sel:WORD_1
	v_sub_u16_sdwa v205, v205, v206 dst_sel:BYTE_1 dst_unused:UNUSED_PAD src0_sel:DWORD src1_sel:BYTE_3
	v_bitop3_b16 v207, v207, v214, s8 bitop3:0xec
	v_bitop3_b16 v204, v204, v205, s8 bitop3:0xec
	v_lshlrev_b32_e32 v204, 16, v204
	v_add_u32_e32 v205, 0x3190, v154
	v_or_b32_sdwa v204, v207, v204 dst_sel:DWORD dst_unused:UNUSED_PAD src0_sel:WORD_0 src1_sel:DWORD
	ds_read2_b32 v[206:207], v205 offset1:1
	ds_read2_b32 v[214:215], v208 offset0:4 offset1:5
	v_add_u32_e32 v154, 0x3198, v154
	v_ashrrev_i32_e32 v208, s18, v222
	v_lshlrev_b32_e32 v208, 2, v208
	s_waitcnt lgkmcnt(1)
	v_ashrrev_i32_e32 v205, s21, v206
	s_waitcnt lgkmcnt(0)
	v_ashrrev_i32_e32 v214, s18, v214
	v_lshlrev_b32_e32 v214, 2, v214
	v_bfe_u32 v206, v205, 24, 2
	v_and_b32_e32 v205, 0x3030303, v205
	v_and_b32_e32 v214, 0x4040404, v214
	v_sub_u16_e32 v216, v205, v214
	v_sub_u16_sdwa v221, v205, v214 dst_sel:BYTE_1 dst_unused:UNUSED_PAD src0_sel:BYTE_1 src1_sel:BYTE_1
	v_sub_u16_sdwa v205, v205, v214 dst_sel:DWORD dst_unused:UNUSED_PAD src0_sel:WORD_1 src1_sel:WORD_1
	v_sub_u16_sdwa v206, v206, v214 dst_sel:BYTE_1 dst_unused:UNUSED_PAD src0_sel:DWORD src1_sel:BYTE_3
	v_ashrrev_i32_e32 v214, s18, v215
	v_bitop3_b16 v205, v205, v206, s8 bitop3:0xec
	v_ashrrev_i32_e32 v206, s21, v207
	v_lshlrev_b32_e32 v214, 2, v214
	v_bitop3_b16 v216, v216, v221, s8 bitop3:0xec
	v_lshlrev_b32_e32 v205, 16, v205
	v_bfe_u32 v207, v206, 24, 2
	v_and_b32_e32 v206, 0x3030303, v206
	v_and_b32_e32 v214, 0x4040404, v214
	v_or_b32_sdwa v205, v216, v205 dst_sel:DWORD dst_unused:UNUSED_PAD src0_sel:WORD_0 src1_sel:DWORD
	v_sub_u16_e32 v215, v206, v214
	v_sub_u16_sdwa v216, v206, v214 dst_sel:BYTE_1 dst_unused:UNUSED_PAD src0_sel:BYTE_1 src1_sel:BYTE_1
	v_sub_u16_sdwa v206, v206, v214 dst_sel:DWORD dst_unused:UNUSED_PAD src0_sel:WORD_1 src1_sel:WORD_1
	v_sub_u16_sdwa v207, v207, v214 dst_sel:BYTE_1 dst_unused:UNUSED_PAD src0_sel:DWORD src1_sel:BYTE_3
	v_bitop3_b16 v215, v215, v216, s8 bitop3:0xec
	v_bitop3_b16 v206, v206, v207, s8 bitop3:0xec
	v_lshlrev_b32_e32 v206, 16, v206
	v_or_b32_sdwa v206, v215, v206 dst_sel:DWORD dst_unused:UNUSED_PAD src0_sel:WORD_0 src1_sel:DWORD
	ds_read2_b32 v[214:215], v154 offset1:1
	v_and_b32_e32 v208, 0x4040404, v208
	v_dot4c_i32_i8_e32 v227, v205, v0
	v_dot4c_i32_i8_e32 v219, v194, v5
	;; [unrolled: 1-line block ×3, first 2 shown]
	s_waitcnt lgkmcnt(0)
	v_ashrrev_i32_e32 v154, s21, v214
	v_bfe_u32 v207, v154, 24, 2
	v_and_b32_e32 v154, 0x3030303, v154
	v_sub_u16_e32 v214, v154, v208
	v_sub_u16_sdwa v216, v154, v208 dst_sel:BYTE_1 dst_unused:UNUSED_PAD src0_sel:BYTE_1 src1_sel:BYTE_1
	v_sub_u16_sdwa v154, v154, v208 dst_sel:DWORD dst_unused:UNUSED_PAD src0_sel:WORD_1 src1_sel:WORD_1
	v_sub_u16_sdwa v207, v207, v208 dst_sel:BYTE_1 dst_unused:UNUSED_PAD src0_sel:DWORD src1_sel:BYTE_3
	v_bitop3_b16 v214, v214, v216, s8 bitop3:0xec
	v_bitop3_b16 v154, v154, v207, s8 bitop3:0xec
	v_lshlrev_b32_e32 v154, 16, v154
	v_or_b32_sdwa v207, v214, v154 dst_sel:DWORD dst_unused:UNUSED_PAD src0_sel:WORD_0 src1_sel:DWORD
	v_ashrrev_i32_e32 v214, s18, v223
	v_ashrrev_i32_e32 v154, s21, v215
	v_lshlrev_b32_e32 v214, 2, v214
	v_bfe_u32 v208, v154, 24, 2
	v_and_b32_e32 v154, 0x3030303, v154
	v_and_b32_e32 v214, 0x4040404, v214
	v_sub_u16_e32 v215, v154, v214
	v_sub_u16_sdwa v216, v154, v214 dst_sel:BYTE_1 dst_unused:UNUSED_PAD src0_sel:BYTE_1 src1_sel:BYTE_1
	v_sub_u16_sdwa v154, v154, v214 dst_sel:DWORD dst_unused:UNUSED_PAD src0_sel:WORD_1 src1_sel:WORD_1
	v_sub_u16_sdwa v208, v208, v214 dst_sel:BYTE_1 dst_unused:UNUSED_PAD src0_sel:DWORD src1_sel:BYTE_3
	v_bitop3_b16 v215, v215, v216, s8 bitop3:0xec
	v_bitop3_b16 v154, v154, v208, s8 bitop3:0xec
	v_lshlrev_b32_e32 v154, 16, v154
	v_dot4c_i32_i8_e32 v226, v202, v5
	v_dot4c_i32_i8_e32 v227, v206, v1
	;; [unrolled: 1-line block ×8, first 2 shown]
	v_or_b32_sdwa v208, v215, v154 dst_sel:DWORD dst_unused:UNUSED_PAD src0_sel:WORD_0 src1_sel:DWORD
	v_add3_u32 v154, s24, v163, v99
	v_dot4c_i32_i8_e32 v226, v203, v6
	v_dot4c_i32_i8_e32 v227, v207, v2
	v_add_u32_e32 v209, s22, v23
	v_dot4c_i32_i8_e32 v210, v161, v7
	v_dot4c_i32_i8_e32 v211, v192, v3
	v_dot4c_i32_i8_e32 v213, v184, v7
	v_dot4c_i32_i8_e32 v217, v188, v3
	v_dot4c_i32_i8_e32 v219, v196, v7
	v_dot4c_i32_i8_e32 v220, v200, v3
	ds_read_b32 v154, v154
	v_dot4c_i32_i8_e32 v226, v204, v7
	v_dot4c_i32_i8_e32 v227, v208, v3
	ds_read_b128 v[0:3], v179 offset:1024
	ds_read_b128 v[4:7], v179 offset:1040
	ds_read_u16 v209, v209 offset:33538
	v_mov_b32_e32 v214, 0
	v_mov_b32_e32 v223, 0
	s_waitcnt lgkmcnt(2)
	v_dot4c_i32_i8_e32 v214, v158, v0
	v_dot4c_i32_i8_e32 v214, v159, v1
	s_waitcnt lgkmcnt(1)
	v_dot4c_i32_i8_e32 v223, v189, v4
	v_dot4c_i32_i8_e32 v214, v160, v2
	v_dot4c_i32_i8_e32 v223, v190, v5
	s_waitcnt lgkmcnt(0)
	v_lshrrev_b16_e32 v215, 8, v209
	v_dot4c_i32_i8_e32 v214, v161, v3
	v_dot4c_i32_i8_e32 v223, v191, v6
	v_bfe_i32 v215, v215, 0, 8
	v_bfe_i32 v216, v209, 0, 8
	v_dot4c_i32_i8_e32 v223, v192, v7
	v_mul_lo_u32 v214, v214, v216
	v_mul_lo_u32 v222, v211, v215
	v_add_u32_e32 v212, s22, v25
	v_add_u32_e32 v218, s22, v27
	;; [unrolled: 1-line block ×3, first 2 shown]
	v_mad_u64_u32 v[210:211], s[22:23], v210, v216, v[222:223]
	v_mad_u64_u32 v[222:223], s[22:23], v223, v215, v[214:215]
	v_cvt_f32_i32_e32 v211, v222
	v_cvt_f32_i32_e32 v210, v210
	v_pk_mul_f32 v[224:225], v[148:149], v[156:157] op_sel_hi:[0,1]
	v_mov_b32_e32 v209, 0
	v_dot4c_i32_i8_e32 v209, v181, v0
	v_pk_fma_f32 v[54:55], v[224:225], v[210:211], v[54:55]
	ds_read_u16 v210, v212 offset:34562
	v_mov_b32_e32 v211, 0
	v_dot4c_i32_i8_e32 v209, v182, v1
	v_dot4c_i32_i8_e32 v211, v185, v4
	;; [unrolled: 1-line block ×4, first 2 shown]
	s_waitcnt lgkmcnt(0)
	v_lshrrev_b16_e32 v212, 8, v210
	v_dot4c_i32_i8_e32 v209, v184, v3
	v_dot4c_i32_i8_e32 v211, v187, v6
	v_bfe_i32 v212, v212, 0, 8
	v_bfe_i32 v214, v210, 0, 8
	v_dot4c_i32_i8_e32 v211, v188, v7
	v_mul_lo_u32 v210, v209, v214
	v_mul_lo_u32 v222, v217, v212
	v_mad_u64_u32 v[222:223], s[22:23], v213, v214, v[222:223]
	v_mad_u64_u32 v[210:211], s[22:23], v211, v212, v[210:211]
	v_cvt_f32_i32_e32 v211, v210
	v_cvt_f32_i32_e32 v210, v222
	v_pk_mul_f32 v[224:225], v[150:151], v[156:157] op_sel_hi:[0,1]
	v_mov_b32_e32 v209, 0
	v_dot4c_i32_i8_e32 v209, v193, v0
	v_pk_fma_f32 v[136:137], v[224:225], v[210:211], v[136:137]
	ds_read_u16 v210, v218 offset:35586
	v_mov_b32_e32 v217, 0
	v_dot4c_i32_i8_e32 v209, v194, v1
	v_dot4c_i32_i8_e32 v217, v197, v4
	;; [unrolled: 1-line block ×6, first 2 shown]
	s_waitcnt lgkmcnt(0)
	v_lshrrev_b16_e32 v211, 8, v210
	v_bfe_i32 v213, v210, 0, 8
	v_dot4c_i32_i8_e32 v217, v200, v7
	v_bfe_i32 v211, v211, 0, 8
	v_mul_lo_u32 v210, v209, v213
	v_mul_lo_u32 v218, v220, v211
	v_mad_u64_u32 v[222:223], s[22:23], v217, v211, v[210:211]
	v_mov_b32_e32 v217, 0
	v_dot4c_i32_i8_e32 v217, v201, v0
	ds_read_u16 v0, v221 offset:36610
	v_dot4c_i32_i8_e32 v217, v202, v1
	v_mov_b32_e32 v1, 0
	v_dot4c_i32_i8_e32 v1, v205, v4
	v_dot4c_i32_i8_e32 v217, v203, v2
	;; [unrolled: 1-line block ×3, first 2 shown]
	s_waitcnt lgkmcnt(0)
	v_lshrrev_b16_e32 v2, 8, v0
	v_dot4c_i32_i8_e32 v217, v204, v3
	v_dot4c_i32_i8_e32 v1, v207, v6
	v_bfe_i32 v209, v2, 0, 8
	v_bfe_i32 v210, v0, 0, 8
	v_dot4c_i32_i8_e32 v1, v208, v7
	v_mul_lo_u32 v0, v217, v210
	v_mul_lo_u32 v2, v227, v209
                                        ; kill: def $vgpr3 killed $sgpr0 killed $exec
	v_mad_u64_u32 v[218:219], s[22:23], v219, v213, v[218:219]
	v_mad_u64_u32 v[2:3], s[22:23], v226, v210, v[2:3]
	;; [unrolled: 1-line block ×3, first 2 shown]
	v_cvt_f32_i32_e32 v1, v0
	v_cvt_f32_i32_e32 v0, v2
	v_pk_mul_f32 v[4:5], v[154:155], v[156:157] op_sel_hi:[0,1]
	v_pk_mul_f32 v[224:225], v[152:153], v[156:157] op_sel_hi:[0,1]
	v_cvt_f32_i32_e32 v219, v222
	v_cvt_f32_i32_e32 v218, v218
	v_pk_fma_f32 v[146:147], v[4:5], v[0:1], v[146:147]
	ds_read2_b32 v[156:157], v180 offset0:64 offset1:96
	ds_read_b128 v[0:3], v179 offset:2048
	ds_read_b128 v[4:7], v179 offset:2064
	v_mov_b32_e32 v217, 0
	v_pk_fma_f32 v[142:143], v[224:225], v[218:219], v[142:143]
	v_mov_b32_e32 v219, 0
	v_mov_b32_e32 v224, 0
	;; [unrolled: 1-line block ×7, first 2 shown]
	s_waitcnt lgkmcnt(1)
	v_dot4c_i32_i8_e32 v217, v158, v0
	s_waitcnt lgkmcnt(0)
	v_dot4c_i32_i8_e32 v219, v189, v4
	v_dot4c_i32_i8_e32 v224, v181, v0
	;; [unrolled: 1-line block ×31, first 2 shown]
	ds_read_b128 v[0:3], v179 offset:3072
	ds_read_b128 v[4:7], v179 offset:3088
	v_mov_b32_e32 v218, 0
	v_mov_b32_e32 v222, 0
	v_mul_lo_u32 v220, v219, v215
	s_waitcnt lgkmcnt(1)
	v_dot4c_i32_i8_e32 v218, v158, v0
	v_dot4c_i32_i8_e32 v218, v159, v1
	s_waitcnt lgkmcnt(0)
	v_dot4c_i32_i8_e32 v222, v189, v4
	v_dot4c_i32_i8_e32 v218, v160, v2
	;; [unrolled: 1-line block ×6, first 2 shown]
                                        ; kill: def $vgpr219 killed $sgpr0 killed $exec
	v_mad_u64_u32 v[220:221], s[22:23], v217, v216, v[220:221]
	v_mul_lo_u32 v218, v218, v216
	s_nop 0
	v_mad_u64_u32 v[218:219], s[22:23], v222, v215, v[218:219]
	v_cvt_f32_i32_e32 v219, v218
	v_cvt_f32_i32_e32 v218, v220
	v_pk_mul_f32 v[222:223], v[148:149], v[156:157] op_sel_hi:[0,1]
	v_mov_b32_e32 v217, 0
	v_dot4c_i32_i8_e32 v217, v181, v0
	v_pk_fma_f32 v[120:121], v[222:223], v[218:219], v[120:121]
	v_mov_b32_e32 v219, 0
	v_dot4c_i32_i8_e32 v217, v182, v1
	v_dot4c_i32_i8_e32 v219, v185, v4
	;; [unrolled: 1-line block ×7, first 2 shown]
	v_mul_lo_u32 v220, v225, v212
	v_mul_lo_u32 v218, v217, v214
	v_mad_u64_u32 v[220:221], s[22:23], v224, v214, v[220:221]
	v_mad_u64_u32 v[218:219], s[22:23], v219, v212, v[218:219]
	v_mov_b32_e32 v217, 0
	v_cvt_f32_i32_e32 v219, v218
	v_cvt_f32_i32_e32 v218, v220
	v_dot4c_i32_i8_e32 v217, v193, v0
	v_dot4c_i32_i8_e32 v217, v194, v1
	;; [unrolled: 1-line block ×3, first 2 shown]
	v_pk_mul_f32 v[222:223], v[150:151], v[156:157] op_sel_hi:[0,1]
	v_dot4c_i32_i8_e32 v217, v196, v3
	v_pk_fma_f32 v[130:131], v[222:223], v[218:219], v[130:131]
	v_mov_b32_e32 v219, 0
	v_dot4c_i32_i8_e32 v219, v197, v4
	v_mul_lo_u32 v218, v217, v213
	v_mov_b32_e32 v217, 0
	v_dot4c_i32_i8_e32 v217, v201, v0
	v_dot4c_i32_i8_e32 v217, v202, v1
	v_mov_b32_e32 v1, 0
	v_dot4c_i32_i8_e32 v1, v205, v4
	v_dot4c_i32_i8_e32 v217, v203, v2
	;; [unrolled: 1-line block ×6, first 2 shown]
	v_mul_lo_u32 v2, v229, v209
	v_mul_lo_u32 v0, v217, v210
                                        ; kill: def $vgpr3 killed $sgpr0 killed $exec
	v_dot4c_i32_i8_e32 v219, v198, v5
	v_mad_u64_u32 v[2:3], s[22:23], v228, v210, v[2:3]
	v_mad_u64_u32 v[0:1], s[22:23], v1, v209, v[0:1]
	v_cvt_f32_i32_e32 v1, v0
	v_cvt_f32_i32_e32 v0, v2
	v_dot4c_i32_i8_e32 v219, v199, v6
	v_dot4c_i32_i8_e32 v219, v200, v7
	v_mul_lo_u32 v220, v227, v211
	v_mad_u64_u32 v[220:221], s[22:23], v226, v213, v[220:221]
	s_nop 0
	v_mad_u64_u32 v[218:219], s[22:23], v219, v211, v[218:219]
	v_pk_mul_f32 v[4:5], v[154:155], v[156:157] op_sel_hi:[0,1]
	v_pk_mul_f32 v[222:223], v[152:153], v[156:157] op_sel_hi:[0,1]
	v_cvt_f32_i32_e32 v219, v218
	v_cvt_f32_i32_e32 v218, v220
	v_pk_fma_f32 v[144:145], v[4:5], v[0:1], v[144:145]
	ds_read2_b32 v[156:157], v180 offset0:128 offset1:160
	ds_read_b128 v[0:3], v179 offset:4096
	ds_read_b128 v[4:7], v179 offset:4112
	v_mov_b32_e32 v217, 0
	v_pk_fma_f32 v[138:139], v[222:223], v[218:219], v[138:139]
	v_mov_b32_e32 v219, 0
	v_mov_b32_e32 v224, 0
	;; [unrolled: 1-line block ×7, first 2 shown]
	s_waitcnt lgkmcnt(1)
	v_dot4c_i32_i8_e32 v217, v158, v0
	s_waitcnt lgkmcnt(0)
	v_dot4c_i32_i8_e32 v219, v189, v4
	v_dot4c_i32_i8_e32 v224, v181, v0
	;; [unrolled: 1-line block ×31, first 2 shown]
	ds_read_b128 v[0:3], v179 offset:5120
	ds_read_b128 v[4:7], v179 offset:5136
	v_mov_b32_e32 v218, 0
	v_mov_b32_e32 v222, 0
	v_mul_lo_u32 v220, v219, v215
	s_waitcnt lgkmcnt(1)
	v_dot4c_i32_i8_e32 v218, v158, v0
	v_dot4c_i32_i8_e32 v218, v159, v1
	s_waitcnt lgkmcnt(0)
	v_dot4c_i32_i8_e32 v222, v189, v4
	v_dot4c_i32_i8_e32 v218, v160, v2
	;; [unrolled: 1-line block ×6, first 2 shown]
                                        ; kill: def $vgpr219 killed $sgpr0 killed $exec
	v_mad_u64_u32 v[220:221], s[22:23], v217, v216, v[220:221]
	v_mul_lo_u32 v218, v218, v216
	s_nop 0
	v_mad_u64_u32 v[218:219], s[22:23], v222, v215, v[218:219]
	v_cvt_f32_i32_e32 v219, v218
	v_cvt_f32_i32_e32 v218, v220
	v_pk_mul_f32 v[222:223], v[148:149], v[156:157] op_sel_hi:[0,1]
	v_mov_b32_e32 v217, 0
	v_dot4c_i32_i8_e32 v217, v181, v0
	v_pk_fma_f32 v[116:117], v[222:223], v[218:219], v[116:117]
	v_mov_b32_e32 v219, 0
	v_dot4c_i32_i8_e32 v217, v182, v1
	v_dot4c_i32_i8_e32 v219, v185, v4
	;; [unrolled: 1-line block ×7, first 2 shown]
	v_mul_lo_u32 v220, v225, v212
	v_mul_lo_u32 v218, v217, v214
	v_mad_u64_u32 v[220:221], s[22:23], v224, v214, v[220:221]
	v_mad_u64_u32 v[218:219], s[22:23], v219, v212, v[218:219]
	v_mov_b32_e32 v217, 0
	v_cvt_f32_i32_e32 v219, v218
	v_cvt_f32_i32_e32 v218, v220
	v_dot4c_i32_i8_e32 v217, v193, v0
	v_dot4c_i32_i8_e32 v217, v194, v1
	v_dot4c_i32_i8_e32 v217, v195, v2
	v_pk_mul_f32 v[222:223], v[150:151], v[156:157] op_sel_hi:[0,1]
	v_dot4c_i32_i8_e32 v217, v196, v3
	v_pk_fma_f32 v[122:123], v[222:223], v[218:219], v[122:123]
	v_mov_b32_e32 v219, 0
	v_dot4c_i32_i8_e32 v219, v197, v4
	v_mul_lo_u32 v218, v217, v213
	v_mov_b32_e32 v217, 0
	v_dot4c_i32_i8_e32 v217, v201, v0
	v_dot4c_i32_i8_e32 v217, v202, v1
	v_mov_b32_e32 v1, 0
	v_dot4c_i32_i8_e32 v1, v205, v4
	v_dot4c_i32_i8_e32 v217, v203, v2
	;; [unrolled: 1-line block ×6, first 2 shown]
	v_mul_lo_u32 v2, v229, v209
	v_mul_lo_u32 v0, v217, v210
                                        ; kill: def $vgpr3 killed $sgpr0 killed $exec
	v_dot4c_i32_i8_e32 v219, v198, v5
	v_mad_u64_u32 v[2:3], s[22:23], v228, v210, v[2:3]
	v_mad_u64_u32 v[0:1], s[22:23], v1, v209, v[0:1]
	v_cvt_f32_i32_e32 v1, v0
	v_cvt_f32_i32_e32 v0, v2
	v_dot4c_i32_i8_e32 v219, v199, v6
	v_dot4c_i32_i8_e32 v219, v200, v7
	v_mul_lo_u32 v220, v227, v211
	v_mad_u64_u32 v[220:221], s[22:23], v226, v213, v[220:221]
	s_nop 0
	v_mad_u64_u32 v[218:219], s[22:23], v219, v211, v[218:219]
	v_pk_mul_f32 v[4:5], v[154:155], v[156:157] op_sel_hi:[0,1]
	v_pk_mul_f32 v[222:223], v[152:153], v[156:157] op_sel_hi:[0,1]
	v_cvt_f32_i32_e32 v219, v218
	v_cvt_f32_i32_e32 v218, v220
	v_pk_fma_f32 v[140:141], v[4:5], v[0:1], v[140:141]
	ds_read2_b32 v[156:157], v180 offset0:192 offset1:224
	ds_read_b128 v[0:3], v179 offset:6144
	ds_read_b128 v[4:7], v179 offset:6160
	v_mov_b32_e32 v224, 0
	v_pk_fma_f32 v[132:133], v[222:223], v[218:219], v[132:133]
	v_mov_b32_e32 v223, 0
	v_mov_b32_e32 v221, 0
	;; [unrolled: 1-line block ×7, first 2 shown]
	s_waitcnt lgkmcnt(1)
	v_dot4c_i32_i8_e32 v223, v158, v0
	s_waitcnt lgkmcnt(0)
	v_dot4c_i32_i8_e32 v224, v189, v4
	v_dot4c_i32_i8_e32 v221, v181, v0
	;; [unrolled: 1-line block ×31, first 2 shown]
	ds_read_b128 v[4:7], v179 offset:7168
	ds_read_b128 v[0:3], v179 offset:7184
	v_mov_b32_e32 v225, 0
	s_add_i32 s19, s19, 2
	s_add_i32 s18, s18, 1
	s_waitcnt lgkmcnt(1)
	v_dot4c_i32_i8_e32 v225, v158, v4
	v_dot4c_i32_i8_e32 v225, v159, v5
	;; [unrolled: 1-line block ×4, first 2 shown]
	v_mov_b32_e32 v161, 0
	s_waitcnt lgkmcnt(0)
	v_dot4c_i32_i8_e32 v161, v189, v0
	v_dot4c_i32_i8_e32 v161, v190, v1
	;; [unrolled: 1-line block ×4, first 2 shown]
	v_mul_lo_u32 v160, v225, v216
	v_mul_lo_u32 v158, v224, v215
                                        ; kill: def $vgpr159 killed $sgpr0 killed $exec
	v_pk_mul_f32 v[190:191], v[148:149], v[156:157] op_sel_hi:[0,1]
	v_mad_u64_u32 v[158:159], s[22:23], v223, v216, v[158:159]
	v_mad_u64_u32 v[160:161], s[22:23], v161, v215, v[160:161]
	v_mov_b32_e32 v148, 0
	v_cvt_f32_i32_e32 v159, v160
	v_cvt_f32_i32_e32 v158, v158
	v_dot4c_i32_i8_e32 v148, v181, v4
	v_mov_b32_e32 v160, 0
	v_dot4c_i32_i8_e32 v148, v182, v5
	v_dot4c_i32_i8_e32 v160, v185, v0
	;; [unrolled: 1-line block ×6, first 2 shown]
	v_pk_fma_f32 v[114:115], v[190:191], v[158:159], v[114:115]
	v_dot4c_i32_i8_e32 v160, v188, v3
	v_mul_lo_u32 v148, v148, v214
	v_mul_lo_u32 v158, v222, v212
                                        ; kill: def $vgpr159 killed $sgpr0 killed $exec
	v_pk_mul_f32 v[182:183], v[150:151], v[156:157] op_sel_hi:[0,1]
	v_mad_u64_u32 v[158:159], s[22:23], v221, v214, v[158:159]
	v_mad_u64_u32 v[160:161], s[22:23], v160, v212, v[148:149]
	v_mov_b32_e32 v148, 0
	v_cvt_f32_i32_e32 v159, v160
	v_dot4c_i32_i8_e32 v148, v193, v4
	v_mov_b32_e32 v160, 0
	v_dot4c_i32_i8_e32 v148, v194, v5
	v_dot4c_i32_i8_e32 v160, v197, v0
	;; [unrolled: 1-line block ×7, first 2 shown]
	v_cvt_f32_i32_e32 v158, v158
	v_mul_lo_u32 v148, v148, v213
	v_mul_lo_u32 v150, v220, v211
	v_mad_u64_u32 v[160:161], s[22:23], v160, v211, v[148:149]
	v_mov_b32_e32 v148, 0
	v_dot4c_i32_i8_e32 v148, v201, v4
	v_mov_b32_e32 v4, 0
	v_dot4c_i32_i8_e32 v148, v202, v5
	v_dot4c_i32_i8_e32 v4, v205, v0
	;; [unrolled: 1-line block ×7, first 2 shown]
	v_mul_lo_u32 v2, v218, v209
	v_mul_lo_u32 v0, v148, v210
                                        ; kill: def $vgpr1 killed $sgpr0 killed $exec
	v_pk_fma_f32 v[118:119], v[182:183], v[158:159], v[118:119]
	v_mad_u64_u32 v[158:159], s[22:23], v219, v213, v[150:151]
	v_mad_u64_u32 v[2:3], s[22:23], v217, v210, v[2:3]
	v_mad_u64_u32 v[0:1], s[22:23], v4, v209, v[0:1]
	v_cvt_f32_i32_e32 v159, v160
	v_cvt_f32_i32_e32 v158, v158
	;; [unrolled: 1-line block ×4, first 2 shown]
	v_pk_mul_f32 v[182:183], v[152:153], v[156:157] op_sel_hi:[0,1]
	v_pk_mul_f32 v[4:5], v[154:155], v[156:157] op_sel_hi:[0,1]
	v_pk_fma_f32 v[124:125], v[182:183], v[158:159], v[124:125]
	v_pk_fma_f32 v[134:135], v[4:5], v[0:1], v[134:135]
	v_add_u32_e32 v180, 4, v180
	v_add_u32_e32 v179, 32, v179
	s_cmp_lt_u32 s20, 14
	s_mov_b32 s22, s20
	s_cbranch_scc1 .LBB150_9
; %bb.10:                               ;   in Loop: Header=BB150_6 Depth=1
	s_or_b32 s18, s7, 1
	s_cmp_ge_i32 s18, s4
	s_barrier
	s_cbranch_scc1 .LBB150_5
; %bb.11:                               ;   in Loop: Header=BB150_6 Depth=1
	v_add_u32_e32 v148, s17, v95
	v_add_u32_e32 v150, v148, v67
	v_mad_i64_i32 v[156:157], s[18:19], v150, 36, v[52:53]
	v_add_u32_e32 v150, v148, v69
	v_add_u32_e32 v0, v148, v59
	;; [unrolled: 1-line block ×5, first 2 shown]
	v_mad_i64_i32 v[158:159], s[18:19], v150, 36, v[52:53]
	v_add_u32_e32 v150, v148, v71
	v_add_u32_e32 v148, v148, v73
	v_mad_i64_i32 v[180:181], s[18:19], v148, 36, v[52:53]
	v_add_u32_e32 v148, 8, v177
	v_mad_i64_i32 v[0:1], s[18:19], v0, 36, v[52:53]
	v_mad_i64_i32 v[2:3], s[18:19], v2, 36, v[52:53]
	;; [unrolled: 1-line block ×4, first 2 shown]
	v_mad_u64_u32 v[182:183], s[18:19], v148, 36, s[2:3]
	v_mad_i64_i32 v[160:161], s[18:19], v150, 36, v[52:53]
	global_load_dword v148, v[182:183], off
	s_nop 0
	global_load_dword v0, v[0:1], off offset:4
	s_nop 0
	global_load_dword v1, v[2:3], off offset:4
	;; [unrolled: 2-line block ×3, first 2 shown]
	global_load_dword v3, v[6:7], off offset:4
	s_nop 0
	global_load_dword v4, v[156:157], off offset:4
	global_load_dword v5, v[158:159], off offset:4
	;; [unrolled: 1-line block ×4, first 2 shown]
	s_mov_b32 s18, 16
	s_mov_b32 s22, 14
	;; [unrolled: 1-line block ×3, first 2 shown]
	v_mov_b32_e32 v179, v173
	v_mov_b32_e32 v180, v103
	s_waitcnt vmcnt(8)
	v_cvt_f32_f16_e32 v148, v148
	s_waitcnt vmcnt(7)
	ds_write_b32 v178, v0
	s_waitcnt vmcnt(6)
	ds_write_b32 v105, v1
	;; [unrolled: 2-line block ×8, first 2 shown]
	ds_write_b32 v57, v148
	s_waitcnt lgkmcnt(0)
	s_barrier
.LBB150_12:                             ;   Parent Loop BB150_6 Depth=1
                                        ; =>  This Inner Loop Header: Depth=2
	s_add_i32 s20, s22, 2
	s_lshr_b32 s25, s20, 4
	s_and_b32 s23, s20, 0x3ffffff8
	v_lshl_add_u32 v154, s23, 2, v167
	s_lshl_b32 s23, s25, 5
	s_addk_i32 s23, 0x4200
	v_add3_u32 v152, s23, v174, v168
	ds_read2_b32 v[156:157], v180 offset1:32
	ds_read_b128 v[4:7], v179
	ds_read_b128 v[0:3], v179 offset:16
	ds_read2_b32 v[158:159], v154 offset1:1
	ds_read2_b32 v[160:161], v152 offset1:1
	ds_read2_b32 v[182:183], v152 offset0:2 offset1:3
	ds_read2_b32 v[184:185], v152 offset0:4 offset1:5
	s_add_i32 s21, s22, -14
	s_waitcnt lgkmcnt(3)
	v_ashrrev_i32_e32 v148, s21, v158
	s_waitcnt lgkmcnt(2)
	v_ashrrev_i32_e32 v158, s19, v160
	v_lshlrev_b32_e32 v158, 2, v158
	v_bfe_u32 v150, v148, 24, 2
	v_and_b32_e32 v148, 0x3030303, v148
	v_and_b32_e32 v158, 0x4040404, v158
	v_sub_u16_e32 v160, v148, v158
	v_sub_u16_sdwa v181, v148, v158 dst_sel:BYTE_1 dst_unused:UNUSED_PAD src0_sel:BYTE_1 src1_sel:BYTE_1
	v_sub_u16_sdwa v148, v148, v158 dst_sel:DWORD dst_unused:UNUSED_PAD src0_sel:WORD_1 src1_sel:WORD_1
	v_sub_u16_sdwa v150, v150, v158 dst_sel:BYTE_1 dst_unused:UNUSED_PAD src0_sel:DWORD src1_sel:BYTE_3
	v_bitop3_b16 v160, v160, v181, s8 bitop3:0xec
	v_bitop3_b16 v148, v148, v150, s8 bitop3:0xec
	v_lshlrev_b32_e32 v148, 16, v148
	v_or_b32_sdwa v158, v160, v148 dst_sel:DWORD dst_unused:UNUSED_PAD src0_sel:WORD_0 src1_sel:DWORD
	v_ashrrev_i32_e32 v148, s21, v159
	v_ashrrev_i32_e32 v159, s19, v161
	v_lshlrev_b32_e32 v159, 2, v159
	v_bfe_u32 v150, v148, 24, 2
	v_and_b32_e32 v148, 0x3030303, v148
	v_and_b32_e32 v159, 0x4040404, v159
	v_sub_u16_e32 v160, v148, v159
	v_sub_u16_sdwa v161, v148, v159 dst_sel:BYTE_1 dst_unused:UNUSED_PAD src0_sel:BYTE_1 src1_sel:BYTE_1
	v_sub_u16_sdwa v148, v148, v159 dst_sel:DWORD dst_unused:UNUSED_PAD src0_sel:WORD_1 src1_sel:WORD_1
	v_sub_u16_sdwa v150, v150, v159 dst_sel:BYTE_1 dst_unused:UNUSED_PAD src0_sel:DWORD src1_sel:BYTE_3
	v_bitop3_b16 v160, v160, v161, s8 bitop3:0xec
	v_bitop3_b16 v148, v148, v150, s8 bitop3:0xec
	v_lshlrev_b32_e32 v148, 16, v148
	v_or_b32_sdwa v159, v160, v148 dst_sel:DWORD dst_unused:UNUSED_PAD src0_sel:WORD_0 src1_sel:DWORD
	ds_read2_b32 v[160:161], v154 offset0:2 offset1:3
	s_and_b32 s24, s18, -16
	s_add_i32 s22, s22, s24
	s_lshl_b32 s24, s25, 2
	s_add_i32 s24, s24, 0x9380
	s_waitcnt lgkmcnt(0)
	v_ashrrev_i32_e32 v148, s21, v160
	v_ashrrev_i32_e32 v160, s19, v182
	v_lshlrev_b32_e32 v160, 2, v160
	v_bfe_u32 v150, v148, 24, 2
	v_and_b32_e32 v148, 0x3030303, v148
	v_and_b32_e32 v160, 0x4040404, v160
	v_sub_u16_e32 v181, v148, v160
	v_sub_u16_sdwa v182, v148, v160 dst_sel:BYTE_1 dst_unused:UNUSED_PAD src0_sel:BYTE_1 src1_sel:BYTE_1
	v_sub_u16_sdwa v148, v148, v160 dst_sel:DWORD dst_unused:UNUSED_PAD src0_sel:WORD_1 src1_sel:WORD_1
	v_sub_u16_sdwa v150, v150, v160 dst_sel:BYTE_1 dst_unused:UNUSED_PAD src0_sel:DWORD src1_sel:BYTE_3
	v_bitop3_b16 v181, v181, v182, s8 bitop3:0xec
	v_bitop3_b16 v148, v148, v150, s8 bitop3:0xec
	v_lshlrev_b32_e32 v148, 16, v148
	v_or_b32_sdwa v160, v181, v148 dst_sel:DWORD dst_unused:UNUSED_PAD src0_sel:WORD_0 src1_sel:DWORD
	v_ashrrev_i32_e32 v148, s21, v161
	v_ashrrev_i32_e32 v161, s19, v183
	v_lshlrev_b32_e32 v161, 2, v161
	v_bfe_u32 v150, v148, 24, 2
	v_and_b32_e32 v148, 0x3030303, v148
	v_and_b32_e32 v161, 0x4040404, v161
	v_sub_u16_e32 v181, v148, v161
	v_sub_u16_sdwa v182, v148, v161 dst_sel:BYTE_1 dst_unused:UNUSED_PAD src0_sel:BYTE_1 src1_sel:BYTE_1
	v_sub_u16_sdwa v148, v148, v161 dst_sel:DWORD dst_unused:UNUSED_PAD src0_sel:WORD_1 src1_sel:WORD_1
	v_bitop3_b16 v181, v181, v182, s8 bitop3:0xec
	ds_read2_b32 v[182:183], v154 offset0:4 offset1:5
	v_sub_u16_sdwa v150, v150, v161 dst_sel:BYTE_1 dst_unused:UNUSED_PAD src0_sel:DWORD src1_sel:BYTE_3
	v_add3_u32 v188, s23, v149, v83
	v_bitop3_b16 v148, v148, v150, s8 bitop3:0xec
	v_lshlrev_b32_e32 v148, 16, v148
	v_or_b32_sdwa v161, v181, v148 dst_sel:DWORD dst_unused:UNUSED_PAD src0_sel:WORD_0 src1_sel:DWORD
	v_ashrrev_i32_e32 v181, s19, v184
	s_waitcnt lgkmcnt(0)
	v_ashrrev_i32_e32 v148, s21, v182
	v_lshlrev_b32_e32 v181, 2, v181
	v_bfe_u32 v150, v148, 24, 2
	v_and_b32_e32 v148, 0x3030303, v148
	v_and_b32_e32 v181, 0x4040404, v181
	v_sub_u16_e32 v182, v148, v181
	v_sub_u16_sdwa v184, v148, v181 dst_sel:BYTE_1 dst_unused:UNUSED_PAD src0_sel:BYTE_1 src1_sel:BYTE_1
	v_sub_u16_sdwa v148, v148, v181 dst_sel:DWORD dst_unused:UNUSED_PAD src0_sel:WORD_1 src1_sel:WORD_1
	v_sub_u16_sdwa v150, v150, v181 dst_sel:BYTE_1 dst_unused:UNUSED_PAD src0_sel:DWORD src1_sel:BYTE_3
	v_bitop3_b16 v182, v182, v184, s8 bitop3:0xec
	v_bitop3_b16 v148, v148, v150, s8 bitop3:0xec
	v_lshlrev_b32_e32 v148, 16, v148
	v_ashrrev_i32_e32 v181, s19, v185
	v_or_b32_sdwa v189, v182, v148 dst_sel:DWORD dst_unused:UNUSED_PAD src0_sel:WORD_0 src1_sel:DWORD
	v_ashrrev_i32_e32 v148, s21, v183
	v_lshlrev_b32_e32 v181, 2, v181
	v_bfe_u32 v150, v148, 24, 2
	v_and_b32_e32 v148, 0x3030303, v148
	v_and_b32_e32 v181, 0x4040404, v181
	v_sub_u16_e32 v182, v148, v181
	v_sub_u16_sdwa v183, v148, v181 dst_sel:BYTE_1 dst_unused:UNUSED_PAD src0_sel:BYTE_1 src1_sel:BYTE_1
	v_sub_u16_sdwa v148, v148, v181 dst_sel:DWORD dst_unused:UNUSED_PAD src0_sel:WORD_1 src1_sel:WORD_1
	v_sub_u16_sdwa v150, v150, v181 dst_sel:BYTE_1 dst_unused:UNUSED_PAD src0_sel:DWORD src1_sel:BYTE_3
	v_bitop3_b16 v182, v182, v183, s8 bitop3:0xec
	v_bitop3_b16 v148, v148, v150, s8 bitop3:0xec
	v_lshlrev_b32_e32 v148, 16, v148
	v_or_b32_sdwa v190, v182, v148 dst_sel:DWORD dst_unused:UNUSED_PAD src0_sel:WORD_0 src1_sel:DWORD
	ds_read2_b32 v[182:183], v154 offset0:6 offset1:7
	ds_read2_b32 v[184:185], v152 offset0:6 offset1:7
	;; [unrolled: 1-line block ×4, first 2 shown]
	v_add3_u32 v202, s23, v153, v91
	s_waitcnt lgkmcnt(3)
	v_ashrrev_i32_e32 v148, s21, v182
	s_waitcnt lgkmcnt(2)
	v_ashrrev_i32_e32 v152, s19, v184
	v_lshlrev_b32_e32 v152, 2, v152
	v_bfe_u32 v150, v148, 24, 2
	v_and_b32_e32 v148, 0x3030303, v148
	v_and_b32_e32 v152, 0x4040404, v152
	v_sub_u16_e32 v181, v148, v152
	v_sub_u16_sdwa v182, v148, v152 dst_sel:BYTE_1 dst_unused:UNUSED_PAD src0_sel:BYTE_1 src1_sel:BYTE_1
	v_sub_u16_sdwa v148, v148, v152 dst_sel:DWORD dst_unused:UNUSED_PAD src0_sel:WORD_1 src1_sel:WORD_1
	v_sub_u16_sdwa v150, v150, v152 dst_sel:BYTE_1 dst_unused:UNUSED_PAD src0_sel:DWORD src1_sel:BYTE_3
	v_bitop3_b16 v181, v181, v182, s8 bitop3:0xec
	v_bitop3_b16 v148, v148, v150, s8 bitop3:0xec
	v_lshlrev_b32_e32 v148, 16, v148
	v_ashrrev_i32_e32 v152, s19, v185
	v_or_b32_sdwa v191, v181, v148 dst_sel:DWORD dst_unused:UNUSED_PAD src0_sel:WORD_0 src1_sel:DWORD
	v_ashrrev_i32_e32 v148, s21, v183
	v_lshlrev_b32_e32 v152, 2, v152
	v_bfe_u32 v150, v148, 24, 2
	v_and_b32_e32 v148, 0x3030303, v148
	v_and_b32_e32 v152, 0x4040404, v152
	v_sub_u16_e32 v181, v148, v152
	v_sub_u16_sdwa v182, v148, v152 dst_sel:BYTE_1 dst_unused:UNUSED_PAD src0_sel:BYTE_1 src1_sel:BYTE_1
	v_sub_u16_sdwa v148, v148, v152 dst_sel:DWORD dst_unused:UNUSED_PAD src0_sel:WORD_1 src1_sel:WORD_1
	v_sub_u16_sdwa v150, v150, v152 dst_sel:BYTE_1 dst_unused:UNUSED_PAD src0_sel:DWORD src1_sel:BYTE_3
	v_bitop3_b16 v181, v181, v182, s8 bitop3:0xec
	v_bitop3_b16 v148, v148, v150, s8 bitop3:0xec
	v_lshlrev_b32_e32 v148, 16, v148
	v_or_b32_sdwa v192, v181, v148 dst_sel:DWORD dst_unused:UNUSED_PAD src0_sel:WORD_0 src1_sel:DWORD
	v_add3_u32 v148, s24, v175, v176
	v_add_u32_e32 v150, 0x1080, v154
	ds_read_b32 v148, v148
	ds_read2_b32 v[182:183], v150 offset1:1
	ds_read2_b32 v[184:185], v188 offset1:1
	ds_read2_b32 v[196:197], v188 offset0:6 offset1:7
	v_add3_u32 v208, s23, v162, v97
	v_mov_b32_e32 v210, 0
	s_waitcnt lgkmcnt(2)
	v_ashrrev_i32_e32 v150, s21, v182
	s_waitcnt lgkmcnt(1)
	v_ashrrev_i32_e32 v181, s19, v184
	v_lshlrev_b32_e32 v181, 2, v181
	v_bfe_u32 v152, v150, 24, 2
	v_and_b32_e32 v150, 0x3030303, v150
	v_and_b32_e32 v181, 0x4040404, v181
	v_sub_u16_e32 v182, v150, v181
	v_sub_u16_sdwa v184, v150, v181 dst_sel:BYTE_1 dst_unused:UNUSED_PAD src0_sel:BYTE_1 src1_sel:BYTE_1
	v_sub_u16_sdwa v150, v150, v181 dst_sel:DWORD dst_unused:UNUSED_PAD src0_sel:WORD_1 src1_sel:WORD_1
	v_sub_u16_sdwa v152, v152, v181 dst_sel:BYTE_1 dst_unused:UNUSED_PAD src0_sel:DWORD src1_sel:BYTE_3
	v_bitop3_b16 v182, v182, v184, s8 bitop3:0xec
	v_bitop3_b16 v150, v150, v152, s8 bitop3:0xec
	v_lshlrev_b32_e32 v150, 16, v150
	v_or_b32_sdwa v181, v182, v150 dst_sel:DWORD dst_unused:UNUSED_PAD src0_sel:WORD_0 src1_sel:DWORD
	v_ashrrev_i32_e32 v182, s19, v185
	v_ashrrev_i32_e32 v150, s21, v183
	v_lshlrev_b32_e32 v182, 2, v182
	v_bfe_u32 v152, v150, 24, 2
	v_and_b32_e32 v150, 0x3030303, v150
	v_and_b32_e32 v182, 0x4040404, v182
	v_sub_u16_e32 v183, v150, v182
	v_sub_u16_sdwa v184, v150, v182 dst_sel:BYTE_1 dst_unused:UNUSED_PAD src0_sel:BYTE_1 src1_sel:BYTE_1
	v_sub_u16_sdwa v150, v150, v182 dst_sel:DWORD dst_unused:UNUSED_PAD src0_sel:WORD_1 src1_sel:WORD_1
	v_sub_u16_sdwa v152, v152, v182 dst_sel:BYTE_1 dst_unused:UNUSED_PAD src0_sel:DWORD src1_sel:BYTE_3
	v_bitop3_b16 v183, v183, v184, s8 bitop3:0xec
	v_bitop3_b16 v150, v150, v152, s8 bitop3:0xec
	v_lshlrev_b32_e32 v150, 16, v150
	v_or_b32_sdwa v182, v183, v150 dst_sel:DWORD dst_unused:UNUSED_PAD src0_sel:WORD_0 src1_sel:DWORD
	v_add_u32_e32 v150, 0x1088, v154
	ds_read2_b32 v[184:185], v150 offset1:1
	v_ashrrev_i32_e32 v183, s19, v186
	v_lshlrev_b32_e32 v183, 2, v183
	v_and_b32_e32 v183, 0x4040404, v183
	v_mov_b32_e32 v211, 0
	s_waitcnt lgkmcnt(0)
	v_ashrrev_i32_e32 v150, s21, v184
	v_bfe_u32 v152, v150, 24, 2
	v_and_b32_e32 v150, 0x3030303, v150
	v_sub_u16_e32 v184, v150, v183
	v_sub_u16_sdwa v186, v150, v183 dst_sel:BYTE_1 dst_unused:UNUSED_PAD src0_sel:BYTE_1 src1_sel:BYTE_1
	v_sub_u16_sdwa v150, v150, v183 dst_sel:DWORD dst_unused:UNUSED_PAD src0_sel:WORD_1 src1_sel:WORD_1
	v_sub_u16_sdwa v152, v152, v183 dst_sel:BYTE_1 dst_unused:UNUSED_PAD src0_sel:DWORD src1_sel:BYTE_3
	v_bitop3_b16 v184, v184, v186, s8 bitop3:0xec
	v_bitop3_b16 v150, v150, v152, s8 bitop3:0xec
	v_lshlrev_b32_e32 v150, 16, v150
	v_or_b32_sdwa v183, v184, v150 dst_sel:DWORD dst_unused:UNUSED_PAD src0_sel:WORD_0 src1_sel:DWORD
	v_ashrrev_i32_e32 v184, s19, v187
	v_ashrrev_i32_e32 v150, s21, v185
	v_lshlrev_b32_e32 v184, 2, v184
	v_bfe_u32 v152, v150, 24, 2
	v_and_b32_e32 v150, 0x3030303, v150
	v_and_b32_e32 v184, 0x4040404, v184
	v_sub_u16_e32 v185, v150, v184
	v_sub_u16_sdwa v186, v150, v184 dst_sel:BYTE_1 dst_unused:UNUSED_PAD src0_sel:BYTE_1 src1_sel:BYTE_1
	v_sub_u16_sdwa v150, v150, v184 dst_sel:DWORD dst_unused:UNUSED_PAD src0_sel:WORD_1 src1_sel:WORD_1
	v_sub_u16_sdwa v152, v152, v184 dst_sel:BYTE_1 dst_unused:UNUSED_PAD src0_sel:DWORD src1_sel:BYTE_3
	v_bitop3_b16 v185, v185, v186, s8 bitop3:0xec
	v_bitop3_b16 v150, v150, v152, s8 bitop3:0xec
	v_lshlrev_b32_e32 v150, 16, v150
	v_or_b32_sdwa v184, v185, v150 dst_sel:DWORD dst_unused:UNUSED_PAD src0_sel:WORD_0 src1_sel:DWORD
	v_add_u32_e32 v150, 0x1090, v154
	ds_read2_b32 v[186:187], v150 offset1:1
	v_ashrrev_i32_e32 v185, s19, v194
	v_lshlrev_b32_e32 v185, 2, v185
	v_and_b32_e32 v185, 0x4040404, v185
	v_mov_b32_e32 v213, 0
	s_waitcnt lgkmcnt(0)
	v_ashrrev_i32_e32 v150, s21, v186
	v_bfe_u32 v152, v150, 24, 2
	v_and_b32_e32 v150, 0x3030303, v150
	v_sub_u16_e32 v186, v150, v185
	v_sub_u16_sdwa v193, v150, v185 dst_sel:BYTE_1 dst_unused:UNUSED_PAD src0_sel:BYTE_1 src1_sel:BYTE_1
	v_sub_u16_sdwa v150, v150, v185 dst_sel:DWORD dst_unused:UNUSED_PAD src0_sel:WORD_1 src1_sel:WORD_1
	v_sub_u16_sdwa v152, v152, v185 dst_sel:BYTE_1 dst_unused:UNUSED_PAD src0_sel:DWORD src1_sel:BYTE_3
	v_bitop3_b16 v186, v186, v193, s8 bitop3:0xec
	v_bitop3_b16 v150, v150, v152, s8 bitop3:0xec
	v_lshlrev_b32_e32 v150, 16, v150
	v_or_b32_sdwa v185, v186, v150 dst_sel:DWORD dst_unused:UNUSED_PAD src0_sel:WORD_0 src1_sel:DWORD
	v_ashrrev_i32_e32 v186, s19, v195
	v_ashrrev_i32_e32 v150, s21, v187
	v_lshlrev_b32_e32 v186, 2, v186
	v_bfe_u32 v152, v150, 24, 2
	v_and_b32_e32 v150, 0x3030303, v150
	v_and_b32_e32 v186, 0x4040404, v186
	v_sub_u16_e32 v187, v150, v186
	v_sub_u16_sdwa v193, v150, v186 dst_sel:BYTE_1 dst_unused:UNUSED_PAD src0_sel:BYTE_1 src1_sel:BYTE_1
	v_sub_u16_sdwa v150, v150, v186 dst_sel:DWORD dst_unused:UNUSED_PAD src0_sel:WORD_1 src1_sel:WORD_1
	v_sub_u16_sdwa v152, v152, v186 dst_sel:BYTE_1 dst_unused:UNUSED_PAD src0_sel:DWORD src1_sel:BYTE_3
	v_bitop3_b16 v187, v187, v193, s8 bitop3:0xec
	v_bitop3_b16 v150, v150, v152, s8 bitop3:0xec
	v_lshlrev_b32_e32 v150, 16, v150
	v_or_b32_sdwa v186, v187, v150 dst_sel:DWORD dst_unused:UNUSED_PAD src0_sel:WORD_0 src1_sel:DWORD
	v_add_u32_e32 v150, 0x1098, v154
	ds_read2_b32 v[194:195], v150 offset1:1
	v_ashrrev_i32_e32 v187, s19, v196
	v_lshlrev_b32_e32 v187, 2, v187
	v_and_b32_e32 v187, 0x4040404, v187
	v_mov_b32_e32 v217, 0
	s_waitcnt lgkmcnt(0)
	v_ashrrev_i32_e32 v150, s21, v194
	v_bfe_u32 v152, v150, 24, 2
	v_and_b32_e32 v150, 0x3030303, v150
	v_sub_u16_e32 v188, v150, v187
	v_sub_u16_sdwa v193, v150, v187 dst_sel:BYTE_1 dst_unused:UNUSED_PAD src0_sel:BYTE_1 src1_sel:BYTE_1
	v_sub_u16_sdwa v150, v150, v187 dst_sel:DWORD dst_unused:UNUSED_PAD src0_sel:WORD_1 src1_sel:WORD_1
	v_sub_u16_sdwa v152, v152, v187 dst_sel:BYTE_1 dst_unused:UNUSED_PAD src0_sel:DWORD src1_sel:BYTE_3
	v_bitop3_b16 v188, v188, v193, s8 bitop3:0xec
	v_bitop3_b16 v150, v150, v152, s8 bitop3:0xec
	v_lshlrev_b32_e32 v150, 16, v150
	v_or_b32_sdwa v187, v188, v150 dst_sel:DWORD dst_unused:UNUSED_PAD src0_sel:WORD_0 src1_sel:DWORD
	v_ashrrev_i32_e32 v188, s19, v197
	v_ashrrev_i32_e32 v150, s21, v195
	v_lshlrev_b32_e32 v188, 2, v188
	v_bfe_u32 v152, v150, 24, 2
	v_and_b32_e32 v150, 0x3030303, v150
	v_and_b32_e32 v188, 0x4040404, v188
	v_sub_u16_e32 v193, v150, v188
	v_sub_u16_sdwa v194, v150, v188 dst_sel:BYTE_1 dst_unused:UNUSED_PAD src0_sel:BYTE_1 src1_sel:BYTE_1
	v_sub_u16_sdwa v150, v150, v188 dst_sel:DWORD dst_unused:UNUSED_PAD src0_sel:WORD_1 src1_sel:WORD_1
	v_sub_u16_sdwa v152, v152, v188 dst_sel:BYTE_1 dst_unused:UNUSED_PAD src0_sel:DWORD src1_sel:BYTE_3
	v_bitop3_b16 v193, v193, v194, s8 bitop3:0xec
	v_bitop3_b16 v150, v150, v152, s8 bitop3:0xec
	v_lshlrev_b32_e32 v150, 16, v150
	v_or_b32_sdwa v188, v193, v150 dst_sel:DWORD dst_unused:UNUSED_PAD src0_sel:WORD_0 src1_sel:DWORD
	v_add3_u32 v150, s24, v151, v87
	v_add_u32_e32 v152, 0x2100, v154
	ds_read_b32 v150, v150
	ds_read2_b32 v[194:195], v152 offset1:1
	ds_read2_b32 v[196:197], v202 offset1:1
	ds_read2_b32 v[222:223], v208 offset0:6 offset1:7
	v_mov_b32_e32 v219, 0
	v_mov_b32_e32 v220, 0
	s_waitcnt lgkmcnt(2)
	v_ashrrev_i32_e32 v152, s21, v194
	s_waitcnt lgkmcnt(1)
	v_ashrrev_i32_e32 v194, s19, v196
	v_lshlrev_b32_e32 v194, 2, v194
	v_bfe_u32 v193, v152, 24, 2
	v_and_b32_e32 v152, 0x3030303, v152
	v_and_b32_e32 v194, 0x4040404, v194
	v_sub_u16_e32 v196, v152, v194
	v_sub_u16_sdwa v198, v152, v194 dst_sel:BYTE_1 dst_unused:UNUSED_PAD src0_sel:BYTE_1 src1_sel:BYTE_1
	v_sub_u16_sdwa v152, v152, v194 dst_sel:DWORD dst_unused:UNUSED_PAD src0_sel:WORD_1 src1_sel:WORD_1
	v_sub_u16_sdwa v193, v193, v194 dst_sel:BYTE_1 dst_unused:UNUSED_PAD src0_sel:DWORD src1_sel:BYTE_3
	v_bitop3_b16 v196, v196, v198, s8 bitop3:0xec
	v_bitop3_b16 v152, v152, v193, s8 bitop3:0xec
	v_lshlrev_b32_e32 v152, 16, v152
	v_or_b32_sdwa v193, v196, v152 dst_sel:DWORD dst_unused:UNUSED_PAD src0_sel:WORD_0 src1_sel:DWORD
	v_ashrrev_i32_e32 v152, s21, v195
	v_ashrrev_i32_e32 v195, s19, v197
	v_lshlrev_b32_e32 v195, 2, v195
	v_bfe_u32 v194, v152, 24, 2
	v_and_b32_e32 v152, 0x3030303, v152
	v_and_b32_e32 v195, 0x4040404, v195
	v_sub_u16_e32 v196, v152, v195
	v_sub_u16_sdwa v197, v152, v195 dst_sel:BYTE_1 dst_unused:UNUSED_PAD src0_sel:BYTE_1 src1_sel:BYTE_1
	v_sub_u16_sdwa v152, v152, v195 dst_sel:DWORD dst_unused:UNUSED_PAD src0_sel:WORD_1 src1_sel:WORD_1
	v_sub_u16_sdwa v194, v194, v195 dst_sel:BYTE_1 dst_unused:UNUSED_PAD src0_sel:DWORD src1_sel:BYTE_3
	v_bitop3_b16 v196, v196, v197, s8 bitop3:0xec
	v_bitop3_b16 v152, v152, v194, s8 bitop3:0xec
	v_lshlrev_b32_e32 v152, 16, v152
	v_or_b32_sdwa v194, v196, v152 dst_sel:DWORD dst_unused:UNUSED_PAD src0_sel:WORD_0 src1_sel:DWORD
	v_add_u32_e32 v152, 0x2108, v154
	ds_read2_b32 v[196:197], v152 offset1:1
	ds_read2_b32 v[198:199], v202 offset0:2 offset1:3
	v_mov_b32_e32 v226, 0
	v_mov_b32_e32 v227, 0
	v_dot4c_i32_i8_e32 v210, v158, v4
	s_waitcnt lgkmcnt(1)
	v_ashrrev_i32_e32 v152, s21, v196
	s_waitcnt lgkmcnt(0)
	v_ashrrev_i32_e32 v196, s19, v198
	v_lshlrev_b32_e32 v196, 2, v196
	v_bfe_u32 v195, v152, 24, 2
	v_and_b32_e32 v152, 0x3030303, v152
	v_and_b32_e32 v196, 0x4040404, v196
	v_sub_u16_e32 v198, v152, v196
	v_sub_u16_sdwa v200, v152, v196 dst_sel:BYTE_1 dst_unused:UNUSED_PAD src0_sel:BYTE_1 src1_sel:BYTE_1
	v_sub_u16_sdwa v152, v152, v196 dst_sel:DWORD dst_unused:UNUSED_PAD src0_sel:WORD_1 src1_sel:WORD_1
	v_sub_u16_sdwa v195, v195, v196 dst_sel:BYTE_1 dst_unused:UNUSED_PAD src0_sel:DWORD src1_sel:BYTE_3
	v_bitop3_b16 v198, v198, v200, s8 bitop3:0xec
	v_bitop3_b16 v152, v152, v195, s8 bitop3:0xec
	v_lshlrev_b32_e32 v152, 16, v152
	v_or_b32_sdwa v195, v198, v152 dst_sel:DWORD dst_unused:UNUSED_PAD src0_sel:WORD_0 src1_sel:DWORD
	v_ashrrev_i32_e32 v152, s21, v197
	v_ashrrev_i32_e32 v197, s19, v199
	v_lshlrev_b32_e32 v197, 2, v197
	v_bfe_u32 v196, v152, 24, 2
	v_and_b32_e32 v152, 0x3030303, v152
	v_and_b32_e32 v197, 0x4040404, v197
	v_sub_u16_e32 v198, v152, v197
	v_sub_u16_sdwa v199, v152, v197 dst_sel:BYTE_1 dst_unused:UNUSED_PAD src0_sel:BYTE_1 src1_sel:BYTE_1
	v_sub_u16_sdwa v152, v152, v197 dst_sel:DWORD dst_unused:UNUSED_PAD src0_sel:WORD_1 src1_sel:WORD_1
	v_sub_u16_sdwa v196, v196, v197 dst_sel:BYTE_1 dst_unused:UNUSED_PAD src0_sel:DWORD src1_sel:BYTE_3
	v_bitop3_b16 v198, v198, v199, s8 bitop3:0xec
	v_bitop3_b16 v152, v152, v196, s8 bitop3:0xec
	v_lshlrev_b32_e32 v152, 16, v152
	v_or_b32_sdwa v196, v198, v152 dst_sel:DWORD dst_unused:UNUSED_PAD src0_sel:WORD_0 src1_sel:DWORD
	v_add_u32_e32 v152, 0x2110, v154
	ds_read2_b32 v[198:199], v152 offset1:1
	ds_read2_b32 v[200:201], v202 offset0:4 offset1:5
	v_dot4c_i32_i8_e32 v211, v189, v0
	v_dot4c_i32_i8_e32 v213, v181, v4
	;; [unrolled: 1-line block ×3, first 2 shown]
	s_waitcnt lgkmcnt(1)
	v_ashrrev_i32_e32 v152, s21, v198
	s_waitcnt lgkmcnt(0)
	v_ashrrev_i32_e32 v198, s19, v200
	v_lshlrev_b32_e32 v198, 2, v198
	v_bfe_u32 v197, v152, 24, 2
	v_and_b32_e32 v152, 0x3030303, v152
	v_and_b32_e32 v198, 0x4040404, v198
	v_sub_u16_e32 v200, v152, v198
	v_sub_u16_sdwa v203, v152, v198 dst_sel:BYTE_1 dst_unused:UNUSED_PAD src0_sel:BYTE_1 src1_sel:BYTE_1
	v_sub_u16_sdwa v152, v152, v198 dst_sel:DWORD dst_unused:UNUSED_PAD src0_sel:WORD_1 src1_sel:WORD_1
	v_sub_u16_sdwa v197, v197, v198 dst_sel:BYTE_1 dst_unused:UNUSED_PAD src0_sel:DWORD src1_sel:BYTE_3
	v_bitop3_b16 v200, v200, v203, s8 bitop3:0xec
	v_bitop3_b16 v152, v152, v197, s8 bitop3:0xec
	v_lshlrev_b32_e32 v152, 16, v152
	v_or_b32_sdwa v197, v200, v152 dst_sel:DWORD dst_unused:UNUSED_PAD src0_sel:WORD_0 src1_sel:DWORD
	v_ashrrev_i32_e32 v152, s21, v199
	v_ashrrev_i32_e32 v199, s19, v201
	v_lshlrev_b32_e32 v199, 2, v199
	v_bfe_u32 v198, v152, 24, 2
	v_and_b32_e32 v152, 0x3030303, v152
	v_and_b32_e32 v199, 0x4040404, v199
	v_sub_u16_e32 v200, v152, v199
	v_sub_u16_sdwa v201, v152, v199 dst_sel:BYTE_1 dst_unused:UNUSED_PAD src0_sel:BYTE_1 src1_sel:BYTE_1
	v_sub_u16_sdwa v152, v152, v199 dst_sel:DWORD dst_unused:UNUSED_PAD src0_sel:WORD_1 src1_sel:WORD_1
	v_sub_u16_sdwa v198, v198, v199 dst_sel:BYTE_1 dst_unused:UNUSED_PAD src0_sel:DWORD src1_sel:BYTE_3
	v_bitop3_b16 v200, v200, v201, s8 bitop3:0xec
	v_bitop3_b16 v152, v152, v198, s8 bitop3:0xec
	v_lshlrev_b32_e32 v152, 16, v152
	v_or_b32_sdwa v198, v200, v152 dst_sel:DWORD dst_unused:UNUSED_PAD src0_sel:WORD_0 src1_sel:DWORD
	v_add_u32_e32 v152, 0x2118, v154
	ds_read2_b32 v[200:201], v152 offset1:1
	ds_read2_b32 v[202:203], v202 offset0:6 offset1:7
	v_dot4c_i32_i8_e32 v219, v193, v4
	v_dot4c_i32_i8_e32 v220, v197, v0
	;; [unrolled: 1-line block ×3, first 2 shown]
	s_waitcnt lgkmcnt(1)
	v_ashrrev_i32_e32 v152, s21, v200
	s_waitcnt lgkmcnt(0)
	v_ashrrev_i32_e32 v200, s19, v202
	v_lshlrev_b32_e32 v200, 2, v200
	v_bfe_u32 v199, v152, 24, 2
	v_and_b32_e32 v152, 0x3030303, v152
	v_and_b32_e32 v200, 0x4040404, v200
	v_sub_u16_e32 v202, v152, v200
	v_sub_u16_sdwa v204, v152, v200 dst_sel:BYTE_1 dst_unused:UNUSED_PAD src0_sel:BYTE_1 src1_sel:BYTE_1
	v_sub_u16_sdwa v152, v152, v200 dst_sel:DWORD dst_unused:UNUSED_PAD src0_sel:WORD_1 src1_sel:WORD_1
	v_sub_u16_sdwa v199, v199, v200 dst_sel:BYTE_1 dst_unused:UNUSED_PAD src0_sel:DWORD src1_sel:BYTE_3
	v_bitop3_b16 v202, v202, v204, s8 bitop3:0xec
	v_bitop3_b16 v152, v152, v199, s8 bitop3:0xec
	v_lshlrev_b32_e32 v152, 16, v152
	v_or_b32_sdwa v199, v202, v152 dst_sel:DWORD dst_unused:UNUSED_PAD src0_sel:WORD_0 src1_sel:DWORD
	v_ashrrev_i32_e32 v152, s21, v201
	v_ashrrev_i32_e32 v201, s19, v203
	v_lshlrev_b32_e32 v201, 2, v201
	v_bfe_u32 v200, v152, 24, 2
	v_and_b32_e32 v152, 0x3030303, v152
	v_and_b32_e32 v201, 0x4040404, v201
	v_sub_u16_e32 v202, v152, v201
	v_sub_u16_sdwa v203, v152, v201 dst_sel:BYTE_1 dst_unused:UNUSED_PAD src0_sel:BYTE_1 src1_sel:BYTE_1
	v_sub_u16_sdwa v152, v152, v201 dst_sel:DWORD dst_unused:UNUSED_PAD src0_sel:WORD_1 src1_sel:WORD_1
	v_sub_u16_sdwa v200, v200, v201 dst_sel:BYTE_1 dst_unused:UNUSED_PAD src0_sel:DWORD src1_sel:BYTE_3
	v_bitop3_b16 v202, v202, v203, s8 bitop3:0xec
	v_bitop3_b16 v152, v152, v200, s8 bitop3:0xec
	v_lshlrev_b32_e32 v152, 16, v152
	v_add_u32_e32 v201, 0x3180, v154
	v_or_b32_sdwa v200, v202, v152 dst_sel:DWORD dst_unused:UNUSED_PAD src0_sel:WORD_0 src1_sel:DWORD
	ds_read2_b32 v[202:203], v201 offset1:1
	ds_read2_b32 v[204:205], v208 offset1:1
	v_add3_u32 v152, s24, v155, v93
	ds_read_b32 v152, v152
	v_dot4c_i32_i8_e32 v211, v190, v1
	s_waitcnt lgkmcnt(2)
	v_ashrrev_i32_e32 v201, s21, v202
	s_waitcnt lgkmcnt(1)
	v_ashrrev_i32_e32 v204, s19, v204
	v_lshlrev_b32_e32 v204, 2, v204
	v_bfe_u32 v202, v201, 24, 2
	v_and_b32_e32 v201, 0x3030303, v201
	v_and_b32_e32 v204, 0x4040404, v204
	v_sub_u16_e32 v206, v201, v204
	v_sub_u16_sdwa v207, v201, v204 dst_sel:BYTE_1 dst_unused:UNUSED_PAD src0_sel:BYTE_1 src1_sel:BYTE_1
	v_sub_u16_sdwa v201, v201, v204 dst_sel:DWORD dst_unused:UNUSED_PAD src0_sel:WORD_1 src1_sel:WORD_1
	v_sub_u16_sdwa v202, v202, v204 dst_sel:BYTE_1 dst_unused:UNUSED_PAD src0_sel:DWORD src1_sel:BYTE_3
	v_ashrrev_i32_e32 v204, s19, v205
	v_bitop3_b16 v201, v201, v202, s8 bitop3:0xec
	v_ashrrev_i32_e32 v202, s21, v203
	v_lshlrev_b32_e32 v204, 2, v204
	v_bitop3_b16 v206, v206, v207, s8 bitop3:0xec
	v_lshlrev_b32_e32 v201, 16, v201
	v_bfe_u32 v203, v202, 24, 2
	v_and_b32_e32 v202, 0x3030303, v202
	v_and_b32_e32 v204, 0x4040404, v204
	v_or_b32_sdwa v201, v206, v201 dst_sel:DWORD dst_unused:UNUSED_PAD src0_sel:WORD_0 src1_sel:DWORD
	v_sub_u16_e32 v205, v202, v204
	v_sub_u16_sdwa v206, v202, v204 dst_sel:BYTE_1 dst_unused:UNUSED_PAD src0_sel:BYTE_1 src1_sel:BYTE_1
	v_sub_u16_sdwa v202, v202, v204 dst_sel:DWORD dst_unused:UNUSED_PAD src0_sel:WORD_1 src1_sel:WORD_1
	v_sub_u16_sdwa v203, v203, v204 dst_sel:BYTE_1 dst_unused:UNUSED_PAD src0_sel:DWORD src1_sel:BYTE_3
	v_bitop3_b16 v205, v205, v206, s8 bitop3:0xec
	v_bitop3_b16 v202, v202, v203, s8 bitop3:0xec
	v_lshlrev_b32_e32 v202, 16, v202
	v_add_u32_e32 v203, 0x3188, v154
	v_or_b32_sdwa v202, v205, v202 dst_sel:DWORD dst_unused:UNUSED_PAD src0_sel:WORD_0 src1_sel:DWORD
	ds_read2_b32 v[204:205], v203 offset1:1
	ds_read2_b32 v[206:207], v208 offset0:2 offset1:3
	v_dot4c_i32_i8_e32 v226, v201, v4
	v_dot4c_i32_i8_e32 v213, v182, v5
	;; [unrolled: 1-line block ×3, first 2 shown]
	s_waitcnt lgkmcnt(1)
	v_ashrrev_i32_e32 v203, s21, v204
	s_waitcnt lgkmcnt(0)
	v_ashrrev_i32_e32 v206, s19, v206
	v_lshlrev_b32_e32 v206, 2, v206
	v_bfe_u32 v204, v203, 24, 2
	v_and_b32_e32 v203, 0x3030303, v203
	v_and_b32_e32 v206, 0x4040404, v206
	v_sub_u16_e32 v214, v203, v206
	v_sub_u16_sdwa v215, v203, v206 dst_sel:BYTE_1 dst_unused:UNUSED_PAD src0_sel:BYTE_1 src1_sel:BYTE_1
	v_sub_u16_sdwa v203, v203, v206 dst_sel:DWORD dst_unused:UNUSED_PAD src0_sel:WORD_1 src1_sel:WORD_1
	v_sub_u16_sdwa v204, v204, v206 dst_sel:BYTE_1 dst_unused:UNUSED_PAD src0_sel:DWORD src1_sel:BYTE_3
	v_ashrrev_i32_e32 v206, s19, v207
	v_bitop3_b16 v203, v203, v204, s8 bitop3:0xec
	v_ashrrev_i32_e32 v204, s21, v205
	v_lshlrev_b32_e32 v206, 2, v206
	v_bitop3_b16 v214, v214, v215, s8 bitop3:0xec
	v_lshlrev_b32_e32 v203, 16, v203
	v_bfe_u32 v205, v204, 24, 2
	v_and_b32_e32 v204, 0x3030303, v204
	v_and_b32_e32 v206, 0x4040404, v206
	v_or_b32_sdwa v203, v214, v203 dst_sel:DWORD dst_unused:UNUSED_PAD src0_sel:WORD_0 src1_sel:DWORD
	v_sub_u16_e32 v207, v204, v206
	v_sub_u16_sdwa v214, v204, v206 dst_sel:BYTE_1 dst_unused:UNUSED_PAD src0_sel:BYTE_1 src1_sel:BYTE_1
	v_sub_u16_sdwa v204, v204, v206 dst_sel:DWORD dst_unused:UNUSED_PAD src0_sel:WORD_1 src1_sel:WORD_1
	v_sub_u16_sdwa v205, v205, v206 dst_sel:BYTE_1 dst_unused:UNUSED_PAD src0_sel:DWORD src1_sel:BYTE_3
	v_bitop3_b16 v207, v207, v214, s8 bitop3:0xec
	v_bitop3_b16 v204, v204, v205, s8 bitop3:0xec
	v_lshlrev_b32_e32 v204, 16, v204
	v_add_u32_e32 v205, 0x3190, v154
	v_or_b32_sdwa v204, v207, v204 dst_sel:DWORD dst_unused:UNUSED_PAD src0_sel:WORD_0 src1_sel:DWORD
	ds_read2_b32 v[206:207], v205 offset1:1
	ds_read2_b32 v[214:215], v208 offset0:4 offset1:5
	v_add_u32_e32 v154, 0x3198, v154
	v_ashrrev_i32_e32 v208, s19, v222
	v_lshlrev_b32_e32 v208, 2, v208
	s_waitcnt lgkmcnt(1)
	v_ashrrev_i32_e32 v205, s21, v206
	s_waitcnt lgkmcnt(0)
	v_ashrrev_i32_e32 v214, s19, v214
	v_lshlrev_b32_e32 v214, 2, v214
	v_bfe_u32 v206, v205, 24, 2
	v_and_b32_e32 v205, 0x3030303, v205
	v_and_b32_e32 v214, 0x4040404, v214
	v_sub_u16_e32 v216, v205, v214
	v_sub_u16_sdwa v221, v205, v214 dst_sel:BYTE_1 dst_unused:UNUSED_PAD src0_sel:BYTE_1 src1_sel:BYTE_1
	v_sub_u16_sdwa v205, v205, v214 dst_sel:DWORD dst_unused:UNUSED_PAD src0_sel:WORD_1 src1_sel:WORD_1
	v_sub_u16_sdwa v206, v206, v214 dst_sel:BYTE_1 dst_unused:UNUSED_PAD src0_sel:DWORD src1_sel:BYTE_3
	v_ashrrev_i32_e32 v214, s19, v215
	v_bitop3_b16 v205, v205, v206, s8 bitop3:0xec
	v_ashrrev_i32_e32 v206, s21, v207
	v_lshlrev_b32_e32 v214, 2, v214
	v_bitop3_b16 v216, v216, v221, s8 bitop3:0xec
	v_lshlrev_b32_e32 v205, 16, v205
	v_bfe_u32 v207, v206, 24, 2
	v_and_b32_e32 v206, 0x3030303, v206
	v_and_b32_e32 v214, 0x4040404, v214
	v_or_b32_sdwa v205, v216, v205 dst_sel:DWORD dst_unused:UNUSED_PAD src0_sel:WORD_0 src1_sel:DWORD
	v_sub_u16_e32 v215, v206, v214
	v_sub_u16_sdwa v216, v206, v214 dst_sel:BYTE_1 dst_unused:UNUSED_PAD src0_sel:BYTE_1 src1_sel:BYTE_1
	v_sub_u16_sdwa v206, v206, v214 dst_sel:DWORD dst_unused:UNUSED_PAD src0_sel:WORD_1 src1_sel:WORD_1
	v_sub_u16_sdwa v207, v207, v214 dst_sel:BYTE_1 dst_unused:UNUSED_PAD src0_sel:DWORD src1_sel:BYTE_3
	v_bitop3_b16 v215, v215, v216, s8 bitop3:0xec
	v_bitop3_b16 v206, v206, v207, s8 bitop3:0xec
	v_lshlrev_b32_e32 v206, 16, v206
	v_or_b32_sdwa v206, v215, v206 dst_sel:DWORD dst_unused:UNUSED_PAD src0_sel:WORD_0 src1_sel:DWORD
	ds_read2_b32 v[214:215], v154 offset1:1
	v_and_b32_e32 v208, 0x4040404, v208
	v_dot4c_i32_i8_e32 v227, v205, v0
	v_dot4c_i32_i8_e32 v219, v194, v5
	;; [unrolled: 1-line block ×3, first 2 shown]
	s_waitcnt lgkmcnt(0)
	v_ashrrev_i32_e32 v154, s21, v214
	v_bfe_u32 v207, v154, 24, 2
	v_and_b32_e32 v154, 0x3030303, v154
	v_sub_u16_e32 v214, v154, v208
	v_sub_u16_sdwa v216, v154, v208 dst_sel:BYTE_1 dst_unused:UNUSED_PAD src0_sel:BYTE_1 src1_sel:BYTE_1
	v_sub_u16_sdwa v154, v154, v208 dst_sel:DWORD dst_unused:UNUSED_PAD src0_sel:WORD_1 src1_sel:WORD_1
	v_sub_u16_sdwa v207, v207, v208 dst_sel:BYTE_1 dst_unused:UNUSED_PAD src0_sel:DWORD src1_sel:BYTE_3
	v_bitop3_b16 v214, v214, v216, s8 bitop3:0xec
	v_bitop3_b16 v154, v154, v207, s8 bitop3:0xec
	v_lshlrev_b32_e32 v154, 16, v154
	v_or_b32_sdwa v207, v214, v154 dst_sel:DWORD dst_unused:UNUSED_PAD src0_sel:WORD_0 src1_sel:DWORD
	v_ashrrev_i32_e32 v214, s19, v223
	v_ashrrev_i32_e32 v154, s21, v215
	v_lshlrev_b32_e32 v214, 2, v214
	v_bfe_u32 v208, v154, 24, 2
	v_and_b32_e32 v154, 0x3030303, v154
	v_and_b32_e32 v214, 0x4040404, v214
	v_sub_u16_e32 v215, v154, v214
	v_sub_u16_sdwa v216, v154, v214 dst_sel:BYTE_1 dst_unused:UNUSED_PAD src0_sel:BYTE_1 src1_sel:BYTE_1
	v_sub_u16_sdwa v154, v154, v214 dst_sel:DWORD dst_unused:UNUSED_PAD src0_sel:WORD_1 src1_sel:WORD_1
	v_sub_u16_sdwa v208, v208, v214 dst_sel:BYTE_1 dst_unused:UNUSED_PAD src0_sel:DWORD src1_sel:BYTE_3
	v_bitop3_b16 v215, v215, v216, s8 bitop3:0xec
	v_bitop3_b16 v154, v154, v208, s8 bitop3:0xec
	v_lshlrev_b32_e32 v154, 16, v154
	v_dot4c_i32_i8_e32 v226, v202, v5
	v_dot4c_i32_i8_e32 v227, v206, v1
	;; [unrolled: 1-line block ×8, first 2 shown]
	v_or_b32_sdwa v208, v215, v154 dst_sel:DWORD dst_unused:UNUSED_PAD src0_sel:WORD_0 src1_sel:DWORD
	v_add3_u32 v154, s24, v163, v99
	v_dot4c_i32_i8_e32 v226, v203, v6
	v_dot4c_i32_i8_e32 v227, v207, v2
	v_add_u32_e32 v209, s22, v23
	v_dot4c_i32_i8_e32 v210, v161, v7
	v_dot4c_i32_i8_e32 v211, v192, v3
	;; [unrolled: 1-line block ×6, first 2 shown]
	ds_read_b32 v154, v154
	v_dot4c_i32_i8_e32 v226, v204, v7
	v_dot4c_i32_i8_e32 v227, v208, v3
	ds_read_b128 v[0:3], v179 offset:1024
	ds_read_b128 v[4:7], v179 offset:1040
	ds_read_u16 v209, v209 offset:33522
	v_mov_b32_e32 v214, 0
	v_mov_b32_e32 v223, 0
	s_waitcnt lgkmcnt(2)
	v_dot4c_i32_i8_e32 v214, v158, v0
	v_dot4c_i32_i8_e32 v214, v159, v1
	s_waitcnt lgkmcnt(1)
	v_dot4c_i32_i8_e32 v223, v189, v4
	v_dot4c_i32_i8_e32 v214, v160, v2
	v_dot4c_i32_i8_e32 v223, v190, v5
	s_waitcnt lgkmcnt(0)
	v_lshrrev_b16_e32 v215, 8, v209
	v_dot4c_i32_i8_e32 v214, v161, v3
	v_dot4c_i32_i8_e32 v223, v191, v6
	v_bfe_i32 v215, v215, 0, 8
	v_bfe_i32 v216, v209, 0, 8
	v_dot4c_i32_i8_e32 v223, v192, v7
	v_mul_lo_u32 v214, v214, v216
	v_mul_lo_u32 v222, v211, v215
	v_add_u32_e32 v212, s22, v25
	v_add_u32_e32 v218, s22, v27
	;; [unrolled: 1-line block ×3, first 2 shown]
	v_mad_u64_u32 v[210:211], s[22:23], v210, v216, v[222:223]
	v_mad_u64_u32 v[222:223], s[22:23], v223, v215, v[214:215]
	v_cvt_f32_i32_e32 v211, v222
	v_cvt_f32_i32_e32 v210, v210
	v_pk_mul_f32 v[224:225], v[148:149], v[156:157] op_sel_hi:[0,1]
	v_mov_b32_e32 v209, 0
	v_dot4c_i32_i8_e32 v209, v181, v0
	v_pk_fma_f32 v[54:55], v[224:225], v[210:211], v[54:55]
	ds_read_u16 v210, v212 offset:34546
	v_mov_b32_e32 v211, 0
	v_dot4c_i32_i8_e32 v209, v182, v1
	v_dot4c_i32_i8_e32 v211, v185, v4
	v_dot4c_i32_i8_e32 v209, v183, v2
	v_dot4c_i32_i8_e32 v211, v186, v5
	s_waitcnt lgkmcnt(0)
	v_lshrrev_b16_e32 v212, 8, v210
	v_dot4c_i32_i8_e32 v209, v184, v3
	v_dot4c_i32_i8_e32 v211, v187, v6
	v_bfe_i32 v212, v212, 0, 8
	v_bfe_i32 v214, v210, 0, 8
	v_dot4c_i32_i8_e32 v211, v188, v7
	v_mul_lo_u32 v210, v209, v214
	v_mul_lo_u32 v222, v217, v212
	v_mad_u64_u32 v[222:223], s[22:23], v213, v214, v[222:223]
	v_mad_u64_u32 v[210:211], s[22:23], v211, v212, v[210:211]
	v_cvt_f32_i32_e32 v211, v210
	v_cvt_f32_i32_e32 v210, v222
	v_pk_mul_f32 v[224:225], v[150:151], v[156:157] op_sel_hi:[0,1]
	v_mov_b32_e32 v209, 0
	v_dot4c_i32_i8_e32 v209, v193, v0
	v_pk_fma_f32 v[136:137], v[224:225], v[210:211], v[136:137]
	ds_read_u16 v210, v218 offset:35570
	v_mov_b32_e32 v217, 0
	v_dot4c_i32_i8_e32 v209, v194, v1
	v_dot4c_i32_i8_e32 v217, v197, v4
	;; [unrolled: 1-line block ×6, first 2 shown]
	s_waitcnt lgkmcnt(0)
	v_lshrrev_b16_e32 v211, 8, v210
	v_bfe_i32 v213, v210, 0, 8
	v_dot4c_i32_i8_e32 v217, v200, v7
	v_bfe_i32 v211, v211, 0, 8
	v_mul_lo_u32 v210, v209, v213
	v_mul_lo_u32 v218, v220, v211
	v_mad_u64_u32 v[222:223], s[22:23], v217, v211, v[210:211]
	v_mov_b32_e32 v217, 0
	v_dot4c_i32_i8_e32 v217, v201, v0
	ds_read_u16 v0, v221 offset:36594
	v_dot4c_i32_i8_e32 v217, v202, v1
	v_mov_b32_e32 v1, 0
	v_dot4c_i32_i8_e32 v1, v205, v4
	v_dot4c_i32_i8_e32 v217, v203, v2
	v_dot4c_i32_i8_e32 v1, v206, v5
	s_waitcnt lgkmcnt(0)
	v_lshrrev_b16_e32 v2, 8, v0
	v_dot4c_i32_i8_e32 v217, v204, v3
	v_dot4c_i32_i8_e32 v1, v207, v6
	v_bfe_i32 v209, v2, 0, 8
	v_bfe_i32 v210, v0, 0, 8
	v_dot4c_i32_i8_e32 v1, v208, v7
	v_mul_lo_u32 v0, v217, v210
	v_mul_lo_u32 v2, v227, v209
                                        ; kill: def $vgpr3 killed $sgpr0 killed $exec
	v_mad_u64_u32 v[218:219], s[22:23], v219, v213, v[218:219]
	v_mad_u64_u32 v[2:3], s[22:23], v226, v210, v[2:3]
	;; [unrolled: 1-line block ×3, first 2 shown]
	v_cvt_f32_i32_e32 v1, v0
	v_cvt_f32_i32_e32 v0, v2
	v_pk_mul_f32 v[4:5], v[154:155], v[156:157] op_sel_hi:[0,1]
	v_pk_mul_f32 v[224:225], v[152:153], v[156:157] op_sel_hi:[0,1]
	v_cvt_f32_i32_e32 v219, v222
	v_cvt_f32_i32_e32 v218, v218
	v_pk_fma_f32 v[146:147], v[4:5], v[0:1], v[146:147]
	ds_read2_b32 v[156:157], v180 offset0:64 offset1:96
	ds_read_b128 v[0:3], v179 offset:2048
	ds_read_b128 v[4:7], v179 offset:2064
	v_mov_b32_e32 v217, 0
	v_pk_fma_f32 v[142:143], v[224:225], v[218:219], v[142:143]
	v_mov_b32_e32 v219, 0
	v_mov_b32_e32 v224, 0
	;; [unrolled: 1-line block ×7, first 2 shown]
	s_waitcnt lgkmcnt(1)
	v_dot4c_i32_i8_e32 v217, v158, v0
	s_waitcnt lgkmcnt(0)
	v_dot4c_i32_i8_e32 v219, v189, v4
	v_dot4c_i32_i8_e32 v224, v181, v0
	;; [unrolled: 1-line block ×31, first 2 shown]
	ds_read_b128 v[0:3], v179 offset:3072
	ds_read_b128 v[4:7], v179 offset:3088
	v_mov_b32_e32 v218, 0
	v_mov_b32_e32 v222, 0
	v_mul_lo_u32 v220, v219, v215
	s_waitcnt lgkmcnt(1)
	v_dot4c_i32_i8_e32 v218, v158, v0
	v_dot4c_i32_i8_e32 v218, v159, v1
	s_waitcnt lgkmcnt(0)
	v_dot4c_i32_i8_e32 v222, v189, v4
	v_dot4c_i32_i8_e32 v218, v160, v2
	;; [unrolled: 1-line block ×6, first 2 shown]
                                        ; kill: def $vgpr219 killed $sgpr0 killed $exec
	v_mad_u64_u32 v[220:221], s[22:23], v217, v216, v[220:221]
	v_mul_lo_u32 v218, v218, v216
	s_nop 0
	v_mad_u64_u32 v[218:219], s[22:23], v222, v215, v[218:219]
	v_cvt_f32_i32_e32 v219, v218
	v_cvt_f32_i32_e32 v218, v220
	v_pk_mul_f32 v[222:223], v[148:149], v[156:157] op_sel_hi:[0,1]
	v_mov_b32_e32 v217, 0
	v_dot4c_i32_i8_e32 v217, v181, v0
	v_pk_fma_f32 v[120:121], v[222:223], v[218:219], v[120:121]
	v_mov_b32_e32 v219, 0
	v_dot4c_i32_i8_e32 v217, v182, v1
	v_dot4c_i32_i8_e32 v219, v185, v4
	;; [unrolled: 1-line block ×7, first 2 shown]
	v_mul_lo_u32 v220, v225, v212
	v_mul_lo_u32 v218, v217, v214
	v_mad_u64_u32 v[220:221], s[22:23], v224, v214, v[220:221]
	v_mad_u64_u32 v[218:219], s[22:23], v219, v212, v[218:219]
	v_mov_b32_e32 v217, 0
	v_cvt_f32_i32_e32 v219, v218
	v_cvt_f32_i32_e32 v218, v220
	v_dot4c_i32_i8_e32 v217, v193, v0
	v_dot4c_i32_i8_e32 v217, v194, v1
	;; [unrolled: 1-line block ×3, first 2 shown]
	v_pk_mul_f32 v[222:223], v[150:151], v[156:157] op_sel_hi:[0,1]
	v_dot4c_i32_i8_e32 v217, v196, v3
	v_pk_fma_f32 v[130:131], v[222:223], v[218:219], v[130:131]
	v_mov_b32_e32 v219, 0
	v_dot4c_i32_i8_e32 v219, v197, v4
	v_mul_lo_u32 v218, v217, v213
	v_mov_b32_e32 v217, 0
	v_dot4c_i32_i8_e32 v217, v201, v0
	v_dot4c_i32_i8_e32 v217, v202, v1
	v_mov_b32_e32 v1, 0
	v_dot4c_i32_i8_e32 v1, v205, v4
	v_dot4c_i32_i8_e32 v217, v203, v2
	;; [unrolled: 1-line block ×6, first 2 shown]
	v_mul_lo_u32 v2, v229, v209
	v_mul_lo_u32 v0, v217, v210
                                        ; kill: def $vgpr3 killed $sgpr0 killed $exec
	v_dot4c_i32_i8_e32 v219, v198, v5
	v_mad_u64_u32 v[2:3], s[22:23], v228, v210, v[2:3]
	v_mad_u64_u32 v[0:1], s[22:23], v1, v209, v[0:1]
	v_cvt_f32_i32_e32 v1, v0
	v_cvt_f32_i32_e32 v0, v2
	v_dot4c_i32_i8_e32 v219, v199, v6
	v_dot4c_i32_i8_e32 v219, v200, v7
	v_mul_lo_u32 v220, v227, v211
	v_mad_u64_u32 v[220:221], s[22:23], v226, v213, v[220:221]
	s_nop 0
	v_mad_u64_u32 v[218:219], s[22:23], v219, v211, v[218:219]
	v_pk_mul_f32 v[4:5], v[154:155], v[156:157] op_sel_hi:[0,1]
	v_pk_mul_f32 v[222:223], v[152:153], v[156:157] op_sel_hi:[0,1]
	v_cvt_f32_i32_e32 v219, v218
	v_cvt_f32_i32_e32 v218, v220
	v_pk_fma_f32 v[144:145], v[4:5], v[0:1], v[144:145]
	ds_read2_b32 v[156:157], v180 offset0:128 offset1:160
	ds_read_b128 v[0:3], v179 offset:4096
	ds_read_b128 v[4:7], v179 offset:4112
	v_mov_b32_e32 v217, 0
	v_pk_fma_f32 v[138:139], v[222:223], v[218:219], v[138:139]
	v_mov_b32_e32 v219, 0
	v_mov_b32_e32 v224, 0
	;; [unrolled: 1-line block ×7, first 2 shown]
	s_waitcnt lgkmcnt(1)
	v_dot4c_i32_i8_e32 v217, v158, v0
	s_waitcnt lgkmcnt(0)
	v_dot4c_i32_i8_e32 v219, v189, v4
	v_dot4c_i32_i8_e32 v224, v181, v0
	v_dot4c_i32_i8_e32 v225, v185, v4
	v_dot4c_i32_i8_e32 v226, v193, v0
	v_dot4c_i32_i8_e32 v227, v197, v4
	v_dot4c_i32_i8_e32 v228, v201, v0
	v_dot4c_i32_i8_e32 v229, v205, v4
	v_dot4c_i32_i8_e32 v217, v159, v1
	v_dot4c_i32_i8_e32 v219, v190, v5
	v_dot4c_i32_i8_e32 v224, v182, v1
	v_dot4c_i32_i8_e32 v225, v186, v5
	v_dot4c_i32_i8_e32 v226, v194, v1
	v_dot4c_i32_i8_e32 v227, v198, v5
	v_dot4c_i32_i8_e32 v228, v202, v1
	v_dot4c_i32_i8_e32 v229, v206, v5
	v_dot4c_i32_i8_e32 v217, v160, v2
	v_dot4c_i32_i8_e32 v219, v191, v6
	v_dot4c_i32_i8_e32 v224, v183, v2
	v_dot4c_i32_i8_e32 v225, v187, v6
	v_dot4c_i32_i8_e32 v226, v195, v2
	v_dot4c_i32_i8_e32 v227, v199, v6
	v_dot4c_i32_i8_e32 v228, v203, v2
	v_dot4c_i32_i8_e32 v229, v207, v6
	v_dot4c_i32_i8_e32 v217, v161, v3
	v_dot4c_i32_i8_e32 v219, v192, v7
	v_dot4c_i32_i8_e32 v224, v184, v3
	v_dot4c_i32_i8_e32 v225, v188, v7
	v_dot4c_i32_i8_e32 v226, v196, v3
	v_dot4c_i32_i8_e32 v227, v200, v7
	v_dot4c_i32_i8_e32 v228, v204, v3
	v_dot4c_i32_i8_e32 v229, v208, v7
	ds_read_b128 v[0:3], v179 offset:5120
	ds_read_b128 v[4:7], v179 offset:5136
	v_mov_b32_e32 v218, 0
	v_mov_b32_e32 v222, 0
	v_mul_lo_u32 v220, v219, v215
	s_waitcnt lgkmcnt(1)
	v_dot4c_i32_i8_e32 v218, v158, v0
	v_dot4c_i32_i8_e32 v218, v159, v1
	s_waitcnt lgkmcnt(0)
	v_dot4c_i32_i8_e32 v222, v189, v4
	v_dot4c_i32_i8_e32 v218, v160, v2
	;; [unrolled: 1-line block ×6, first 2 shown]
                                        ; kill: def $vgpr219 killed $sgpr0 killed $exec
	v_mad_u64_u32 v[220:221], s[22:23], v217, v216, v[220:221]
	v_mul_lo_u32 v218, v218, v216
	s_nop 0
	v_mad_u64_u32 v[218:219], s[22:23], v222, v215, v[218:219]
	v_cvt_f32_i32_e32 v219, v218
	v_cvt_f32_i32_e32 v218, v220
	v_pk_mul_f32 v[222:223], v[148:149], v[156:157] op_sel_hi:[0,1]
	v_mov_b32_e32 v217, 0
	v_dot4c_i32_i8_e32 v217, v181, v0
	v_pk_fma_f32 v[116:117], v[222:223], v[218:219], v[116:117]
	v_mov_b32_e32 v219, 0
	v_dot4c_i32_i8_e32 v217, v182, v1
	v_dot4c_i32_i8_e32 v219, v185, v4
	;; [unrolled: 1-line block ×7, first 2 shown]
	v_mul_lo_u32 v220, v225, v212
	v_mul_lo_u32 v218, v217, v214
	v_mad_u64_u32 v[220:221], s[22:23], v224, v214, v[220:221]
	v_mad_u64_u32 v[218:219], s[22:23], v219, v212, v[218:219]
	v_mov_b32_e32 v217, 0
	v_cvt_f32_i32_e32 v219, v218
	v_cvt_f32_i32_e32 v218, v220
	v_dot4c_i32_i8_e32 v217, v193, v0
	v_dot4c_i32_i8_e32 v217, v194, v1
	;; [unrolled: 1-line block ×3, first 2 shown]
	v_pk_mul_f32 v[222:223], v[150:151], v[156:157] op_sel_hi:[0,1]
	v_dot4c_i32_i8_e32 v217, v196, v3
	v_pk_fma_f32 v[122:123], v[222:223], v[218:219], v[122:123]
	v_mov_b32_e32 v219, 0
	v_dot4c_i32_i8_e32 v219, v197, v4
	v_mul_lo_u32 v218, v217, v213
	v_mov_b32_e32 v217, 0
	v_dot4c_i32_i8_e32 v217, v201, v0
	v_dot4c_i32_i8_e32 v217, v202, v1
	v_mov_b32_e32 v1, 0
	v_dot4c_i32_i8_e32 v1, v205, v4
	v_dot4c_i32_i8_e32 v217, v203, v2
	v_dot4c_i32_i8_e32 v1, v206, v5
	v_dot4c_i32_i8_e32 v217, v204, v3
	v_dot4c_i32_i8_e32 v1, v207, v6
	v_dot4c_i32_i8_e32 v1, v208, v7
	v_mul_lo_u32 v2, v229, v209
	v_mul_lo_u32 v0, v217, v210
                                        ; kill: def $vgpr3 killed $sgpr0 killed $exec
	v_dot4c_i32_i8_e32 v219, v198, v5
	v_mad_u64_u32 v[2:3], s[22:23], v228, v210, v[2:3]
	v_mad_u64_u32 v[0:1], s[22:23], v1, v209, v[0:1]
	v_cvt_f32_i32_e32 v1, v0
	v_cvt_f32_i32_e32 v0, v2
	v_dot4c_i32_i8_e32 v219, v199, v6
	v_dot4c_i32_i8_e32 v219, v200, v7
	v_mul_lo_u32 v220, v227, v211
	v_mad_u64_u32 v[220:221], s[22:23], v226, v213, v[220:221]
	s_nop 0
	v_mad_u64_u32 v[218:219], s[22:23], v219, v211, v[218:219]
	v_pk_mul_f32 v[4:5], v[154:155], v[156:157] op_sel_hi:[0,1]
	v_pk_mul_f32 v[222:223], v[152:153], v[156:157] op_sel_hi:[0,1]
	v_cvt_f32_i32_e32 v219, v218
	v_cvt_f32_i32_e32 v218, v220
	v_pk_fma_f32 v[140:141], v[4:5], v[0:1], v[140:141]
	ds_read2_b32 v[156:157], v180 offset0:192 offset1:224
	ds_read_b128 v[0:3], v179 offset:6144
	ds_read_b128 v[4:7], v179 offset:6160
	v_mov_b32_e32 v224, 0
	v_pk_fma_f32 v[132:133], v[222:223], v[218:219], v[132:133]
	v_mov_b32_e32 v223, 0
	v_mov_b32_e32 v221, 0
	;; [unrolled: 1-line block ×7, first 2 shown]
	s_waitcnt lgkmcnt(1)
	v_dot4c_i32_i8_e32 v223, v158, v0
	s_waitcnt lgkmcnt(0)
	v_dot4c_i32_i8_e32 v224, v189, v4
	v_dot4c_i32_i8_e32 v221, v181, v0
	;; [unrolled: 1-line block ×31, first 2 shown]
	ds_read_b128 v[4:7], v179 offset:7168
	ds_read_b128 v[0:3], v179 offset:7184
	v_mov_b32_e32 v225, 0
	s_add_i32 s18, s18, 2
	s_add_i32 s19, s19, 1
	s_waitcnt lgkmcnt(1)
	v_dot4c_i32_i8_e32 v225, v158, v4
	v_dot4c_i32_i8_e32 v225, v159, v5
	;; [unrolled: 1-line block ×4, first 2 shown]
	v_mov_b32_e32 v161, 0
	s_waitcnt lgkmcnt(0)
	v_dot4c_i32_i8_e32 v161, v189, v0
	v_dot4c_i32_i8_e32 v161, v190, v1
	;; [unrolled: 1-line block ×4, first 2 shown]
	v_mul_lo_u32 v160, v225, v216
	v_mul_lo_u32 v158, v224, v215
                                        ; kill: def $vgpr159 killed $sgpr0 killed $exec
	v_pk_mul_f32 v[190:191], v[148:149], v[156:157] op_sel_hi:[0,1]
	v_mad_u64_u32 v[158:159], s[22:23], v223, v216, v[158:159]
	v_mad_u64_u32 v[160:161], s[22:23], v161, v215, v[160:161]
	v_mov_b32_e32 v148, 0
	v_cvt_f32_i32_e32 v159, v160
	v_cvt_f32_i32_e32 v158, v158
	v_dot4c_i32_i8_e32 v148, v181, v4
	v_mov_b32_e32 v160, 0
	v_dot4c_i32_i8_e32 v148, v182, v5
	v_dot4c_i32_i8_e32 v160, v185, v0
	;; [unrolled: 1-line block ×6, first 2 shown]
	v_pk_fma_f32 v[114:115], v[190:191], v[158:159], v[114:115]
	v_dot4c_i32_i8_e32 v160, v188, v3
	v_mul_lo_u32 v148, v148, v214
	v_mul_lo_u32 v158, v222, v212
                                        ; kill: def $vgpr159 killed $sgpr0 killed $exec
	v_pk_mul_f32 v[182:183], v[150:151], v[156:157] op_sel_hi:[0,1]
	v_mad_u64_u32 v[158:159], s[22:23], v221, v214, v[158:159]
	v_mad_u64_u32 v[160:161], s[22:23], v160, v212, v[148:149]
	v_mov_b32_e32 v148, 0
	v_cvt_f32_i32_e32 v159, v160
	v_dot4c_i32_i8_e32 v148, v193, v4
	v_mov_b32_e32 v160, 0
	v_dot4c_i32_i8_e32 v148, v194, v5
	v_dot4c_i32_i8_e32 v160, v197, v0
	;; [unrolled: 1-line block ×7, first 2 shown]
	v_cvt_f32_i32_e32 v158, v158
	v_mul_lo_u32 v148, v148, v213
	v_mul_lo_u32 v150, v220, v211
	v_mad_u64_u32 v[160:161], s[22:23], v160, v211, v[148:149]
	v_mov_b32_e32 v148, 0
	v_dot4c_i32_i8_e32 v148, v201, v4
	v_mov_b32_e32 v4, 0
	v_dot4c_i32_i8_e32 v148, v202, v5
	v_dot4c_i32_i8_e32 v4, v205, v0
	;; [unrolled: 1-line block ×7, first 2 shown]
	v_mul_lo_u32 v2, v218, v209
	v_mul_lo_u32 v0, v148, v210
                                        ; kill: def $vgpr1 killed $sgpr0 killed $exec
	v_pk_fma_f32 v[118:119], v[182:183], v[158:159], v[118:119]
	v_mad_u64_u32 v[158:159], s[22:23], v219, v213, v[150:151]
	v_mad_u64_u32 v[2:3], s[22:23], v217, v210, v[2:3]
	;; [unrolled: 1-line block ×3, first 2 shown]
	v_cvt_f32_i32_e32 v159, v160
	v_cvt_f32_i32_e32 v158, v158
	;; [unrolled: 1-line block ×4, first 2 shown]
	v_pk_mul_f32 v[182:183], v[152:153], v[156:157] op_sel_hi:[0,1]
	v_pk_mul_f32 v[4:5], v[154:155], v[156:157] op_sel_hi:[0,1]
	v_pk_fma_f32 v[124:125], v[182:183], v[158:159], v[124:125]
	v_pk_fma_f32 v[134:135], v[4:5], v[0:1], v[134:135]
	v_add_u32_e32 v180, 4, v180
	v_add_u32_e32 v179, 32, v179
	s_cmp_lt_u32 s20, 22
	s_mov_b32 s22, s20
	s_cbranch_scc1 .LBB150_12
; %bb.13:                               ;   in Loop: Header=BB150_6 Depth=1
	v_add_u32_e32 v148, s17, v101
	v_add_u32_e32 v150, v148, v67
	v_mad_i64_i32 v[156:157], s[18:19], v150, 36, v[52:53]
	v_add_u32_e32 v150, v148, v69
	v_add_u32_e32 v0, v148, v59
	;; [unrolled: 1-line block ×5, first 2 shown]
	v_mad_i64_i32 v[158:159], s[18:19], v150, 36, v[52:53]
	v_add_u32_e32 v150, v148, v71
	v_add_u32_e32 v148, v148, v73
	v_mad_i64_i32 v[180:181], s[18:19], v148, 36, v[52:53]
	v_add_u32_e32 v148, 12, v177
	v_mad_i64_i32 v[0:1], s[18:19], v0, 36, v[52:53]
	v_mad_i64_i32 v[2:3], s[18:19], v2, 36, v[52:53]
	;; [unrolled: 1-line block ×4, first 2 shown]
	v_mad_u64_u32 v[182:183], s[18:19], v148, 36, s[2:3]
	s_barrier
	v_mad_i64_i32 v[160:161], s[18:19], v150, 36, v[52:53]
	global_load_dword v148, v[182:183], off
	s_nop 0
	global_load_dword v0, v[0:1], off offset:4
	s_nop 0
	global_load_dword v1, v[2:3], off offset:4
	;; [unrolled: 2-line block ×3, first 2 shown]
	global_load_dword v3, v[6:7], off offset:4
	s_nop 0
	global_load_dword v4, v[156:157], off offset:4
	global_load_dword v5, v[158:159], off offset:4
	;; [unrolled: 1-line block ×4, first 2 shown]
	s_mov_b32 s17, 24
	s_mov_b32 s21, 22
	;; [unrolled: 1-line block ×3, first 2 shown]
	v_mov_b32_e32 v177, v173
	s_waitcnt vmcnt(8)
	v_cvt_f32_f16_e32 v148, v148
	s_waitcnt vmcnt(7)
	ds_write_b32 v178, v0
	s_waitcnt vmcnt(6)
	ds_write_b32 v105, v1
	;; [unrolled: 2-line block ×8, first 2 shown]
	ds_write_b32 v57, v148
	v_mov_b32_e32 v178, v103
	s_waitcnt lgkmcnt(0)
	s_barrier
.LBB150_14:                             ;   Parent Loop BB150_6 Depth=1
                                        ; =>  This Inner Loop Header: Depth=2
	s_add_i32 s19, s21, 2
	s_lshr_b32 s24, s19, 4
	s_and_b32 s22, s19, 0x3ffffff8
	v_lshl_add_u32 v154, s22, 2, v167
	s_lshl_b32 s22, s24, 5
	s_addk_i32 s22, 0x4200
	v_add3_u32 v152, s22, v174, v168
	ds_read2_b32 v[156:157], v178 offset1:32
	ds_read_b128 v[4:7], v177
	ds_read_b128 v[0:3], v177 offset:16
	ds_read2_b32 v[158:159], v154 offset1:1
	ds_read2_b32 v[160:161], v152 offset1:1
	ds_read2_b32 v[180:181], v152 offset0:2 offset1:3
	ds_read2_b32 v[182:183], v152 offset0:4 offset1:5
	s_sub_i32 s20, s21, 22
	s_waitcnt lgkmcnt(3)
	v_ashrrev_i32_e32 v148, s20, v158
	s_waitcnt lgkmcnt(2)
	v_ashrrev_i32_e32 v158, s18, v160
	v_lshlrev_b32_e32 v158, 2, v158
	v_bfe_u32 v150, v148, 24, 2
	v_and_b32_e32 v148, 0x3030303, v148
	v_and_b32_e32 v158, 0x4040404, v158
	v_sub_u16_e32 v160, v148, v158
	v_sub_u16_sdwa v179, v148, v158 dst_sel:BYTE_1 dst_unused:UNUSED_PAD src0_sel:BYTE_1 src1_sel:BYTE_1
	v_sub_u16_sdwa v148, v148, v158 dst_sel:DWORD dst_unused:UNUSED_PAD src0_sel:WORD_1 src1_sel:WORD_1
	v_sub_u16_sdwa v150, v150, v158 dst_sel:BYTE_1 dst_unused:UNUSED_PAD src0_sel:DWORD src1_sel:BYTE_3
	v_bitop3_b16 v160, v160, v179, s8 bitop3:0xec
	v_bitop3_b16 v148, v148, v150, s8 bitop3:0xec
	v_lshlrev_b32_e32 v148, 16, v148
	v_or_b32_sdwa v158, v160, v148 dst_sel:DWORD dst_unused:UNUSED_PAD src0_sel:WORD_0 src1_sel:DWORD
	v_ashrrev_i32_e32 v148, s20, v159
	v_ashrrev_i32_e32 v159, s18, v161
	v_lshlrev_b32_e32 v159, 2, v159
	v_bfe_u32 v150, v148, 24, 2
	v_and_b32_e32 v148, 0x3030303, v148
	v_and_b32_e32 v159, 0x4040404, v159
	v_sub_u16_e32 v160, v148, v159
	v_sub_u16_sdwa v161, v148, v159 dst_sel:BYTE_1 dst_unused:UNUSED_PAD src0_sel:BYTE_1 src1_sel:BYTE_1
	v_sub_u16_sdwa v148, v148, v159 dst_sel:DWORD dst_unused:UNUSED_PAD src0_sel:WORD_1 src1_sel:WORD_1
	v_sub_u16_sdwa v150, v150, v159 dst_sel:BYTE_1 dst_unused:UNUSED_PAD src0_sel:DWORD src1_sel:BYTE_3
	v_bitop3_b16 v160, v160, v161, s8 bitop3:0xec
	v_bitop3_b16 v148, v148, v150, s8 bitop3:0xec
	v_lshlrev_b32_e32 v148, 16, v148
	v_or_b32_sdwa v159, v160, v148 dst_sel:DWORD dst_unused:UNUSED_PAD src0_sel:WORD_0 src1_sel:DWORD
	ds_read2_b32 v[160:161], v154 offset0:2 offset1:3
	s_and_b32 s23, s17, -16
	s_add_i32 s21, s21, s23
	s_lshl_b32 s23, s24, 2
	s_add_i32 s23, s23, 0x9380
	s_waitcnt lgkmcnt(0)
	v_ashrrev_i32_e32 v148, s20, v160
	v_ashrrev_i32_e32 v160, s18, v180
	v_lshlrev_b32_e32 v160, 2, v160
	v_bfe_u32 v150, v148, 24, 2
	v_and_b32_e32 v148, 0x3030303, v148
	v_and_b32_e32 v160, 0x4040404, v160
	v_sub_u16_e32 v179, v148, v160
	v_sub_u16_sdwa v180, v148, v160 dst_sel:BYTE_1 dst_unused:UNUSED_PAD src0_sel:BYTE_1 src1_sel:BYTE_1
	v_sub_u16_sdwa v148, v148, v160 dst_sel:DWORD dst_unused:UNUSED_PAD src0_sel:WORD_1 src1_sel:WORD_1
	v_sub_u16_sdwa v150, v150, v160 dst_sel:BYTE_1 dst_unused:UNUSED_PAD src0_sel:DWORD src1_sel:BYTE_3
	v_bitop3_b16 v179, v179, v180, s8 bitop3:0xec
	v_bitop3_b16 v148, v148, v150, s8 bitop3:0xec
	v_lshlrev_b32_e32 v148, 16, v148
	v_or_b32_sdwa v160, v179, v148 dst_sel:DWORD dst_unused:UNUSED_PAD src0_sel:WORD_0 src1_sel:DWORD
	v_ashrrev_i32_e32 v148, s20, v161
	v_ashrrev_i32_e32 v161, s18, v181
	v_lshlrev_b32_e32 v161, 2, v161
	v_bfe_u32 v150, v148, 24, 2
	v_and_b32_e32 v148, 0x3030303, v148
	v_and_b32_e32 v161, 0x4040404, v161
	v_sub_u16_e32 v179, v148, v161
	v_sub_u16_sdwa v180, v148, v161 dst_sel:BYTE_1 dst_unused:UNUSED_PAD src0_sel:BYTE_1 src1_sel:BYTE_1
	v_sub_u16_sdwa v148, v148, v161 dst_sel:DWORD dst_unused:UNUSED_PAD src0_sel:WORD_1 src1_sel:WORD_1
	v_bitop3_b16 v179, v179, v180, s8 bitop3:0xec
	ds_read2_b32 v[180:181], v154 offset0:4 offset1:5
	v_sub_u16_sdwa v150, v150, v161 dst_sel:BYTE_1 dst_unused:UNUSED_PAD src0_sel:DWORD src1_sel:BYTE_3
	v_add3_u32 v186, s22, v149, v83
	v_bitop3_b16 v148, v148, v150, s8 bitop3:0xec
	v_lshlrev_b32_e32 v148, 16, v148
	v_or_b32_sdwa v161, v179, v148 dst_sel:DWORD dst_unused:UNUSED_PAD src0_sel:WORD_0 src1_sel:DWORD
	v_ashrrev_i32_e32 v179, s18, v182
	s_waitcnt lgkmcnt(0)
	v_ashrrev_i32_e32 v148, s20, v180
	v_lshlrev_b32_e32 v179, 2, v179
	v_bfe_u32 v150, v148, 24, 2
	v_and_b32_e32 v148, 0x3030303, v148
	v_and_b32_e32 v179, 0x4040404, v179
	v_sub_u16_e32 v180, v148, v179
	v_sub_u16_sdwa v182, v148, v179 dst_sel:BYTE_1 dst_unused:UNUSED_PAD src0_sel:BYTE_1 src1_sel:BYTE_1
	v_sub_u16_sdwa v148, v148, v179 dst_sel:DWORD dst_unused:UNUSED_PAD src0_sel:WORD_1 src1_sel:WORD_1
	v_sub_u16_sdwa v150, v150, v179 dst_sel:BYTE_1 dst_unused:UNUSED_PAD src0_sel:DWORD src1_sel:BYTE_3
	v_bitop3_b16 v180, v180, v182, s8 bitop3:0xec
	v_bitop3_b16 v148, v148, v150, s8 bitop3:0xec
	v_lshlrev_b32_e32 v148, 16, v148
	v_ashrrev_i32_e32 v179, s18, v183
	v_or_b32_sdwa v187, v180, v148 dst_sel:DWORD dst_unused:UNUSED_PAD src0_sel:WORD_0 src1_sel:DWORD
	v_ashrrev_i32_e32 v148, s20, v181
	v_lshlrev_b32_e32 v179, 2, v179
	v_bfe_u32 v150, v148, 24, 2
	v_and_b32_e32 v148, 0x3030303, v148
	v_and_b32_e32 v179, 0x4040404, v179
	v_sub_u16_e32 v180, v148, v179
	v_sub_u16_sdwa v181, v148, v179 dst_sel:BYTE_1 dst_unused:UNUSED_PAD src0_sel:BYTE_1 src1_sel:BYTE_1
	v_sub_u16_sdwa v148, v148, v179 dst_sel:DWORD dst_unused:UNUSED_PAD src0_sel:WORD_1 src1_sel:WORD_1
	v_sub_u16_sdwa v150, v150, v179 dst_sel:BYTE_1 dst_unused:UNUSED_PAD src0_sel:DWORD src1_sel:BYTE_3
	v_bitop3_b16 v180, v180, v181, s8 bitop3:0xec
	v_bitop3_b16 v148, v148, v150, s8 bitop3:0xec
	v_lshlrev_b32_e32 v148, 16, v148
	v_or_b32_sdwa v188, v180, v148 dst_sel:DWORD dst_unused:UNUSED_PAD src0_sel:WORD_0 src1_sel:DWORD
	ds_read2_b32 v[180:181], v154 offset0:6 offset1:7
	ds_read2_b32 v[182:183], v152 offset0:6 offset1:7
	;; [unrolled: 1-line block ×4, first 2 shown]
	v_add3_u32 v200, s22, v153, v91
	s_waitcnt lgkmcnt(3)
	v_ashrrev_i32_e32 v148, s20, v180
	s_waitcnt lgkmcnt(2)
	v_ashrrev_i32_e32 v152, s18, v182
	v_lshlrev_b32_e32 v152, 2, v152
	v_bfe_u32 v150, v148, 24, 2
	v_and_b32_e32 v148, 0x3030303, v148
	v_and_b32_e32 v152, 0x4040404, v152
	v_sub_u16_e32 v179, v148, v152
	v_sub_u16_sdwa v180, v148, v152 dst_sel:BYTE_1 dst_unused:UNUSED_PAD src0_sel:BYTE_1 src1_sel:BYTE_1
	v_sub_u16_sdwa v148, v148, v152 dst_sel:DWORD dst_unused:UNUSED_PAD src0_sel:WORD_1 src1_sel:WORD_1
	v_sub_u16_sdwa v150, v150, v152 dst_sel:BYTE_1 dst_unused:UNUSED_PAD src0_sel:DWORD src1_sel:BYTE_3
	v_bitop3_b16 v179, v179, v180, s8 bitop3:0xec
	v_bitop3_b16 v148, v148, v150, s8 bitop3:0xec
	v_lshlrev_b32_e32 v148, 16, v148
	v_ashrrev_i32_e32 v152, s18, v183
	v_or_b32_sdwa v189, v179, v148 dst_sel:DWORD dst_unused:UNUSED_PAD src0_sel:WORD_0 src1_sel:DWORD
	v_ashrrev_i32_e32 v148, s20, v181
	v_lshlrev_b32_e32 v152, 2, v152
	v_bfe_u32 v150, v148, 24, 2
	v_and_b32_e32 v148, 0x3030303, v148
	v_and_b32_e32 v152, 0x4040404, v152
	v_sub_u16_e32 v179, v148, v152
	v_sub_u16_sdwa v180, v148, v152 dst_sel:BYTE_1 dst_unused:UNUSED_PAD src0_sel:BYTE_1 src1_sel:BYTE_1
	v_sub_u16_sdwa v148, v148, v152 dst_sel:DWORD dst_unused:UNUSED_PAD src0_sel:WORD_1 src1_sel:WORD_1
	v_sub_u16_sdwa v150, v150, v152 dst_sel:BYTE_1 dst_unused:UNUSED_PAD src0_sel:DWORD src1_sel:BYTE_3
	v_bitop3_b16 v179, v179, v180, s8 bitop3:0xec
	v_bitop3_b16 v148, v148, v150, s8 bitop3:0xec
	v_lshlrev_b32_e32 v148, 16, v148
	v_or_b32_sdwa v190, v179, v148 dst_sel:DWORD dst_unused:UNUSED_PAD src0_sel:WORD_0 src1_sel:DWORD
	v_add3_u32 v148, s23, v175, v176
	v_add_u32_e32 v150, 0x1080, v154
	ds_read_b32 v148, v148
	ds_read2_b32 v[180:181], v150 offset1:1
	ds_read2_b32 v[182:183], v186 offset1:1
	ds_read2_b32 v[194:195], v186 offset0:6 offset1:7
	v_add3_u32 v206, s22, v162, v97
	v_mov_b32_e32 v208, 0
	s_waitcnt lgkmcnt(2)
	v_ashrrev_i32_e32 v150, s20, v180
	s_waitcnt lgkmcnt(1)
	v_ashrrev_i32_e32 v179, s18, v182
	v_lshlrev_b32_e32 v179, 2, v179
	v_bfe_u32 v152, v150, 24, 2
	v_and_b32_e32 v150, 0x3030303, v150
	v_and_b32_e32 v179, 0x4040404, v179
	v_sub_u16_e32 v180, v150, v179
	v_sub_u16_sdwa v182, v150, v179 dst_sel:BYTE_1 dst_unused:UNUSED_PAD src0_sel:BYTE_1 src1_sel:BYTE_1
	v_sub_u16_sdwa v150, v150, v179 dst_sel:DWORD dst_unused:UNUSED_PAD src0_sel:WORD_1 src1_sel:WORD_1
	v_sub_u16_sdwa v152, v152, v179 dst_sel:BYTE_1 dst_unused:UNUSED_PAD src0_sel:DWORD src1_sel:BYTE_3
	v_bitop3_b16 v180, v180, v182, s8 bitop3:0xec
	v_bitop3_b16 v150, v150, v152, s8 bitop3:0xec
	v_lshlrev_b32_e32 v150, 16, v150
	v_or_b32_sdwa v179, v180, v150 dst_sel:DWORD dst_unused:UNUSED_PAD src0_sel:WORD_0 src1_sel:DWORD
	v_ashrrev_i32_e32 v180, s18, v183
	v_ashrrev_i32_e32 v150, s20, v181
	v_lshlrev_b32_e32 v180, 2, v180
	v_bfe_u32 v152, v150, 24, 2
	v_and_b32_e32 v150, 0x3030303, v150
	v_and_b32_e32 v180, 0x4040404, v180
	v_sub_u16_e32 v181, v150, v180
	v_sub_u16_sdwa v182, v150, v180 dst_sel:BYTE_1 dst_unused:UNUSED_PAD src0_sel:BYTE_1 src1_sel:BYTE_1
	v_sub_u16_sdwa v150, v150, v180 dst_sel:DWORD dst_unused:UNUSED_PAD src0_sel:WORD_1 src1_sel:WORD_1
	v_sub_u16_sdwa v152, v152, v180 dst_sel:BYTE_1 dst_unused:UNUSED_PAD src0_sel:DWORD src1_sel:BYTE_3
	v_bitop3_b16 v181, v181, v182, s8 bitop3:0xec
	v_bitop3_b16 v150, v150, v152, s8 bitop3:0xec
	v_lshlrev_b32_e32 v150, 16, v150
	v_or_b32_sdwa v180, v181, v150 dst_sel:DWORD dst_unused:UNUSED_PAD src0_sel:WORD_0 src1_sel:DWORD
	v_add_u32_e32 v150, 0x1088, v154
	ds_read2_b32 v[182:183], v150 offset1:1
	v_ashrrev_i32_e32 v181, s18, v184
	v_lshlrev_b32_e32 v181, 2, v181
	v_and_b32_e32 v181, 0x4040404, v181
	v_mov_b32_e32 v209, 0
	s_waitcnt lgkmcnt(0)
	v_ashrrev_i32_e32 v150, s20, v182
	v_bfe_u32 v152, v150, 24, 2
	v_and_b32_e32 v150, 0x3030303, v150
	v_sub_u16_e32 v182, v150, v181
	v_sub_u16_sdwa v184, v150, v181 dst_sel:BYTE_1 dst_unused:UNUSED_PAD src0_sel:BYTE_1 src1_sel:BYTE_1
	v_sub_u16_sdwa v150, v150, v181 dst_sel:DWORD dst_unused:UNUSED_PAD src0_sel:WORD_1 src1_sel:WORD_1
	v_sub_u16_sdwa v152, v152, v181 dst_sel:BYTE_1 dst_unused:UNUSED_PAD src0_sel:DWORD src1_sel:BYTE_3
	v_bitop3_b16 v182, v182, v184, s8 bitop3:0xec
	v_bitop3_b16 v150, v150, v152, s8 bitop3:0xec
	v_lshlrev_b32_e32 v150, 16, v150
	v_or_b32_sdwa v181, v182, v150 dst_sel:DWORD dst_unused:UNUSED_PAD src0_sel:WORD_0 src1_sel:DWORD
	v_ashrrev_i32_e32 v182, s18, v185
	v_ashrrev_i32_e32 v150, s20, v183
	v_lshlrev_b32_e32 v182, 2, v182
	v_bfe_u32 v152, v150, 24, 2
	v_and_b32_e32 v150, 0x3030303, v150
	v_and_b32_e32 v182, 0x4040404, v182
	v_sub_u16_e32 v183, v150, v182
	v_sub_u16_sdwa v184, v150, v182 dst_sel:BYTE_1 dst_unused:UNUSED_PAD src0_sel:BYTE_1 src1_sel:BYTE_1
	v_sub_u16_sdwa v150, v150, v182 dst_sel:DWORD dst_unused:UNUSED_PAD src0_sel:WORD_1 src1_sel:WORD_1
	v_sub_u16_sdwa v152, v152, v182 dst_sel:BYTE_1 dst_unused:UNUSED_PAD src0_sel:DWORD src1_sel:BYTE_3
	v_bitop3_b16 v183, v183, v184, s8 bitop3:0xec
	v_bitop3_b16 v150, v150, v152, s8 bitop3:0xec
	v_lshlrev_b32_e32 v150, 16, v150
	v_or_b32_sdwa v182, v183, v150 dst_sel:DWORD dst_unused:UNUSED_PAD src0_sel:WORD_0 src1_sel:DWORD
	v_add_u32_e32 v150, 0x1090, v154
	ds_read2_b32 v[184:185], v150 offset1:1
	v_ashrrev_i32_e32 v183, s18, v192
	v_lshlrev_b32_e32 v183, 2, v183
	v_and_b32_e32 v183, 0x4040404, v183
	v_mov_b32_e32 v211, 0
	s_waitcnt lgkmcnt(0)
	v_ashrrev_i32_e32 v150, s20, v184
	v_bfe_u32 v152, v150, 24, 2
	;; [unrolled: 32-line block ×3, first 2 shown]
	v_and_b32_e32 v150, 0x3030303, v150
	v_sub_u16_e32 v186, v150, v185
	v_sub_u16_sdwa v191, v150, v185 dst_sel:BYTE_1 dst_unused:UNUSED_PAD src0_sel:BYTE_1 src1_sel:BYTE_1
	v_sub_u16_sdwa v150, v150, v185 dst_sel:DWORD dst_unused:UNUSED_PAD src0_sel:WORD_1 src1_sel:WORD_1
	v_sub_u16_sdwa v152, v152, v185 dst_sel:BYTE_1 dst_unused:UNUSED_PAD src0_sel:DWORD src1_sel:BYTE_3
	v_bitop3_b16 v186, v186, v191, s8 bitop3:0xec
	v_bitop3_b16 v150, v150, v152, s8 bitop3:0xec
	v_lshlrev_b32_e32 v150, 16, v150
	v_or_b32_sdwa v185, v186, v150 dst_sel:DWORD dst_unused:UNUSED_PAD src0_sel:WORD_0 src1_sel:DWORD
	v_ashrrev_i32_e32 v186, s18, v195
	v_ashrrev_i32_e32 v150, s20, v193
	v_lshlrev_b32_e32 v186, 2, v186
	v_bfe_u32 v152, v150, 24, 2
	v_and_b32_e32 v150, 0x3030303, v150
	v_and_b32_e32 v186, 0x4040404, v186
	v_sub_u16_e32 v191, v150, v186
	v_sub_u16_sdwa v192, v150, v186 dst_sel:BYTE_1 dst_unused:UNUSED_PAD src0_sel:BYTE_1 src1_sel:BYTE_1
	v_sub_u16_sdwa v150, v150, v186 dst_sel:DWORD dst_unused:UNUSED_PAD src0_sel:WORD_1 src1_sel:WORD_1
	v_sub_u16_sdwa v152, v152, v186 dst_sel:BYTE_1 dst_unused:UNUSED_PAD src0_sel:DWORD src1_sel:BYTE_3
	v_bitop3_b16 v191, v191, v192, s8 bitop3:0xec
	v_bitop3_b16 v150, v150, v152, s8 bitop3:0xec
	v_lshlrev_b32_e32 v150, 16, v150
	v_or_b32_sdwa v186, v191, v150 dst_sel:DWORD dst_unused:UNUSED_PAD src0_sel:WORD_0 src1_sel:DWORD
	v_add3_u32 v150, s23, v151, v87
	v_add_u32_e32 v152, 0x2100, v154
	ds_read_b32 v150, v150
	ds_read2_b32 v[192:193], v152 offset1:1
	ds_read2_b32 v[194:195], v200 offset1:1
	ds_read2_b32 v[220:221], v206 offset0:6 offset1:7
	v_mov_b32_e32 v217, 0
	v_mov_b32_e32 v218, 0
	s_waitcnt lgkmcnt(2)
	v_ashrrev_i32_e32 v152, s20, v192
	s_waitcnt lgkmcnt(1)
	v_ashrrev_i32_e32 v192, s18, v194
	v_lshlrev_b32_e32 v192, 2, v192
	v_bfe_u32 v191, v152, 24, 2
	v_and_b32_e32 v152, 0x3030303, v152
	v_and_b32_e32 v192, 0x4040404, v192
	v_sub_u16_e32 v194, v152, v192
	v_sub_u16_sdwa v196, v152, v192 dst_sel:BYTE_1 dst_unused:UNUSED_PAD src0_sel:BYTE_1 src1_sel:BYTE_1
	v_sub_u16_sdwa v152, v152, v192 dst_sel:DWORD dst_unused:UNUSED_PAD src0_sel:WORD_1 src1_sel:WORD_1
	v_sub_u16_sdwa v191, v191, v192 dst_sel:BYTE_1 dst_unused:UNUSED_PAD src0_sel:DWORD src1_sel:BYTE_3
	v_bitop3_b16 v194, v194, v196, s8 bitop3:0xec
	v_bitop3_b16 v152, v152, v191, s8 bitop3:0xec
	v_lshlrev_b32_e32 v152, 16, v152
	v_or_b32_sdwa v191, v194, v152 dst_sel:DWORD dst_unused:UNUSED_PAD src0_sel:WORD_0 src1_sel:DWORD
	v_ashrrev_i32_e32 v152, s20, v193
	v_ashrrev_i32_e32 v193, s18, v195
	v_lshlrev_b32_e32 v193, 2, v193
	v_bfe_u32 v192, v152, 24, 2
	v_and_b32_e32 v152, 0x3030303, v152
	v_and_b32_e32 v193, 0x4040404, v193
	v_sub_u16_e32 v194, v152, v193
	v_sub_u16_sdwa v195, v152, v193 dst_sel:BYTE_1 dst_unused:UNUSED_PAD src0_sel:BYTE_1 src1_sel:BYTE_1
	v_sub_u16_sdwa v152, v152, v193 dst_sel:DWORD dst_unused:UNUSED_PAD src0_sel:WORD_1 src1_sel:WORD_1
	v_sub_u16_sdwa v192, v192, v193 dst_sel:BYTE_1 dst_unused:UNUSED_PAD src0_sel:DWORD src1_sel:BYTE_3
	v_bitop3_b16 v194, v194, v195, s8 bitop3:0xec
	v_bitop3_b16 v152, v152, v192, s8 bitop3:0xec
	v_lshlrev_b32_e32 v152, 16, v152
	v_or_b32_sdwa v192, v194, v152 dst_sel:DWORD dst_unused:UNUSED_PAD src0_sel:WORD_0 src1_sel:DWORD
	v_add_u32_e32 v152, 0x2108, v154
	ds_read2_b32 v[194:195], v152 offset1:1
	ds_read2_b32 v[196:197], v200 offset0:2 offset1:3
	v_mov_b32_e32 v224, 0
	v_mov_b32_e32 v225, 0
	v_dot4c_i32_i8_e32 v208, v158, v4
	s_waitcnt lgkmcnt(1)
	v_ashrrev_i32_e32 v152, s20, v194
	s_waitcnt lgkmcnt(0)
	v_ashrrev_i32_e32 v194, s18, v196
	v_lshlrev_b32_e32 v194, 2, v194
	v_bfe_u32 v193, v152, 24, 2
	v_and_b32_e32 v152, 0x3030303, v152
	v_and_b32_e32 v194, 0x4040404, v194
	v_sub_u16_e32 v196, v152, v194
	v_sub_u16_sdwa v198, v152, v194 dst_sel:BYTE_1 dst_unused:UNUSED_PAD src0_sel:BYTE_1 src1_sel:BYTE_1
	v_sub_u16_sdwa v152, v152, v194 dst_sel:DWORD dst_unused:UNUSED_PAD src0_sel:WORD_1 src1_sel:WORD_1
	v_sub_u16_sdwa v193, v193, v194 dst_sel:BYTE_1 dst_unused:UNUSED_PAD src0_sel:DWORD src1_sel:BYTE_3
	v_bitop3_b16 v196, v196, v198, s8 bitop3:0xec
	v_bitop3_b16 v152, v152, v193, s8 bitop3:0xec
	v_lshlrev_b32_e32 v152, 16, v152
	v_or_b32_sdwa v193, v196, v152 dst_sel:DWORD dst_unused:UNUSED_PAD src0_sel:WORD_0 src1_sel:DWORD
	v_ashrrev_i32_e32 v152, s20, v195
	v_ashrrev_i32_e32 v195, s18, v197
	v_lshlrev_b32_e32 v195, 2, v195
	v_bfe_u32 v194, v152, 24, 2
	v_and_b32_e32 v152, 0x3030303, v152
	v_and_b32_e32 v195, 0x4040404, v195
	v_sub_u16_e32 v196, v152, v195
	v_sub_u16_sdwa v197, v152, v195 dst_sel:BYTE_1 dst_unused:UNUSED_PAD src0_sel:BYTE_1 src1_sel:BYTE_1
	v_sub_u16_sdwa v152, v152, v195 dst_sel:DWORD dst_unused:UNUSED_PAD src0_sel:WORD_1 src1_sel:WORD_1
	v_sub_u16_sdwa v194, v194, v195 dst_sel:BYTE_1 dst_unused:UNUSED_PAD src0_sel:DWORD src1_sel:BYTE_3
	v_bitop3_b16 v196, v196, v197, s8 bitop3:0xec
	v_bitop3_b16 v152, v152, v194, s8 bitop3:0xec
	v_lshlrev_b32_e32 v152, 16, v152
	v_or_b32_sdwa v194, v196, v152 dst_sel:DWORD dst_unused:UNUSED_PAD src0_sel:WORD_0 src1_sel:DWORD
	v_add_u32_e32 v152, 0x2110, v154
	ds_read2_b32 v[196:197], v152 offset1:1
	ds_read2_b32 v[198:199], v200 offset0:4 offset1:5
	v_dot4c_i32_i8_e32 v209, v187, v0
	v_dot4c_i32_i8_e32 v211, v179, v4
	;; [unrolled: 1-line block ×3, first 2 shown]
	s_waitcnt lgkmcnt(1)
	v_ashrrev_i32_e32 v152, s20, v196
	s_waitcnt lgkmcnt(0)
	v_ashrrev_i32_e32 v196, s18, v198
	v_lshlrev_b32_e32 v196, 2, v196
	v_bfe_u32 v195, v152, 24, 2
	v_and_b32_e32 v152, 0x3030303, v152
	v_and_b32_e32 v196, 0x4040404, v196
	v_sub_u16_e32 v198, v152, v196
	v_sub_u16_sdwa v201, v152, v196 dst_sel:BYTE_1 dst_unused:UNUSED_PAD src0_sel:BYTE_1 src1_sel:BYTE_1
	v_sub_u16_sdwa v152, v152, v196 dst_sel:DWORD dst_unused:UNUSED_PAD src0_sel:WORD_1 src1_sel:WORD_1
	v_sub_u16_sdwa v195, v195, v196 dst_sel:BYTE_1 dst_unused:UNUSED_PAD src0_sel:DWORD src1_sel:BYTE_3
	v_bitop3_b16 v198, v198, v201, s8 bitop3:0xec
	v_bitop3_b16 v152, v152, v195, s8 bitop3:0xec
	v_lshlrev_b32_e32 v152, 16, v152
	v_or_b32_sdwa v195, v198, v152 dst_sel:DWORD dst_unused:UNUSED_PAD src0_sel:WORD_0 src1_sel:DWORD
	v_ashrrev_i32_e32 v152, s20, v197
	v_ashrrev_i32_e32 v197, s18, v199
	v_lshlrev_b32_e32 v197, 2, v197
	v_bfe_u32 v196, v152, 24, 2
	v_and_b32_e32 v152, 0x3030303, v152
	v_and_b32_e32 v197, 0x4040404, v197
	v_sub_u16_e32 v198, v152, v197
	v_sub_u16_sdwa v199, v152, v197 dst_sel:BYTE_1 dst_unused:UNUSED_PAD src0_sel:BYTE_1 src1_sel:BYTE_1
	v_sub_u16_sdwa v152, v152, v197 dst_sel:DWORD dst_unused:UNUSED_PAD src0_sel:WORD_1 src1_sel:WORD_1
	v_sub_u16_sdwa v196, v196, v197 dst_sel:BYTE_1 dst_unused:UNUSED_PAD src0_sel:DWORD src1_sel:BYTE_3
	v_bitop3_b16 v198, v198, v199, s8 bitop3:0xec
	v_bitop3_b16 v152, v152, v196, s8 bitop3:0xec
	v_lshlrev_b32_e32 v152, 16, v152
	v_or_b32_sdwa v196, v198, v152 dst_sel:DWORD dst_unused:UNUSED_PAD src0_sel:WORD_0 src1_sel:DWORD
	v_add_u32_e32 v152, 0x2118, v154
	ds_read2_b32 v[198:199], v152 offset1:1
	ds_read2_b32 v[200:201], v200 offset0:6 offset1:7
	v_dot4c_i32_i8_e32 v217, v191, v4
	v_dot4c_i32_i8_e32 v218, v195, v0
	;; [unrolled: 1-line block ×3, first 2 shown]
	s_waitcnt lgkmcnt(1)
	v_ashrrev_i32_e32 v152, s20, v198
	s_waitcnt lgkmcnt(0)
	v_ashrrev_i32_e32 v198, s18, v200
	v_lshlrev_b32_e32 v198, 2, v198
	v_bfe_u32 v197, v152, 24, 2
	v_and_b32_e32 v152, 0x3030303, v152
	v_and_b32_e32 v198, 0x4040404, v198
	v_sub_u16_e32 v200, v152, v198
	v_sub_u16_sdwa v202, v152, v198 dst_sel:BYTE_1 dst_unused:UNUSED_PAD src0_sel:BYTE_1 src1_sel:BYTE_1
	v_sub_u16_sdwa v152, v152, v198 dst_sel:DWORD dst_unused:UNUSED_PAD src0_sel:WORD_1 src1_sel:WORD_1
	v_sub_u16_sdwa v197, v197, v198 dst_sel:BYTE_1 dst_unused:UNUSED_PAD src0_sel:DWORD src1_sel:BYTE_3
	v_bitop3_b16 v200, v200, v202, s8 bitop3:0xec
	v_bitop3_b16 v152, v152, v197, s8 bitop3:0xec
	v_lshlrev_b32_e32 v152, 16, v152
	v_or_b32_sdwa v197, v200, v152 dst_sel:DWORD dst_unused:UNUSED_PAD src0_sel:WORD_0 src1_sel:DWORD
	v_ashrrev_i32_e32 v152, s20, v199
	v_ashrrev_i32_e32 v199, s18, v201
	v_lshlrev_b32_e32 v199, 2, v199
	v_bfe_u32 v198, v152, 24, 2
	v_and_b32_e32 v152, 0x3030303, v152
	v_and_b32_e32 v199, 0x4040404, v199
	v_sub_u16_e32 v200, v152, v199
	v_sub_u16_sdwa v201, v152, v199 dst_sel:BYTE_1 dst_unused:UNUSED_PAD src0_sel:BYTE_1 src1_sel:BYTE_1
	v_sub_u16_sdwa v152, v152, v199 dst_sel:DWORD dst_unused:UNUSED_PAD src0_sel:WORD_1 src1_sel:WORD_1
	v_sub_u16_sdwa v198, v198, v199 dst_sel:BYTE_1 dst_unused:UNUSED_PAD src0_sel:DWORD src1_sel:BYTE_3
	v_bitop3_b16 v200, v200, v201, s8 bitop3:0xec
	v_bitop3_b16 v152, v152, v198, s8 bitop3:0xec
	v_lshlrev_b32_e32 v152, 16, v152
	v_add_u32_e32 v199, 0x3180, v154
	v_or_b32_sdwa v198, v200, v152 dst_sel:DWORD dst_unused:UNUSED_PAD src0_sel:WORD_0 src1_sel:DWORD
	ds_read2_b32 v[200:201], v199 offset1:1
	ds_read2_b32 v[202:203], v206 offset1:1
	v_add3_u32 v152, s23, v155, v93
	ds_read_b32 v152, v152
	v_dot4c_i32_i8_e32 v209, v188, v1
	s_waitcnt lgkmcnt(2)
	v_ashrrev_i32_e32 v199, s20, v200
	s_waitcnt lgkmcnt(1)
	v_ashrrev_i32_e32 v202, s18, v202
	v_lshlrev_b32_e32 v202, 2, v202
	v_bfe_u32 v200, v199, 24, 2
	v_and_b32_e32 v199, 0x3030303, v199
	v_and_b32_e32 v202, 0x4040404, v202
	v_sub_u16_e32 v204, v199, v202
	v_sub_u16_sdwa v205, v199, v202 dst_sel:BYTE_1 dst_unused:UNUSED_PAD src0_sel:BYTE_1 src1_sel:BYTE_1
	v_sub_u16_sdwa v199, v199, v202 dst_sel:DWORD dst_unused:UNUSED_PAD src0_sel:WORD_1 src1_sel:WORD_1
	v_sub_u16_sdwa v200, v200, v202 dst_sel:BYTE_1 dst_unused:UNUSED_PAD src0_sel:DWORD src1_sel:BYTE_3
	v_ashrrev_i32_e32 v202, s18, v203
	v_bitop3_b16 v199, v199, v200, s8 bitop3:0xec
	v_ashrrev_i32_e32 v200, s20, v201
	v_lshlrev_b32_e32 v202, 2, v202
	v_bitop3_b16 v204, v204, v205, s8 bitop3:0xec
	v_lshlrev_b32_e32 v199, 16, v199
	v_bfe_u32 v201, v200, 24, 2
	v_and_b32_e32 v200, 0x3030303, v200
	v_and_b32_e32 v202, 0x4040404, v202
	v_or_b32_sdwa v199, v204, v199 dst_sel:DWORD dst_unused:UNUSED_PAD src0_sel:WORD_0 src1_sel:DWORD
	v_sub_u16_e32 v203, v200, v202
	v_sub_u16_sdwa v204, v200, v202 dst_sel:BYTE_1 dst_unused:UNUSED_PAD src0_sel:BYTE_1 src1_sel:BYTE_1
	v_sub_u16_sdwa v200, v200, v202 dst_sel:DWORD dst_unused:UNUSED_PAD src0_sel:WORD_1 src1_sel:WORD_1
	v_sub_u16_sdwa v201, v201, v202 dst_sel:BYTE_1 dst_unused:UNUSED_PAD src0_sel:DWORD src1_sel:BYTE_3
	v_bitop3_b16 v203, v203, v204, s8 bitop3:0xec
	v_bitop3_b16 v200, v200, v201, s8 bitop3:0xec
	v_lshlrev_b32_e32 v200, 16, v200
	v_add_u32_e32 v201, 0x3188, v154
	v_or_b32_sdwa v200, v203, v200 dst_sel:DWORD dst_unused:UNUSED_PAD src0_sel:WORD_0 src1_sel:DWORD
	ds_read2_b32 v[202:203], v201 offset1:1
	ds_read2_b32 v[204:205], v206 offset0:2 offset1:3
	v_dot4c_i32_i8_e32 v224, v199, v4
	v_dot4c_i32_i8_e32 v211, v180, v5
	;; [unrolled: 1-line block ×3, first 2 shown]
	s_waitcnt lgkmcnt(1)
	v_ashrrev_i32_e32 v201, s20, v202
	s_waitcnt lgkmcnt(0)
	v_ashrrev_i32_e32 v204, s18, v204
	v_lshlrev_b32_e32 v204, 2, v204
	v_bfe_u32 v202, v201, 24, 2
	v_and_b32_e32 v201, 0x3030303, v201
	v_and_b32_e32 v204, 0x4040404, v204
	v_sub_u16_e32 v212, v201, v204
	v_sub_u16_sdwa v213, v201, v204 dst_sel:BYTE_1 dst_unused:UNUSED_PAD src0_sel:BYTE_1 src1_sel:BYTE_1
	v_sub_u16_sdwa v201, v201, v204 dst_sel:DWORD dst_unused:UNUSED_PAD src0_sel:WORD_1 src1_sel:WORD_1
	v_sub_u16_sdwa v202, v202, v204 dst_sel:BYTE_1 dst_unused:UNUSED_PAD src0_sel:DWORD src1_sel:BYTE_3
	v_ashrrev_i32_e32 v204, s18, v205
	v_bitop3_b16 v201, v201, v202, s8 bitop3:0xec
	v_ashrrev_i32_e32 v202, s20, v203
	v_lshlrev_b32_e32 v204, 2, v204
	v_bitop3_b16 v212, v212, v213, s8 bitop3:0xec
	v_lshlrev_b32_e32 v201, 16, v201
	v_bfe_u32 v203, v202, 24, 2
	v_and_b32_e32 v202, 0x3030303, v202
	v_and_b32_e32 v204, 0x4040404, v204
	v_or_b32_sdwa v201, v212, v201 dst_sel:DWORD dst_unused:UNUSED_PAD src0_sel:WORD_0 src1_sel:DWORD
	v_sub_u16_e32 v205, v202, v204
	v_sub_u16_sdwa v212, v202, v204 dst_sel:BYTE_1 dst_unused:UNUSED_PAD src0_sel:BYTE_1 src1_sel:BYTE_1
	v_sub_u16_sdwa v202, v202, v204 dst_sel:DWORD dst_unused:UNUSED_PAD src0_sel:WORD_1 src1_sel:WORD_1
	v_sub_u16_sdwa v203, v203, v204 dst_sel:BYTE_1 dst_unused:UNUSED_PAD src0_sel:DWORD src1_sel:BYTE_3
	v_bitop3_b16 v205, v205, v212, s8 bitop3:0xec
	v_bitop3_b16 v202, v202, v203, s8 bitop3:0xec
	v_lshlrev_b32_e32 v202, 16, v202
	v_add_u32_e32 v203, 0x3190, v154
	v_or_b32_sdwa v202, v205, v202 dst_sel:DWORD dst_unused:UNUSED_PAD src0_sel:WORD_0 src1_sel:DWORD
	ds_read2_b32 v[204:205], v203 offset1:1
	ds_read2_b32 v[212:213], v206 offset0:4 offset1:5
	v_add_u32_e32 v154, 0x3198, v154
	v_ashrrev_i32_e32 v206, s18, v220
	v_lshlrev_b32_e32 v206, 2, v206
	s_waitcnt lgkmcnt(1)
	v_ashrrev_i32_e32 v203, s20, v204
	s_waitcnt lgkmcnt(0)
	v_ashrrev_i32_e32 v212, s18, v212
	v_lshlrev_b32_e32 v212, 2, v212
	v_bfe_u32 v204, v203, 24, 2
	v_and_b32_e32 v203, 0x3030303, v203
	v_and_b32_e32 v212, 0x4040404, v212
	v_sub_u16_e32 v214, v203, v212
	v_sub_u16_sdwa v219, v203, v212 dst_sel:BYTE_1 dst_unused:UNUSED_PAD src0_sel:BYTE_1 src1_sel:BYTE_1
	v_sub_u16_sdwa v203, v203, v212 dst_sel:DWORD dst_unused:UNUSED_PAD src0_sel:WORD_1 src1_sel:WORD_1
	v_sub_u16_sdwa v204, v204, v212 dst_sel:BYTE_1 dst_unused:UNUSED_PAD src0_sel:DWORD src1_sel:BYTE_3
	v_ashrrev_i32_e32 v212, s18, v213
	v_bitop3_b16 v203, v203, v204, s8 bitop3:0xec
	v_ashrrev_i32_e32 v204, s20, v205
	v_lshlrev_b32_e32 v212, 2, v212
	v_bitop3_b16 v214, v214, v219, s8 bitop3:0xec
	v_lshlrev_b32_e32 v203, 16, v203
	v_bfe_u32 v205, v204, 24, 2
	v_and_b32_e32 v204, 0x3030303, v204
	v_and_b32_e32 v212, 0x4040404, v212
	v_or_b32_sdwa v203, v214, v203 dst_sel:DWORD dst_unused:UNUSED_PAD src0_sel:WORD_0 src1_sel:DWORD
	v_sub_u16_e32 v213, v204, v212
	v_sub_u16_sdwa v214, v204, v212 dst_sel:BYTE_1 dst_unused:UNUSED_PAD src0_sel:BYTE_1 src1_sel:BYTE_1
	v_sub_u16_sdwa v204, v204, v212 dst_sel:DWORD dst_unused:UNUSED_PAD src0_sel:WORD_1 src1_sel:WORD_1
	v_sub_u16_sdwa v205, v205, v212 dst_sel:BYTE_1 dst_unused:UNUSED_PAD src0_sel:DWORD src1_sel:BYTE_3
	v_bitop3_b16 v213, v213, v214, s8 bitop3:0xec
	v_bitop3_b16 v204, v204, v205, s8 bitop3:0xec
	v_lshlrev_b32_e32 v204, 16, v204
	v_or_b32_sdwa v204, v213, v204 dst_sel:DWORD dst_unused:UNUSED_PAD src0_sel:WORD_0 src1_sel:DWORD
	ds_read2_b32 v[212:213], v154 offset1:1
	v_and_b32_e32 v206, 0x4040404, v206
	v_dot4c_i32_i8_e32 v225, v203, v0
	v_dot4c_i32_i8_e32 v217, v192, v5
	;; [unrolled: 1-line block ×3, first 2 shown]
	s_waitcnt lgkmcnt(0)
	v_ashrrev_i32_e32 v154, s20, v212
	v_bfe_u32 v205, v154, 24, 2
	v_and_b32_e32 v154, 0x3030303, v154
	v_sub_u16_e32 v212, v154, v206
	v_sub_u16_sdwa v214, v154, v206 dst_sel:BYTE_1 dst_unused:UNUSED_PAD src0_sel:BYTE_1 src1_sel:BYTE_1
	v_sub_u16_sdwa v154, v154, v206 dst_sel:DWORD dst_unused:UNUSED_PAD src0_sel:WORD_1 src1_sel:WORD_1
	v_sub_u16_sdwa v205, v205, v206 dst_sel:BYTE_1 dst_unused:UNUSED_PAD src0_sel:DWORD src1_sel:BYTE_3
	v_bitop3_b16 v212, v212, v214, s8 bitop3:0xec
	v_bitop3_b16 v154, v154, v205, s8 bitop3:0xec
	v_lshlrev_b32_e32 v154, 16, v154
	v_or_b32_sdwa v205, v212, v154 dst_sel:DWORD dst_unused:UNUSED_PAD src0_sel:WORD_0 src1_sel:DWORD
	v_ashrrev_i32_e32 v212, s18, v221
	v_ashrrev_i32_e32 v154, s20, v213
	v_lshlrev_b32_e32 v212, 2, v212
	v_bfe_u32 v206, v154, 24, 2
	v_and_b32_e32 v154, 0x3030303, v154
	v_and_b32_e32 v212, 0x4040404, v212
	v_sub_u16_e32 v213, v154, v212
	v_sub_u16_sdwa v214, v154, v212 dst_sel:BYTE_1 dst_unused:UNUSED_PAD src0_sel:BYTE_1 src1_sel:BYTE_1
	v_sub_u16_sdwa v154, v154, v212 dst_sel:DWORD dst_unused:UNUSED_PAD src0_sel:WORD_1 src1_sel:WORD_1
	v_sub_u16_sdwa v206, v206, v212 dst_sel:BYTE_1 dst_unused:UNUSED_PAD src0_sel:DWORD src1_sel:BYTE_3
	v_bitop3_b16 v213, v213, v214, s8 bitop3:0xec
	v_bitop3_b16 v154, v154, v206, s8 bitop3:0xec
	v_lshlrev_b32_e32 v154, 16, v154
	v_dot4c_i32_i8_e32 v224, v200, v5
	v_dot4c_i32_i8_e32 v225, v204, v1
	;; [unrolled: 1-line block ×8, first 2 shown]
	v_or_b32_sdwa v206, v213, v154 dst_sel:DWORD dst_unused:UNUSED_PAD src0_sel:WORD_0 src1_sel:DWORD
	v_add3_u32 v154, s23, v163, v99
	v_dot4c_i32_i8_e32 v224, v201, v6
	v_dot4c_i32_i8_e32 v225, v205, v2
	v_add_u32_e32 v207, s21, v23
	v_dot4c_i32_i8_e32 v208, v161, v7
	v_dot4c_i32_i8_e32 v209, v190, v3
	;; [unrolled: 1-line block ×6, first 2 shown]
	ds_read_b32 v154, v154
	v_dot4c_i32_i8_e32 v224, v202, v7
	v_dot4c_i32_i8_e32 v225, v206, v3
	ds_read_b128 v[0:3], v177 offset:1024
	ds_read_b128 v[4:7], v177 offset:1040
	ds_read_u16 v207, v207 offset:33522
	v_mov_b32_e32 v212, 0
	v_mov_b32_e32 v221, 0
	s_waitcnt lgkmcnt(2)
	v_dot4c_i32_i8_e32 v212, v158, v0
	v_dot4c_i32_i8_e32 v212, v159, v1
	s_waitcnt lgkmcnt(1)
	v_dot4c_i32_i8_e32 v221, v187, v4
	v_dot4c_i32_i8_e32 v212, v160, v2
	;; [unrolled: 1-line block ×3, first 2 shown]
	s_waitcnt lgkmcnt(0)
	v_lshrrev_b16_e32 v213, 8, v207
	v_dot4c_i32_i8_e32 v212, v161, v3
	v_dot4c_i32_i8_e32 v221, v189, v6
	v_bfe_i32 v213, v213, 0, 8
	v_bfe_i32 v214, v207, 0, 8
	v_dot4c_i32_i8_e32 v221, v190, v7
	v_mul_lo_u32 v212, v212, v214
	v_mul_lo_u32 v220, v209, v213
	v_add_u32_e32 v210, s21, v25
	v_add_u32_e32 v216, s21, v27
	;; [unrolled: 1-line block ×3, first 2 shown]
	v_mad_u64_u32 v[208:209], s[20:21], v208, v214, v[220:221]
	v_mad_u64_u32 v[220:221], s[20:21], v221, v213, v[212:213]
	v_cvt_f32_i32_e32 v209, v220
	v_cvt_f32_i32_e32 v208, v208
	v_pk_mul_f32 v[222:223], v[148:149], v[156:157] op_sel_hi:[0,1]
	v_mov_b32_e32 v207, 0
	v_dot4c_i32_i8_e32 v207, v179, v0
	v_pk_fma_f32 v[54:55], v[222:223], v[208:209], v[54:55]
	ds_read_u16 v208, v210 offset:34546
	v_mov_b32_e32 v209, 0
	v_dot4c_i32_i8_e32 v207, v180, v1
	v_dot4c_i32_i8_e32 v209, v183, v4
	;; [unrolled: 1-line block ×4, first 2 shown]
	s_waitcnt lgkmcnt(0)
	v_lshrrev_b16_e32 v210, 8, v208
	v_dot4c_i32_i8_e32 v207, v182, v3
	v_dot4c_i32_i8_e32 v209, v185, v6
	v_bfe_i32 v210, v210, 0, 8
	v_bfe_i32 v212, v208, 0, 8
	v_dot4c_i32_i8_e32 v209, v186, v7
	v_mul_lo_u32 v208, v207, v212
	v_mul_lo_u32 v220, v215, v210
	v_mad_u64_u32 v[220:221], s[20:21], v211, v212, v[220:221]
	v_mad_u64_u32 v[208:209], s[20:21], v209, v210, v[208:209]
	v_cvt_f32_i32_e32 v209, v208
	v_cvt_f32_i32_e32 v208, v220
	v_pk_mul_f32 v[222:223], v[150:151], v[156:157] op_sel_hi:[0,1]
	v_mov_b32_e32 v207, 0
	v_dot4c_i32_i8_e32 v207, v191, v0
	v_pk_fma_f32 v[136:137], v[222:223], v[208:209], v[136:137]
	ds_read_u16 v208, v216 offset:35570
	v_mov_b32_e32 v215, 0
	v_dot4c_i32_i8_e32 v207, v192, v1
	v_dot4c_i32_i8_e32 v215, v195, v4
	;; [unrolled: 1-line block ×6, first 2 shown]
	s_waitcnt lgkmcnt(0)
	v_lshrrev_b16_e32 v209, 8, v208
	v_bfe_i32 v211, v208, 0, 8
	v_dot4c_i32_i8_e32 v215, v198, v7
	v_bfe_i32 v209, v209, 0, 8
	v_mul_lo_u32 v208, v207, v211
	v_mul_lo_u32 v216, v218, v209
	v_mad_u64_u32 v[220:221], s[20:21], v215, v209, v[208:209]
	v_mov_b32_e32 v215, 0
	v_dot4c_i32_i8_e32 v215, v199, v0
	ds_read_u16 v0, v219 offset:36594
	v_dot4c_i32_i8_e32 v215, v200, v1
	v_mov_b32_e32 v1, 0
	v_dot4c_i32_i8_e32 v1, v203, v4
	v_dot4c_i32_i8_e32 v215, v201, v2
	;; [unrolled: 1-line block ×3, first 2 shown]
	s_waitcnt lgkmcnt(0)
	v_lshrrev_b16_e32 v2, 8, v0
	v_dot4c_i32_i8_e32 v215, v202, v3
	v_dot4c_i32_i8_e32 v1, v205, v6
	v_bfe_i32 v207, v2, 0, 8
	v_bfe_i32 v208, v0, 0, 8
	v_dot4c_i32_i8_e32 v1, v206, v7
	v_mul_lo_u32 v0, v215, v208
	v_mul_lo_u32 v2, v225, v207
                                        ; kill: def $vgpr3 killed $sgpr0 killed $exec
	v_mad_u64_u32 v[216:217], s[20:21], v217, v211, v[216:217]
	v_mad_u64_u32 v[2:3], s[20:21], v224, v208, v[2:3]
	;; [unrolled: 1-line block ×3, first 2 shown]
	v_cvt_f32_i32_e32 v1, v0
	v_cvt_f32_i32_e32 v0, v2
	v_pk_mul_f32 v[4:5], v[154:155], v[156:157] op_sel_hi:[0,1]
	v_pk_mul_f32 v[222:223], v[152:153], v[156:157] op_sel_hi:[0,1]
	v_cvt_f32_i32_e32 v217, v220
	v_cvt_f32_i32_e32 v216, v216
	v_pk_fma_f32 v[146:147], v[4:5], v[0:1], v[146:147]
	ds_read2_b32 v[156:157], v178 offset0:64 offset1:96
	ds_read_b128 v[0:3], v177 offset:2048
	ds_read_b128 v[4:7], v177 offset:2064
	v_mov_b32_e32 v215, 0
	v_pk_fma_f32 v[142:143], v[222:223], v[216:217], v[142:143]
	v_mov_b32_e32 v217, 0
	v_mov_b32_e32 v222, 0
	;; [unrolled: 1-line block ×7, first 2 shown]
	s_waitcnt lgkmcnt(1)
	v_dot4c_i32_i8_e32 v215, v158, v0
	s_waitcnt lgkmcnt(0)
	v_dot4c_i32_i8_e32 v217, v187, v4
	v_dot4c_i32_i8_e32 v222, v179, v0
	;; [unrolled: 1-line block ×31, first 2 shown]
	ds_read_b128 v[0:3], v177 offset:3072
	ds_read_b128 v[4:7], v177 offset:3088
	v_mov_b32_e32 v216, 0
	v_mov_b32_e32 v220, 0
	v_mul_lo_u32 v218, v217, v213
	s_waitcnt lgkmcnt(1)
	v_dot4c_i32_i8_e32 v216, v158, v0
	v_dot4c_i32_i8_e32 v216, v159, v1
	s_waitcnt lgkmcnt(0)
	v_dot4c_i32_i8_e32 v220, v187, v4
	v_dot4c_i32_i8_e32 v216, v160, v2
	;; [unrolled: 1-line block ×6, first 2 shown]
                                        ; kill: def $vgpr217 killed $sgpr0 killed $exec
	v_mad_u64_u32 v[218:219], s[20:21], v215, v214, v[218:219]
	v_mul_lo_u32 v216, v216, v214
	s_nop 0
	v_mad_u64_u32 v[216:217], s[20:21], v220, v213, v[216:217]
	v_cvt_f32_i32_e32 v217, v216
	v_cvt_f32_i32_e32 v216, v218
	v_pk_mul_f32 v[220:221], v[148:149], v[156:157] op_sel_hi:[0,1]
	v_mov_b32_e32 v215, 0
	v_dot4c_i32_i8_e32 v215, v179, v0
	v_pk_fma_f32 v[120:121], v[220:221], v[216:217], v[120:121]
	v_mov_b32_e32 v217, 0
	v_dot4c_i32_i8_e32 v215, v180, v1
	v_dot4c_i32_i8_e32 v217, v183, v4
	;; [unrolled: 1-line block ×7, first 2 shown]
	v_mul_lo_u32 v218, v223, v210
	v_mul_lo_u32 v216, v215, v212
	v_mad_u64_u32 v[218:219], s[20:21], v222, v212, v[218:219]
	v_mad_u64_u32 v[216:217], s[20:21], v217, v210, v[216:217]
	v_mov_b32_e32 v215, 0
	v_cvt_f32_i32_e32 v217, v216
	v_cvt_f32_i32_e32 v216, v218
	v_dot4c_i32_i8_e32 v215, v191, v0
	v_dot4c_i32_i8_e32 v215, v192, v1
	;; [unrolled: 1-line block ×3, first 2 shown]
	v_pk_mul_f32 v[220:221], v[150:151], v[156:157] op_sel_hi:[0,1]
	v_dot4c_i32_i8_e32 v215, v194, v3
	v_pk_fma_f32 v[130:131], v[220:221], v[216:217], v[130:131]
	v_mov_b32_e32 v217, 0
	v_dot4c_i32_i8_e32 v217, v195, v4
	v_mul_lo_u32 v216, v215, v211
	v_mov_b32_e32 v215, 0
	v_dot4c_i32_i8_e32 v215, v199, v0
	v_dot4c_i32_i8_e32 v215, v200, v1
	v_mov_b32_e32 v1, 0
	v_dot4c_i32_i8_e32 v1, v203, v4
	v_dot4c_i32_i8_e32 v215, v201, v2
	;; [unrolled: 1-line block ×6, first 2 shown]
	v_mul_lo_u32 v2, v227, v207
	v_mul_lo_u32 v0, v215, v208
                                        ; kill: def $vgpr3 killed $sgpr0 killed $exec
	v_dot4c_i32_i8_e32 v217, v196, v5
	v_mad_u64_u32 v[2:3], s[20:21], v226, v208, v[2:3]
	v_mad_u64_u32 v[0:1], s[20:21], v1, v207, v[0:1]
	v_cvt_f32_i32_e32 v1, v0
	v_cvt_f32_i32_e32 v0, v2
	v_dot4c_i32_i8_e32 v217, v197, v6
	v_dot4c_i32_i8_e32 v217, v198, v7
	v_mul_lo_u32 v218, v225, v209
	v_mad_u64_u32 v[218:219], s[20:21], v224, v211, v[218:219]
	s_nop 0
	v_mad_u64_u32 v[216:217], s[20:21], v217, v209, v[216:217]
	v_pk_mul_f32 v[4:5], v[154:155], v[156:157] op_sel_hi:[0,1]
	v_pk_mul_f32 v[220:221], v[152:153], v[156:157] op_sel_hi:[0,1]
	v_cvt_f32_i32_e32 v217, v216
	v_cvt_f32_i32_e32 v216, v218
	v_pk_fma_f32 v[144:145], v[4:5], v[0:1], v[144:145]
	ds_read2_b32 v[156:157], v178 offset0:128 offset1:160
	ds_read_b128 v[0:3], v177 offset:4096
	ds_read_b128 v[4:7], v177 offset:4112
	v_mov_b32_e32 v215, 0
	v_pk_fma_f32 v[138:139], v[220:221], v[216:217], v[138:139]
	v_mov_b32_e32 v217, 0
	v_mov_b32_e32 v222, 0
	;; [unrolled: 1-line block ×7, first 2 shown]
	s_waitcnt lgkmcnt(1)
	v_dot4c_i32_i8_e32 v215, v158, v0
	s_waitcnt lgkmcnt(0)
	v_dot4c_i32_i8_e32 v217, v187, v4
	v_dot4c_i32_i8_e32 v222, v179, v0
	;; [unrolled: 1-line block ×31, first 2 shown]
	ds_read_b128 v[0:3], v177 offset:5120
	ds_read_b128 v[4:7], v177 offset:5136
	v_mov_b32_e32 v216, 0
	v_mov_b32_e32 v220, 0
	v_mul_lo_u32 v218, v217, v213
	s_waitcnt lgkmcnt(1)
	v_dot4c_i32_i8_e32 v216, v158, v0
	v_dot4c_i32_i8_e32 v216, v159, v1
	s_waitcnt lgkmcnt(0)
	v_dot4c_i32_i8_e32 v220, v187, v4
	v_dot4c_i32_i8_e32 v216, v160, v2
	;; [unrolled: 1-line block ×6, first 2 shown]
                                        ; kill: def $vgpr217 killed $sgpr0 killed $exec
	v_mad_u64_u32 v[218:219], s[20:21], v215, v214, v[218:219]
	v_mul_lo_u32 v216, v216, v214
	s_nop 0
	v_mad_u64_u32 v[216:217], s[20:21], v220, v213, v[216:217]
	v_cvt_f32_i32_e32 v217, v216
	v_cvt_f32_i32_e32 v216, v218
	v_pk_mul_f32 v[220:221], v[148:149], v[156:157] op_sel_hi:[0,1]
	v_mov_b32_e32 v215, 0
	v_dot4c_i32_i8_e32 v215, v179, v0
	v_pk_fma_f32 v[116:117], v[220:221], v[216:217], v[116:117]
	v_mov_b32_e32 v217, 0
	v_dot4c_i32_i8_e32 v215, v180, v1
	v_dot4c_i32_i8_e32 v217, v183, v4
	v_dot4c_i32_i8_e32 v215, v181, v2
	v_dot4c_i32_i8_e32 v217, v184, v5
	v_dot4c_i32_i8_e32 v215, v182, v3
	v_dot4c_i32_i8_e32 v217, v185, v6
	v_dot4c_i32_i8_e32 v217, v186, v7
	v_mul_lo_u32 v218, v223, v210
	v_mul_lo_u32 v216, v215, v212
	v_mad_u64_u32 v[218:219], s[20:21], v222, v212, v[218:219]
	v_mad_u64_u32 v[216:217], s[20:21], v217, v210, v[216:217]
	v_mov_b32_e32 v215, 0
	v_cvt_f32_i32_e32 v217, v216
	v_cvt_f32_i32_e32 v216, v218
	v_dot4c_i32_i8_e32 v215, v191, v0
	v_dot4c_i32_i8_e32 v215, v192, v1
	;; [unrolled: 1-line block ×3, first 2 shown]
	v_pk_mul_f32 v[220:221], v[150:151], v[156:157] op_sel_hi:[0,1]
	v_dot4c_i32_i8_e32 v215, v194, v3
	v_pk_fma_f32 v[122:123], v[220:221], v[216:217], v[122:123]
	v_mov_b32_e32 v217, 0
	v_dot4c_i32_i8_e32 v217, v195, v4
	v_mul_lo_u32 v216, v215, v211
	v_mov_b32_e32 v215, 0
	v_dot4c_i32_i8_e32 v215, v199, v0
	v_dot4c_i32_i8_e32 v215, v200, v1
	v_mov_b32_e32 v1, 0
	v_dot4c_i32_i8_e32 v1, v203, v4
	v_dot4c_i32_i8_e32 v215, v201, v2
	;; [unrolled: 1-line block ×6, first 2 shown]
	v_mul_lo_u32 v2, v227, v207
	v_mul_lo_u32 v0, v215, v208
                                        ; kill: def $vgpr3 killed $sgpr0 killed $exec
	v_dot4c_i32_i8_e32 v217, v196, v5
	v_mad_u64_u32 v[2:3], s[20:21], v226, v208, v[2:3]
	v_mad_u64_u32 v[0:1], s[20:21], v1, v207, v[0:1]
	v_cvt_f32_i32_e32 v1, v0
	v_cvt_f32_i32_e32 v0, v2
	v_dot4c_i32_i8_e32 v217, v197, v6
	v_dot4c_i32_i8_e32 v217, v198, v7
	v_mul_lo_u32 v218, v225, v209
	v_mad_u64_u32 v[218:219], s[20:21], v224, v211, v[218:219]
	s_nop 0
	v_mad_u64_u32 v[216:217], s[20:21], v217, v209, v[216:217]
	v_pk_mul_f32 v[4:5], v[154:155], v[156:157] op_sel_hi:[0,1]
	v_pk_mul_f32 v[220:221], v[152:153], v[156:157] op_sel_hi:[0,1]
	v_cvt_f32_i32_e32 v217, v216
	v_cvt_f32_i32_e32 v216, v218
	v_pk_fma_f32 v[140:141], v[4:5], v[0:1], v[140:141]
	ds_read2_b32 v[156:157], v178 offset0:192 offset1:224
	ds_read_b128 v[0:3], v177 offset:6144
	ds_read_b128 v[4:7], v177 offset:6160
	v_mov_b32_e32 v222, 0
	v_pk_fma_f32 v[132:133], v[220:221], v[216:217], v[132:133]
	v_mov_b32_e32 v221, 0
	v_mov_b32_e32 v219, 0
	;; [unrolled: 1-line block ×7, first 2 shown]
	s_waitcnt lgkmcnt(1)
	v_dot4c_i32_i8_e32 v221, v158, v0
	s_waitcnt lgkmcnt(0)
	v_dot4c_i32_i8_e32 v222, v187, v4
	v_dot4c_i32_i8_e32 v219, v179, v0
	;; [unrolled: 1-line block ×31, first 2 shown]
	ds_read_b128 v[4:7], v177 offset:7168
	ds_read_b128 v[0:3], v177 offset:7184
	v_mov_b32_e32 v223, 0
	s_add_i32 s17, s17, 2
	s_add_i32 s18, s18, 1
	s_waitcnt lgkmcnt(1)
	v_dot4c_i32_i8_e32 v223, v158, v4
	v_dot4c_i32_i8_e32 v223, v159, v5
	;; [unrolled: 1-line block ×4, first 2 shown]
	v_mov_b32_e32 v161, 0
	s_waitcnt lgkmcnt(0)
	v_dot4c_i32_i8_e32 v161, v187, v0
	v_dot4c_i32_i8_e32 v161, v188, v1
	;; [unrolled: 1-line block ×4, first 2 shown]
	v_mul_lo_u32 v160, v223, v214
	v_mul_lo_u32 v158, v222, v213
                                        ; kill: def $vgpr159 killed $sgpr0 killed $exec
	v_pk_mul_f32 v[188:189], v[148:149], v[156:157] op_sel_hi:[0,1]
	v_mad_u64_u32 v[158:159], s[20:21], v221, v214, v[158:159]
	v_mad_u64_u32 v[160:161], s[20:21], v161, v213, v[160:161]
	v_mov_b32_e32 v148, 0
	v_cvt_f32_i32_e32 v159, v160
	v_cvt_f32_i32_e32 v158, v158
	v_dot4c_i32_i8_e32 v148, v179, v4
	v_mov_b32_e32 v160, 0
	v_dot4c_i32_i8_e32 v148, v180, v5
	v_dot4c_i32_i8_e32 v160, v183, v0
	;; [unrolled: 1-line block ×6, first 2 shown]
	v_pk_fma_f32 v[114:115], v[188:189], v[158:159], v[114:115]
	v_dot4c_i32_i8_e32 v160, v186, v3
	v_mul_lo_u32 v148, v148, v212
	v_mul_lo_u32 v158, v220, v210
                                        ; kill: def $vgpr159 killed $sgpr0 killed $exec
	v_pk_mul_f32 v[180:181], v[150:151], v[156:157] op_sel_hi:[0,1]
	v_mad_u64_u32 v[158:159], s[20:21], v219, v212, v[158:159]
	v_mad_u64_u32 v[160:161], s[20:21], v160, v210, v[148:149]
	v_mov_b32_e32 v148, 0
	v_cvt_f32_i32_e32 v159, v160
	v_dot4c_i32_i8_e32 v148, v191, v4
	v_mov_b32_e32 v160, 0
	v_dot4c_i32_i8_e32 v148, v192, v5
	v_dot4c_i32_i8_e32 v160, v195, v0
	;; [unrolled: 1-line block ×7, first 2 shown]
	v_cvt_f32_i32_e32 v158, v158
	v_mul_lo_u32 v148, v148, v211
	v_mul_lo_u32 v150, v218, v209
	v_mad_u64_u32 v[160:161], s[20:21], v160, v209, v[148:149]
	v_mov_b32_e32 v148, 0
	v_dot4c_i32_i8_e32 v148, v199, v4
	v_mov_b32_e32 v4, 0
	v_dot4c_i32_i8_e32 v148, v200, v5
	v_dot4c_i32_i8_e32 v4, v203, v0
	;; [unrolled: 1-line block ×7, first 2 shown]
	v_mul_lo_u32 v2, v216, v207
	v_mul_lo_u32 v0, v148, v208
                                        ; kill: def $vgpr1 killed $sgpr0 killed $exec
	v_pk_fma_f32 v[118:119], v[180:181], v[158:159], v[118:119]
	v_mad_u64_u32 v[158:159], s[20:21], v217, v211, v[150:151]
	v_mad_u64_u32 v[2:3], s[20:21], v215, v208, v[2:3]
	;; [unrolled: 1-line block ×3, first 2 shown]
	v_cvt_f32_i32_e32 v159, v160
	v_cvt_f32_i32_e32 v158, v158
	;; [unrolled: 1-line block ×4, first 2 shown]
	v_pk_mul_f32 v[180:181], v[152:153], v[156:157] op_sel_hi:[0,1]
	v_pk_mul_f32 v[4:5], v[154:155], v[156:157] op_sel_hi:[0,1]
	v_pk_fma_f32 v[124:125], v[180:181], v[158:159], v[124:125]
	v_pk_fma_f32 v[134:135], v[4:5], v[0:1], v[134:135]
	v_add_u32_e32 v178, 4, v178
	v_add_u32_e32 v177, 32, v177
	s_cmp_lt_u32 s19, 30
	s_mov_b32 s21, s19
	s_cbranch_scc1 .LBB150_14
; %bb.15:                               ;   in Loop: Header=BB150_6 Depth=1
	s_barrier
	s_branch .LBB150_5
.LBB150_16:
	v_cvt_pk_f16_f32 v22, v54, v55
	v_cvt_pk_f16_f32 v21, v136, v137
	v_cvt_pk_f16_f32 v20, v142, v143
	v_cvt_pk_f16_f32 v19, v146, v147
	v_cvt_pk_f16_f32 v18, v120, v121
	v_cvt_pk_f16_f32 v17, v130, v131
	v_cvt_pk_f16_f32 v16, v138, v139
	v_cvt_pk_f16_f32 v14, v144, v145
	v_cvt_pk_f16_f32 v13, v116, v117
	v_cvt_pk_f16_f32 v12, v122, v123
	v_cvt_pk_f16_f32 v11, v132, v133
	v_cvt_pk_f16_f32 v10, v140, v141
	v_cvt_pk_f16_f32 v4, v114, v115
	v_cvt_pk_f16_f32 v3, v118, v119
	v_cvt_pk_f16_f32 v2, v124, v125
	v_cvt_pk_f16_f32 v1, v134, v135
	v_mov_b32_e32 v5, v45
.LBB150_17:
	v_cmp_gt_u32_e32 vcc, s10, v15
	s_and_saveexec_b64 s[0:1], vcc
	s_cbranch_execz .LBB150_68
; %bb.18:
	v_add_u32_e32 v0, s6, v9
	v_mul_lo_u32 v9, v15, s14
	v_cmp_gt_u32_e32 vcc, s14, v0
	s_and_saveexec_b64 s[0:1], vcc
	s_cbranch_execz .LBB150_20
; %bb.19:
	v_add_u32_e32 v6, v0, v9
	v_mov_b32_e32 v7, 0
	s_waitcnt lgkmcnt(0)
	v_lshl_add_u64 v[6:7], v[6:7], 1, s[12:13]
	global_store_short v[6:7], v22, off
.LBB150_20:
	s_or_b64 exec, exec, s[0:1]
	v_add_u32_e32 v6, 32, v0
	v_cmp_gt_u32_e64 s[0:1], s14, v6
	s_and_saveexec_b64 s[2:3], s[0:1]
	s_cbranch_execz .LBB150_22
; %bb.21:
	v_add_u32_e32 v24, v6, v9
	v_mov_b32_e32 v25, 0
	s_waitcnt lgkmcnt(0)
	v_lshl_add_u64 v[24:25], v[24:25], 1, s[12:13]
	global_store_short v[24:25], v21, off
.LBB150_22:
	s_or_b64 exec, exec, s[2:3]
	v_add_u32_e32 v7, 64, v0
	v_cmp_gt_u32_e64 s[2:3], s14, v7
	s_and_saveexec_b64 s[4:5], s[2:3]
	;; [unrolled: 12-line block ×3, first 2 shown]
	s_cbranch_execz .LBB150_26
; %bb.25:
	v_add_u32_e32 v24, v8, v9
	v_mov_b32_e32 v25, 0
	s_waitcnt lgkmcnt(0)
	v_lshl_add_u64 v[24:25], v[24:25], 1, s[12:13]
	global_store_short v[24:25], v19, off
.LBB150_26:
	s_or_b64 exec, exec, s[6:7]
	v_add3_u32 v9, v5, s15, 8
	v_cmp_gt_u32_e64 s[6:7], s10, v9
	s_and_b64 exec, exec, s[6:7]
	s_cbranch_execz .LBB150_68
; %bb.27:
	v_mul_lo_u32 v9, v9, s14
	s_and_saveexec_b64 s[6:7], vcc
	s_cbranch_execnz .LBB150_69
; %bb.28:
	s_or_b64 exec, exec, s[6:7]
	s_and_saveexec_b64 s[6:7], s[0:1]
	s_cbranch_execnz .LBB150_70
.LBB150_29:
	s_or_b64 exec, exec, s[6:7]
	s_and_saveexec_b64 s[6:7], s[2:3]
	s_cbranch_execnz .LBB150_71
.LBB150_30:
	s_or_b64 exec, exec, s[6:7]
	s_and_saveexec_b64 s[6:7], s[4:5]
	s_cbranch_execz .LBB150_32
.LBB150_31:
	v_add_u32_e32 v20, v9, v8
	v_mov_b32_e32 v21, 0
	s_waitcnt lgkmcnt(0)
	v_lshl_add_u64 v[20:21], v[20:21], 1, s[12:13]
	global_store_short_d16_hi v[20:21], v19, off
.LBB150_32:
	s_or_b64 exec, exec, s[6:7]
	v_add3_u32 v9, v5, s15, 16
	v_cmp_gt_u32_e64 s[6:7], s10, v9
	s_and_b64 exec, exec, s[6:7]
	s_cbranch_execz .LBB150_68
; %bb.33:
	v_mul_lo_u32 v9, v9, s14
	s_and_saveexec_b64 s[6:7], vcc
	s_cbranch_execnz .LBB150_72
; %bb.34:
	s_or_b64 exec, exec, s[6:7]
	s_and_saveexec_b64 s[6:7], s[0:1]
	s_cbranch_execnz .LBB150_73
.LBB150_35:
	s_or_b64 exec, exec, s[6:7]
	s_and_saveexec_b64 s[6:7], s[2:3]
	s_cbranch_execnz .LBB150_74
.LBB150_36:
	s_or_b64 exec, exec, s[6:7]
	s_and_saveexec_b64 s[6:7], s[4:5]
	s_cbranch_execz .LBB150_38
.LBB150_37:
	v_add_u32_e32 v20, v9, v8
	v_mov_b32_e32 v21, 0
	s_waitcnt lgkmcnt(0)
	v_lshl_add_u64 v[20:21], v[20:21], 1, s[12:13]
	global_store_short v[20:21], v14, off
.LBB150_38:
	s_or_b64 exec, exec, s[6:7]
	v_add3_u32 v9, v5, s15, 24
	v_cmp_gt_u32_e64 s[6:7], s10, v9
	s_and_b64 exec, exec, s[6:7]
	s_cbranch_execz .LBB150_68
; %bb.39:
	v_mul_lo_u32 v9, v9, s14
	s_and_saveexec_b64 s[6:7], vcc
	s_cbranch_execnz .LBB150_75
; %bb.40:
	s_or_b64 exec, exec, s[6:7]
	s_and_saveexec_b64 s[6:7], s[0:1]
	s_cbranch_execnz .LBB150_76
.LBB150_41:
	s_or_b64 exec, exec, s[6:7]
	s_and_saveexec_b64 s[6:7], s[2:3]
	s_cbranch_execnz .LBB150_77
.LBB150_42:
	s_or_b64 exec, exec, s[6:7]
	s_and_saveexec_b64 s[6:7], s[4:5]
	s_cbranch_execz .LBB150_44
.LBB150_43:
	v_add_u32_e32 v16, v9, v8
	v_mov_b32_e32 v17, 0
	s_waitcnt lgkmcnt(0)
	v_lshl_add_u64 v[16:17], v[16:17], 1, s[12:13]
	global_store_short_d16_hi v[16:17], v14, off
.LBB150_44:
	s_or_b64 exec, exec, s[6:7]
	v_add3_u32 v9, v5, s15, 32
	v_cmp_gt_u32_e64 s[6:7], s10, v9
	s_and_b64 exec, exec, s[6:7]
	s_cbranch_execz .LBB150_68
; %bb.45:
	v_mul_lo_u32 v9, v9, s14
	s_and_saveexec_b64 s[6:7], vcc
	s_cbranch_execnz .LBB150_78
; %bb.46:
	s_or_b64 exec, exec, s[6:7]
	s_and_saveexec_b64 s[6:7], s[0:1]
	s_cbranch_execnz .LBB150_79
.LBB150_47:
	s_or_b64 exec, exec, s[6:7]
	s_and_saveexec_b64 s[6:7], s[2:3]
	s_cbranch_execnz .LBB150_80
.LBB150_48:
	s_or_b64 exec, exec, s[6:7]
	s_and_saveexec_b64 s[6:7], s[4:5]
	s_cbranch_execz .LBB150_50
.LBB150_49:
	v_add_u32_e32 v14, v9, v8
	v_mov_b32_e32 v15, 0
	s_waitcnt lgkmcnt(0)
	v_lshl_add_u64 v[14:15], v[14:15], 1, s[12:13]
	global_store_short v[14:15], v10, off
.LBB150_50:
	s_or_b64 exec, exec, s[6:7]
	v_add3_u32 v9, v5, s15, 40
	v_cmp_gt_u32_e64 s[6:7], s10, v9
	s_and_b64 exec, exec, s[6:7]
	s_cbranch_execz .LBB150_68
; %bb.51:
	v_mul_lo_u32 v9, v9, s14
	s_and_saveexec_b64 s[6:7], vcc
	s_cbranch_execnz .LBB150_81
; %bb.52:
	s_or_b64 exec, exec, s[6:7]
	s_and_saveexec_b64 s[6:7], s[0:1]
	s_cbranch_execnz .LBB150_82
.LBB150_53:
	s_or_b64 exec, exec, s[6:7]
	s_and_saveexec_b64 s[6:7], s[2:3]
	s_cbranch_execnz .LBB150_83
.LBB150_54:
	s_or_b64 exec, exec, s[6:7]
	s_and_saveexec_b64 s[6:7], s[4:5]
	s_cbranch_execz .LBB150_56
.LBB150_55:
	v_add_u32_e32 v12, v9, v8
	v_mov_b32_e32 v13, 0
	s_waitcnt lgkmcnt(0)
	v_lshl_add_u64 v[12:13], v[12:13], 1, s[12:13]
	global_store_short_d16_hi v[12:13], v10, off
.LBB150_56:
	s_or_b64 exec, exec, s[6:7]
	v_add3_u32 v9, v5, s15, 48
	v_cmp_gt_u32_e64 s[6:7], s10, v9
	s_and_b64 exec, exec, s[6:7]
	s_cbranch_execz .LBB150_68
; %bb.57:
	v_mul_lo_u32 v9, v9, s14
	s_and_saveexec_b64 s[6:7], vcc
	s_cbranch_execnz .LBB150_84
; %bb.58:
	s_or_b64 exec, exec, s[6:7]
	s_and_saveexec_b64 s[6:7], s[0:1]
	s_cbranch_execnz .LBB150_85
.LBB150_59:
	s_or_b64 exec, exec, s[6:7]
	s_and_saveexec_b64 s[6:7], s[2:3]
	s_cbranch_execnz .LBB150_86
.LBB150_60:
	s_or_b64 exec, exec, s[6:7]
	s_and_saveexec_b64 s[6:7], s[4:5]
	s_cbranch_execz .LBB150_62
.LBB150_61:
	v_add_u32_e32 v10, v9, v8
	v_mov_b32_e32 v11, 0
	s_waitcnt lgkmcnt(0)
	v_lshl_add_u64 v[10:11], v[10:11], 1, s[12:13]
	global_store_short v[10:11], v1, off
.LBB150_62:
	s_or_b64 exec, exec, s[6:7]
	v_add3_u32 v5, v5, s15, 56
	v_cmp_gt_u32_e64 s[6:7], s10, v5
	s_and_b64 exec, exec, s[6:7]
	s_cbranch_execz .LBB150_68
; %bb.63:
	v_mul_lo_u32 v5, v5, s14
	s_and_saveexec_b64 s[6:7], vcc
	s_cbranch_execnz .LBB150_87
; %bb.64:
	s_or_b64 exec, exec, s[6:7]
	s_and_saveexec_b64 s[6:7], s[0:1]
	s_cbranch_execnz .LBB150_88
.LBB150_65:
	s_or_b64 exec, exec, s[6:7]
	s_and_saveexec_b64 s[0:1], s[2:3]
	s_cbranch_execnz .LBB150_89
.LBB150_66:
	s_or_b64 exec, exec, s[0:1]
	s_and_b64 exec, exec, s[4:5]
	s_cbranch_execz .LBB150_68
.LBB150_67:
	v_add_u32_e32 v2, v5, v8
	v_mov_b32_e32 v3, 0
	s_waitcnt lgkmcnt(0)
	v_lshl_add_u64 v[2:3], v[2:3], 1, s[12:13]
	global_store_short_d16_hi v[2:3], v1, off
.LBB150_68:
	s_endpgm
.LBB150_69:
	v_add_u32_e32 v24, v9, v0
	v_mov_b32_e32 v25, 0
	s_waitcnt lgkmcnt(0)
	v_lshl_add_u64 v[24:25], v[24:25], 1, s[12:13]
	global_store_short_d16_hi v[24:25], v22, off
	s_or_b64 exec, exec, s[6:7]
	s_and_saveexec_b64 s[6:7], s[0:1]
	s_cbranch_execz .LBB150_29
.LBB150_70:
	v_add_u32_e32 v22, v9, v6
	v_mov_b32_e32 v23, 0
	s_waitcnt lgkmcnt(0)
	v_lshl_add_u64 v[22:23], v[22:23], 1, s[12:13]
	global_store_short_d16_hi v[22:23], v21, off
	s_or_b64 exec, exec, s[6:7]
	s_and_saveexec_b64 s[6:7], s[2:3]
	s_cbranch_execz .LBB150_30
.LBB150_71:
	v_add_u32_e32 v22, v9, v7
	v_mov_b32_e32 v23, 0
	s_waitcnt lgkmcnt(0)
	v_lshl_add_u64 v[22:23], v[22:23], 1, s[12:13]
	global_store_short_d16_hi v[22:23], v20, off
	s_or_b64 exec, exec, s[6:7]
	s_and_saveexec_b64 s[6:7], s[4:5]
	s_cbranch_execnz .LBB150_31
	s_branch .LBB150_32
.LBB150_72:
	v_add_u32_e32 v20, v9, v0
	v_mov_b32_e32 v21, 0
	s_waitcnt lgkmcnt(0)
	v_lshl_add_u64 v[20:21], v[20:21], 1, s[12:13]
	global_store_short v[20:21], v18, off
	s_or_b64 exec, exec, s[6:7]
	s_and_saveexec_b64 s[6:7], s[0:1]
	s_cbranch_execz .LBB150_35
.LBB150_73:
	v_add_u32_e32 v20, v9, v6
	v_mov_b32_e32 v21, 0
	s_waitcnt lgkmcnt(0)
	v_lshl_add_u64 v[20:21], v[20:21], 1, s[12:13]
	global_store_short v[20:21], v17, off
	s_or_b64 exec, exec, s[6:7]
	s_and_saveexec_b64 s[6:7], s[2:3]
	s_cbranch_execz .LBB150_36
.LBB150_74:
	v_add_u32_e32 v20, v9, v7
	v_mov_b32_e32 v21, 0
	s_waitcnt lgkmcnt(0)
	v_lshl_add_u64 v[20:21], v[20:21], 1, s[12:13]
	global_store_short v[20:21], v16, off
	s_or_b64 exec, exec, s[6:7]
	s_and_saveexec_b64 s[6:7], s[4:5]
	s_cbranch_execnz .LBB150_37
	s_branch .LBB150_38
.LBB150_75:
	v_add_u32_e32 v20, v9, v0
	v_mov_b32_e32 v21, 0
	s_waitcnt lgkmcnt(0)
	v_lshl_add_u64 v[20:21], v[20:21], 1, s[12:13]
	global_store_short_d16_hi v[20:21], v18, off
	s_or_b64 exec, exec, s[6:7]
	s_and_saveexec_b64 s[6:7], s[0:1]
	s_cbranch_execz .LBB150_41
.LBB150_76:
	v_add_u32_e32 v18, v9, v6
	v_mov_b32_e32 v19, 0
	s_waitcnt lgkmcnt(0)
	v_lshl_add_u64 v[18:19], v[18:19], 1, s[12:13]
	global_store_short_d16_hi v[18:19], v17, off
	s_or_b64 exec, exec, s[6:7]
	s_and_saveexec_b64 s[6:7], s[2:3]
	s_cbranch_execz .LBB150_42
.LBB150_77:
	v_add_u32_e32 v18, v9, v7
	v_mov_b32_e32 v19, 0
	s_waitcnt lgkmcnt(0)
	v_lshl_add_u64 v[18:19], v[18:19], 1, s[12:13]
	global_store_short_d16_hi v[18:19], v16, off
	s_or_b64 exec, exec, s[6:7]
	s_and_saveexec_b64 s[6:7], s[4:5]
	s_cbranch_execnz .LBB150_43
	s_branch .LBB150_44
.LBB150_78:
	v_add_u32_e32 v14, v9, v0
	v_mov_b32_e32 v15, 0
	s_waitcnt lgkmcnt(0)
	v_lshl_add_u64 v[14:15], v[14:15], 1, s[12:13]
	global_store_short v[14:15], v13, off
	s_or_b64 exec, exec, s[6:7]
	s_and_saveexec_b64 s[6:7], s[0:1]
	s_cbranch_execz .LBB150_47
.LBB150_79:
	v_add_u32_e32 v14, v9, v6
	v_mov_b32_e32 v15, 0
	s_waitcnt lgkmcnt(0)
	v_lshl_add_u64 v[14:15], v[14:15], 1, s[12:13]
	global_store_short v[14:15], v12, off
	s_or_b64 exec, exec, s[6:7]
	s_and_saveexec_b64 s[6:7], s[2:3]
	s_cbranch_execz .LBB150_48
.LBB150_80:
	v_add_u32_e32 v14, v9, v7
	v_mov_b32_e32 v15, 0
	s_waitcnt lgkmcnt(0)
	v_lshl_add_u64 v[14:15], v[14:15], 1, s[12:13]
	global_store_short v[14:15], v11, off
	s_or_b64 exec, exec, s[6:7]
	s_and_saveexec_b64 s[6:7], s[4:5]
	s_cbranch_execnz .LBB150_49
	s_branch .LBB150_50
.LBB150_81:
	v_add_u32_e32 v14, v9, v0
	v_mov_b32_e32 v15, 0
	s_waitcnt lgkmcnt(0)
	v_lshl_add_u64 v[14:15], v[14:15], 1, s[12:13]
	global_store_short_d16_hi v[14:15], v13, off
	s_or_b64 exec, exec, s[6:7]
	s_and_saveexec_b64 s[6:7], s[0:1]
	s_cbranch_execz .LBB150_53
.LBB150_82:
	v_add_u32_e32 v14, v9, v6
	v_mov_b32_e32 v15, 0
	s_waitcnt lgkmcnt(0)
	v_lshl_add_u64 v[14:15], v[14:15], 1, s[12:13]
	global_store_short_d16_hi v[14:15], v12, off
	s_or_b64 exec, exec, s[6:7]
	s_and_saveexec_b64 s[6:7], s[2:3]
	s_cbranch_execz .LBB150_54
.LBB150_83:
	v_add_u32_e32 v12, v9, v7
	v_mov_b32_e32 v13, 0
	s_waitcnt lgkmcnt(0)
	v_lshl_add_u64 v[12:13], v[12:13], 1, s[12:13]
	global_store_short_d16_hi v[12:13], v11, off
	s_or_b64 exec, exec, s[6:7]
	s_and_saveexec_b64 s[6:7], s[4:5]
	s_cbranch_execnz .LBB150_55
	s_branch .LBB150_56
.LBB150_84:
	v_add_u32_e32 v10, v9, v0
	v_mov_b32_e32 v11, 0
	s_waitcnt lgkmcnt(0)
	v_lshl_add_u64 v[10:11], v[10:11], 1, s[12:13]
	global_store_short v[10:11], v4, off
	s_or_b64 exec, exec, s[6:7]
	s_and_saveexec_b64 s[6:7], s[0:1]
	s_cbranch_execz .LBB150_59
.LBB150_85:
	v_add_u32_e32 v10, v9, v6
	v_mov_b32_e32 v11, 0
	s_waitcnt lgkmcnt(0)
	v_lshl_add_u64 v[10:11], v[10:11], 1, s[12:13]
	global_store_short v[10:11], v3, off
	s_or_b64 exec, exec, s[6:7]
	s_and_saveexec_b64 s[6:7], s[2:3]
	s_cbranch_execz .LBB150_60
.LBB150_86:
	v_add_u32_e32 v10, v9, v7
	v_mov_b32_e32 v11, 0
	s_waitcnt lgkmcnt(0)
	v_lshl_add_u64 v[10:11], v[10:11], 1, s[12:13]
	global_store_short v[10:11], v2, off
	s_or_b64 exec, exec, s[6:7]
	s_and_saveexec_b64 s[6:7], s[4:5]
	s_cbranch_execnz .LBB150_61
	s_branch .LBB150_62
.LBB150_87:
	v_add_u32_e32 v10, v5, v0
	v_mov_b32_e32 v11, 0
	s_waitcnt lgkmcnt(0)
	v_lshl_add_u64 v[10:11], v[10:11], 1, s[12:13]
	global_store_short_d16_hi v[10:11], v4, off
	s_or_b64 exec, exec, s[6:7]
	s_and_saveexec_b64 s[6:7], s[0:1]
	s_cbranch_execz .LBB150_65
.LBB150_88:
	v_add_u32_e32 v10, v5, v6
	v_mov_b32_e32 v11, 0
	s_waitcnt lgkmcnt(0)
	v_lshl_add_u64 v[10:11], v[10:11], 1, s[12:13]
	global_store_short_d16_hi v[10:11], v3, off
	s_or_b64 exec, exec, s[6:7]
	s_and_saveexec_b64 s[0:1], s[2:3]
	s_cbranch_execz .LBB150_66
.LBB150_89:
	v_add_u32_e32 v6, v5, v7
	v_mov_b32_e32 v7, 0
	s_waitcnt lgkmcnt(0)
	v_lshl_add_u64 v[6:7], v[6:7], 1, s[12:13]
	global_store_short_d16_hi v[6:7], v2, off
	s_or_b64 exec, exec, s[0:1]
	s_and_b64 exec, exec, s[4:5]
	s_cbranch_execnz .LBB150_67
	s_branch .LBB150_68
	.section	.rodata,"a",@progbits
	.p2align	6, 0x0
	.amdhsa_kernel _ZL12mul_mat_q3_KIN3c104HalfELb1EEvPKvS3_PT_iiiii
		.amdhsa_group_segment_fixed_size 39840
		.amdhsa_private_segment_fixed_size 0
		.amdhsa_kernarg_size 44
		.amdhsa_user_sgpr_count 2
		.amdhsa_user_sgpr_dispatch_ptr 0
		.amdhsa_user_sgpr_queue_ptr 0
		.amdhsa_user_sgpr_kernarg_segment_ptr 1
		.amdhsa_user_sgpr_dispatch_id 0
		.amdhsa_user_sgpr_kernarg_preload_length 0
		.amdhsa_user_sgpr_kernarg_preload_offset 0
		.amdhsa_user_sgpr_private_segment_size 0
		.amdhsa_uses_dynamic_stack 0
		.amdhsa_enable_private_segment 0
		.amdhsa_system_sgpr_workgroup_id_x 1
		.amdhsa_system_sgpr_workgroup_id_y 1
		.amdhsa_system_sgpr_workgroup_id_z 0
		.amdhsa_system_sgpr_workgroup_info 0
		.amdhsa_system_vgpr_workitem_id 1
		.amdhsa_next_free_vgpr 230
		.amdhsa_next_free_sgpr 96
		.amdhsa_accum_offset 232
		.amdhsa_reserve_vcc 1
		.amdhsa_float_round_mode_32 0
		.amdhsa_float_round_mode_16_64 0
		.amdhsa_float_denorm_mode_32 3
		.amdhsa_float_denorm_mode_16_64 3
		.amdhsa_dx10_clamp 1
		.amdhsa_ieee_mode 1
		.amdhsa_fp16_overflow 0
		.amdhsa_tg_split 0
		.amdhsa_exception_fp_ieee_invalid_op 0
		.amdhsa_exception_fp_denorm_src 0
		.amdhsa_exception_fp_ieee_div_zero 0
		.amdhsa_exception_fp_ieee_overflow 0
		.amdhsa_exception_fp_ieee_underflow 0
		.amdhsa_exception_fp_ieee_inexact 0
		.amdhsa_exception_int_div_zero 0
	.end_amdhsa_kernel
	.section	.text._ZL12mul_mat_q3_KIN3c104HalfELb1EEvPKvS3_PT_iiiii,"axG",@progbits,_ZL12mul_mat_q3_KIN3c104HalfELb1EEvPKvS3_PT_iiiii,comdat
.Lfunc_end150:
	.size	_ZL12mul_mat_q3_KIN3c104HalfELb1EEvPKvS3_PT_iiiii, .Lfunc_end150-_ZL12mul_mat_q3_KIN3c104HalfELb1EEvPKvS3_PT_iiiii
                                        ; -- End function
	.set _ZL12mul_mat_q3_KIN3c104HalfELb1EEvPKvS3_PT_iiiii.num_vgpr, 230
	.set _ZL12mul_mat_q3_KIN3c104HalfELb1EEvPKvS3_PT_iiiii.num_agpr, 0
	.set _ZL12mul_mat_q3_KIN3c104HalfELb1EEvPKvS3_PT_iiiii.numbered_sgpr, 26
	.set _ZL12mul_mat_q3_KIN3c104HalfELb1EEvPKvS3_PT_iiiii.num_named_barrier, 0
	.set _ZL12mul_mat_q3_KIN3c104HalfELb1EEvPKvS3_PT_iiiii.private_seg_size, 0
	.set _ZL12mul_mat_q3_KIN3c104HalfELb1EEvPKvS3_PT_iiiii.uses_vcc, 1
	.set _ZL12mul_mat_q3_KIN3c104HalfELb1EEvPKvS3_PT_iiiii.uses_flat_scratch, 0
	.set _ZL12mul_mat_q3_KIN3c104HalfELb1EEvPKvS3_PT_iiiii.has_dyn_sized_stack, 0
	.set _ZL12mul_mat_q3_KIN3c104HalfELb1EEvPKvS3_PT_iiiii.has_recursion, 0
	.set _ZL12mul_mat_q3_KIN3c104HalfELb1EEvPKvS3_PT_iiiii.has_indirect_call, 0
	.section	.AMDGPU.csdata,"",@progbits
; Kernel info:
; codeLenInByte = 31616
; TotalNumSgprs: 32
; NumVgprs: 230
; NumAgprs: 0
; TotalNumVgprs: 230
; ScratchSize: 0
; MemoryBound: 0
; FloatMode: 240
; IeeeMode: 1
; LDSByteSize: 39840 bytes/workgroup (compile time only)
; SGPRBlocks: 12
; VGPRBlocks: 28
; NumSGPRsForWavesPerEU: 102
; NumVGPRsForWavesPerEU: 230
; AccumOffset: 232
; Occupancy: 2
; WaveLimiterHint : 0
; COMPUTE_PGM_RSRC2:SCRATCH_EN: 0
; COMPUTE_PGM_RSRC2:USER_SGPR: 2
; COMPUTE_PGM_RSRC2:TRAP_HANDLER: 0
; COMPUTE_PGM_RSRC2:TGID_X_EN: 1
; COMPUTE_PGM_RSRC2:TGID_Y_EN: 1
; COMPUTE_PGM_RSRC2:TGID_Z_EN: 0
; COMPUTE_PGM_RSRC2:TIDIG_COMP_CNT: 1
; COMPUTE_PGM_RSRC3_GFX90A:ACCUM_OFFSET: 57
; COMPUTE_PGM_RSRC3_GFX90A:TG_SPLIT: 0
	.section	.text._ZL12mul_mat_q4_KIN3c104HalfELb0EEvPKvS3_PT_iiiii,"axG",@progbits,_ZL12mul_mat_q4_KIN3c104HalfELb0EEvPKvS3_PT_iiiii,comdat
	.globl	_ZL12mul_mat_q4_KIN3c104HalfELb0EEvPKvS3_PT_iiiii ; -- Begin function _ZL12mul_mat_q4_KIN3c104HalfELb0EEvPKvS3_PT_iiiii
	.p2align	8
	.type	_ZL12mul_mat_q4_KIN3c104HalfELb0EEvPKvS3_PT_iiiii,@function
_ZL12mul_mat_q4_KIN3c104HalfELb0EEvPKvS3_PT_iiiii: ; @_ZL12mul_mat_q4_KIN3c104HalfELb0EEvPKvS3_PT_iiiii
; %bb.0:
	s_load_dword s14, s[0:1], 0x18
	s_load_dwordx4 s[8:11], s[0:1], 0x20
	s_waitcnt lgkmcnt(0)
	s_lshl_b32 s11, s3, 6
	v_bfe_u32 v21, v0, 10, 10
	s_cmpk_gt_i32 s14, 0xff
	s_cbranch_scc1 .LBB151_2
; %bb.1:
	v_bfe_u32 v5, v0, 10, 10
	v_and_b32_e32 v17, 0x3ff, v0
	v_add_u32_e32 v23, s11, v5
	s_mov_b64 s[4:5], 0
	s_branch .LBB151_3
.LBB151_2:
	s_mov_b64 s[4:5], -1
                                        ; implicit-def: $vgpr5
                                        ; implicit-def: $vgpr17
                                        ; implicit-def: $vgpr23
.LBB151_3:
	s_load_dwordx2 s[12:13], s[0:1], 0x10
	s_lshl_b32 s6, s2, 7
	s_mov_b32 s7, 0
	v_mov_b32_e32 v1, 0
	s_andn2_b64 vcc, exec, s[4:5]
	v_mov_b32_e32 v9, 0
	v_mov_b32_e32 v13, 0
	;; [unrolled: 1-line block ×15, first 2 shown]
	s_cbranch_vccnz .LBB151_11
; %bb.4:
	s_ashr_i32 s4, s14, 31
	s_load_dwordx4 s[0:3], s[0:1], 0x0
	s_lshr_b32 s4, s4, 24
	s_add_i32 s14, s14, s4
	s_ashr_i32 s5, s9, 31
	s_ashr_i32 s4, s14, 8
	s_lshr_b32 s5, s5, 27
	s_add_i32 s5, s9, s5
	s_mul_i32 s9, s4, s6
	s_ashr_i32 s15, s5, 5
	s_mul_hi_i32 s14, s9, 0x90
	s_mulk_i32 s9, 0x90
	s_waitcnt lgkmcnt(0)
	s_add_u32 s9, s0, s9
	s_addc_u32 s14, s1, s14
	s_lshl_b32 s0, s4, 3
	v_and_b32_e32 v17, 0x3ff, v0
	v_mov_b32_e32 v1, s0
	v_lshlrev_b32_e32 v41, 5, v21
	v_mad_i32_i24 v20, s4, v21, v1
	v_add_u32_e32 v1, v41, v17
	v_and_b32_e32 v2, 0x7f, v1
	v_lshrrev_b32_e32 v1, 3, v1
	v_mul_i32_i24_e32 v22, s4, v2
	v_and_b32_e32 v1, 12, v1
	v_lshlrev_b32_e32 v2, 2, v2
	s_movk_i32 s18, 0x6e40
	v_add3_u32 v43, v2, v1, s18
	v_and_b32_e32 v2, 3, v0
	v_add_u32_e32 v4, 0xfe, v2
	v_lshlrev_b32_e32 v1, 3, v21
	v_bfe_u32 v8, v0, 2, 8
	v_and_b32_e32 v4, 0xff, v4
	v_cmp_gt_u32_e32 vcc, 2, v2
	v_add_u32_e32 v28, v8, v1
	v_add_u16_e32 v1, v8, v1
	v_cndmask_b32_e32 v9, v4, v2, vcc
	v_cmp_ne_u32_e32 vcc, 0, v2
	v_lshlrev_b32_e32 v47, 1, v9
	v_lshlrev_b32_e32 v31, 2, v2
	v_addc_co_u32_e32 v4, vcc, 0, v9, vcc
	v_and_b32_e32 v9, 0x7f, v28
	v_lshrrev_b16_e32 v1, 1, v1
	v_mul_i32_i24_e32 v24, s4, v9
	v_lshl_or_b32 v9, v9, 4, v31
	v_and_b32_e32 v1, 60, v1
	s_movk_i32 s16, 0x6200
	v_add3_u32 v49, v9, v1, s16
	v_mov_b32_e32 v1, 0x7f
	v_bitop3_b32 v1, v28, 64, v1 bitop3:0x6c
	v_mul_i32_i24_e32 v26, s4, v1
	v_lshl_or_b32 v8, v1, 4, v31
	v_lshrrev_b32_e32 v1, 1, v1
	v_and_b32_e32 v1, 60, v1
	v_add3_u32 v53, v8, v1, s16
	v_and_b32_e32 v1, 31, v0
	v_mov_b32_e32 v29, 0x4200
	v_lshl_or_b32 v32, v1, 2, v29
	v_and_b32_e32 v1, 63, v28
	s_add_i32 s16, s8, -1
	v_or_b32_e32 v28, s11, v1
	v_lshlrev_b32_e32 v3, 2, v17
	v_min_i32_e32 v28, s16, v28
	v_add_u32_e32 v23, s11, v21
	v_cvt_f64_i32_e32 v[8:9], s16
	v_mad_u64_u32 v[28:29], s[16:17], v28, s15, v[2:3]
	v_lshl_or_b32 v1, v1, 4, v31
	v_bfe_u32 v16, v0, 5, 5
	v_add_u32_e32 v29, 0x6a40, v1
	v_bfe_u32 v55, v0, 3, 7
	v_cvt_f64_u32_e32 v[0:1], v23
	v_min_f64 v[0:1], v[0:1], v[8:9]
	v_cvt_i32_f64_e32 v0, v[0:1]
	v_mul_lo_u32 v57, s15, v0
	v_add_u32_e32 v0, 8, v23
	v_cvt_f64_u32_e32 v[0:1], v0
	v_min_f64 v[0:1], v[0:1], v[8:9]
	v_cvt_i32_f64_e32 v0, v[0:1]
	v_mul_lo_u32 v63, s15, v0
	v_add_u32_e32 v0, 16, v23
	;; [unrolled: 5-line block ×7, first 2 shown]
	v_cvt_f64_u32_e32 v[0:1], v0
	v_min_f64 v[0:1], v[0:1], v[8:9]
	v_cvt_i32_f64_e32 v0, v[0:1]
	v_lshlrev_b32_e32 v1, 2, v16
	v_add3_u32 v117, v1, v3, s18
	v_add_u32_e32 v1, 32, v17
	v_lshrrev_b32_e32 v119, 3, v1
	v_lshlrev_b32_e32 v8, 2, v1
	v_and_b32_e32 v1, 60, v119
	v_add3_u32 v121, v3, v1, s18
	v_add_u32_e32 v1, 64, v17
	v_lshlrev_b32_e32 v9, 2, v1
	v_lshrrev_b32_e32 v1, 3, v1
	v_and_b32_e32 v31, 60, v1
	v_add3_u32 v123, v3, v31, s18
	v_add_u32_e32 v31, 0x60, v17
	v_lshlrev_b32_e32 v40, 2, v31
	v_lshrrev_b32_e32 v42, 3, v31
	v_lshlrev_b32_e32 v167, 2, v40
	v_add_u32_e32 v40, s0, v20
	v_and_b32_e32 v31, 60, v42
	v_lshlrev_b32_e32 v153, 2, v42
	v_add_u32_e32 v42, s0, v40
	v_add_u32_e32 v44, s0, v42
	;; [unrolled: 1-line block ×9, first 2 shown]
	s_movk_i32 s1, 0x84
	v_lshlrev_b32_e32 v33, 7, v5
	v_lshlrev_b32_e32 v127, 5, v5
	v_mov_b32_e32 v5, 0x1080
	v_add_u32_e32 v64, s0, v62
	v_add_u32_e32 v7, 16, v21
	;; [unrolled: 1-line block ×7, first 2 shown]
	v_mad_u32_u24 v146, v17, s1, v5
	v_mov_b32_e32 v5, 0x2100
	v_add_u32_e32 v66, s0, v64
	v_mov_b32_e32 v19, 0
	v_and_b32_e32 v6, 4, v3
	v_cmp_lt_u32_e32 vcc, 1, v2
	v_lshlrev_b32_e32 v2, 7, v21
	v_lshlrev_b32_e32 v34, 7, v7
	;; [unrolled: 1-line block ×6, first 2 shown]
	v_mul_lo_u32 v115, s15, v0
	v_lshlrev_b32_e32 v0, 7, v30
	v_mad_u32_u24 v147, v17, s1, v5
	v_mov_b32_e32 v5, 0x3180
	v_add_u32_e32 v74, s0, v66
	v_mad_u32_u24 v25, v21, s1, v3
	v_cndmask_b32_e32 v45, 0, v6, vcc
	v_cndmask_b32_e64 v6, 0, 1, vcc
	v_and_b32_e32 v10, 28, v3
	v_mov_b32_e32 v11, v19
	v_mad_u32_u24 v148, v17, s1, v5
	v_mov_b32_e32 v5, 0x6a40
	v_add_u32_e32 v156, v32, v2
	v_add_u32_e32 v157, v32, v33
	;; [unrolled: 1-line block ×8, first 2 shown]
	v_mov_b32_e32 v32, v19
	v_mov_b32_e32 v33, v19
	v_add_u32_e32 v76, s0, v74
	s_movk_i32 s5, 0x90
	v_and_b32_e32 v18, 0x7c, v3
	v_add_u32_e32 v27, 0x39c0, v25
	v_add_u32_e32 v39, 0x3de0, v25
	v_add3_u32 v125, v3, v31, s18
	v_lshlrev_b32_e32 v129, 5, v7
	v_lshlrev_b32_e32 v140, 5, v12
	;; [unrolled: 1-line block ×6, first 2 shown]
	v_mul_u32_u24_e32 v145, 0x84, v17
	v_lshl_add_u64 v[30:31], s[2:3], 0, v[10:11]
	v_mad_u32_u24 v149, v17, s1, 64
	v_lshl_add_u32 v150, v21, 4, v5
	v_add_u32_e32 v151, 0x4200, v2
	v_lshlrev_b32_e32 v152, 4, v17
	v_lshlrev_b32_e32 v154, 2, v1
	;; [unrolled: 1-line block ×4, first 2 shown]
	v_mov_b32_e32 v35, v19
	v_lshlrev_b32_e32 v36, 2, v6
	v_mov_b32_e32 v37, v19
	s_mov_b32 s15, 0x30303030
	v_lshlrev_b32_e32 v164, 2, v3
	v_lshlrev_b32_e32 v165, 2, v8
	v_lshlrev_b32_e32 v166, 2, v9
	v_lshlrev_b32_e32 v168, 2, v55
	v_mul_i32_i24_e32 v38, s4, v21
	v_add_u32_e32 v78, s0, v76
	v_mov_b64_e32 v[68:69], v[32:33]
	v_mov_b64_e32 v[58:59], v[32:33]
	v_mov_b64_e32 v[50:51], v[32:33]
	v_mov_b64_e32 v[86:87], v[32:33]
	v_mov_b64_e32 v[80:81], v[32:33]
	v_mov_b64_e32 v[70:71], v[32:33]
	v_mov_b64_e32 v[60:61], v[32:33]
	v_mov_b64_e32 v[92:93], v[32:33]
	v_mov_b64_e32 v[88:89], v[32:33]
	v_mov_b64_e32 v[82:83], v[32:33]
	v_mov_b64_e32 v[72:73], v[32:33]
	v_mov_b64_e32 v[96:97], v[32:33]
	v_mov_b64_e32 v[94:95], v[32:33]
	v_mov_b64_e32 v[90:91], v[32:33]
	v_mov_b64_e32 v[84:85], v[32:33]
.LBB151_5:                              ; =>This Loop Header: Depth=1
                                        ;     Child Loop BB151_6 Depth 2
                                        ;     Child Loop BB151_8 Depth 2
	s_mul_i32 s0, s7, 0x90
	s_mul_hi_u32 s1, s7, 0x90
	s_add_u32 s0, s9, s0
	s_addc_u32 s1, s14, s1
	v_mov_b64_e32 v[0:1], s[0:1]
	v_mad_u64_u32 v[2:3], s[0:1], v16, s5, v[0:1]
	v_mad_u64_u32 v[4:5], s[0:1], v38, s5, v[2:3]
	;; [unrolled: 1-line block ×3, first 2 shown]
	v_lshl_add_u64 v[4:5], v[4:5], 0, v[18:19]
	v_mad_u64_u32 v[6:7], s[0:1], v20, s5, v[2:3]
	v_mad_u64_u32 v[8:9], s[0:1], v40, s5, v[2:3]
	v_mad_u64_u32 v[10:11], s[0:1], v42, s5, v[2:3]
	v_mad_u64_u32 v[12:13], s[0:1], v44, s5, v[2:3]
	v_mad_u64_u32 v[14:15], s[0:1], v46, s5, v[2:3]
	v_mad_u64_u32 v[98:99], s[0:1], v48, s5, v[2:3]
	v_lshl_add_u64 v[100:101], v[100:101], 0, v[18:19]
	v_lshl_add_u64 v[6:7], v[6:7], 0, v[18:19]
	;; [unrolled: 1-line block ×7, first 2 shown]
	global_load_dword v102, v[4:5], off offset:16
	global_load_dword v103, v[6:7], off offset:16
	;; [unrolled: 1-line block ×7, first 2 shown]
	s_nop 0
	global_load_dword v100, v[100:101], off offset:16
	v_mad_u64_u32 v[4:5], s[0:1], v54, s5, v[2:3]
	v_mad_u64_u32 v[98:99], s[0:1], v76, s5, v[2:3]
	v_lshl_add_u64 v[4:5], v[4:5], 0, v[18:19]
	v_mad_u64_u32 v[6:7], s[0:1], v56, s5, v[2:3]
	v_mad_u64_u32 v[8:9], s[0:1], v62, s5, v[2:3]
	;; [unrolled: 1-line block ×5, first 2 shown]
	v_lshl_add_u64 v[98:99], v[98:99], 0, v[18:19]
	v_mad_u64_u32 v[2:3], s[0:1], v78, s5, v[2:3]
	v_lshl_add_u64 v[6:7], v[6:7], 0, v[18:19]
	v_lshl_add_u64 v[8:9], v[8:9], 0, v[18:19]
	;; [unrolled: 1-line block ×6, first 2 shown]
	global_load_dword v101, v[4:5], off offset:16
	global_load_dword v109, v[6:7], off offset:16
	;; [unrolled: 1-line block ×6, first 2 shown]
	s_nop 0
	global_load_dword v98, v[98:99], off offset:16
	s_nop 0
	global_load_dword v99, v[2:3], off offset:16
	v_mad_u64_u32 v[2:3], s[0:1], v22, s5, v[0:1]
	v_mad_u64_u32 v[4:5], s[0:1], v24, s5, v[0:1]
	;; [unrolled: 1-line block ×3, first 2 shown]
	s_lshl_b32 s16, s7, 3
	v_lshl_add_u64 v[6:7], v[4:5], 0, v[34:35]
	v_lshl_add_u64 v[4:5], v[4:5], 0, v[36:37]
	v_lshl_add_u64 v[8:9], v[0:1], 0, v[34:35]
	v_lshl_add_u64 v[0:1], v[0:1], 0, v[36:37]
	global_load_dword v114, v[2:3], off
	global_load_dword v116, v[6:7], off offset:4
	global_load_dword v118, v[4:5], off offset:4
	global_load_dword v120, v[8:9], off offset:4
	global_load_dword v122, v[0:1], off offset:4
	v_add_u32_e32 v14, s16, v55
	v_add_u32_e32 v0, v14, v57
	;; [unrolled: 1-line block ×6, first 2 shown]
	v_mad_i64_i32 v[0:1], s[0:1], v0, 36, v[30:31]
	v_mad_i64_i32 v[2:3], s[0:1], v2, 36, v[30:31]
	;; [unrolled: 1-line block ×5, first 2 shown]
	v_add_u32_e32 v10, v14, v77
	v_add_u32_e32 v12, v14, v79
	;; [unrolled: 1-line block ×3, first 2 shown]
	v_mad_i64_i32 v[10:11], s[0:1], v10, 36, v[30:31]
	v_mad_i64_i32 v[12:13], s[0:1], v12, 36, v[30:31]
	;; [unrolled: 1-line block ×3, first 2 shown]
	global_load_dword v124, v[0:1], off offset:4
	s_nop 0
	global_load_dword v2, v[2:3], off offset:4
	s_nop 0
	global_load_dword v3, v[4:5], off offset:4
	s_nop 0
	global_load_dword v4, v[6:7], off offset:4
	global_load_dword v5, v[8:9], off offset:4
	s_nop 0
	global_load_dword v6, v[10:11], off offset:4
	global_load_dword v7, v[12:13], off offset:4
	;; [unrolled: 1-line block ×3, first 2 shown]
	v_add_u32_e32 v169, s16, v28
	v_mad_u64_u32 v[0:1], s[0:1], v169, 36, s[2:3]
	global_load_dword v0, v[0:1], off
	v_add_u32_e32 v1, 0x420, v25
	s_mov_b64 s[0:1], -1
	s_mov_b32 s18, 0
	s_waitcnt vmcnt(29)
	ds_write_b32 v25, v102
	s_waitcnt vmcnt(28)
	ds_write_b32 v1, v103
	v_add_u32_e32 v1, 0x840, v25
	s_waitcnt vmcnt(27)
	ds_write_b32 v1, v104
	v_add_u32_e32 v1, 0xc60, v25
	;; [unrolled: 3-line block ×12, first 2 shown]
	s_waitcnt vmcnt(16)
	ds_write_b32 v1, v113
	s_waitcnt vmcnt(15)
	ds_write_b32 v27, v98
	s_waitcnt vmcnt(14)
	ds_write_b32 v39, v99
	s_waitcnt vmcnt(13)
	ds_write_b32 v43, v114
	s_waitcnt vmcnt(12)
	v_ashrrev_i32_e32 v1, v45, v116
	v_and_b32_e32 v1, 0xf0f0f0f, v1
	s_waitcnt vmcnt(11)
	v_ashrrev_i32_e32 v9, v47, v118
	v_and_or_b32 v1, v9, s15, v1
	ds_write_b32 v49, v1
	s_waitcnt vmcnt(10)
	v_ashrrev_i32_e32 v1, v45, v120
	v_and_b32_e32 v1, 0xf0f0f0f, v1
	s_waitcnt vmcnt(9)
	v_ashrrev_i32_e32 v9, v47, v122
	v_and_or_b32 v1, v9, s15, v1
	ds_write_b32 v53, v1
	s_waitcnt vmcnt(8)
	ds_write_b32 v156, v124
	s_waitcnt vmcnt(7)
	;; [unrolled: 2-line block ×9, first 2 shown]
	ds_write_b32 v29, v0
	s_waitcnt lgkmcnt(0)
	s_barrier
	ds_read_b32 v0, v117
	ds_read_b32 v1, v121 offset:128
	ds_read_b32 v2, v123 offset:256
	;; [unrolled: 1-line block ×3, first 2 shown]
	s_waitcnt lgkmcnt(3)
	v_cvt_f32_f16_e32 v98, v0
	v_cvt_f32_f16_sdwa v100, v0 dst_sel:DWORD dst_unused:UNUSED_PAD src0_sel:WORD_1
	s_waitcnt lgkmcnt(2)
	v_cvt_f32_f16_e32 v102, v1
	v_cvt_f32_f16_sdwa v104, v1 dst_sel:DWORD dst_unused:UNUSED_PAD src0_sel:WORD_1
	s_waitcnt lgkmcnt(1)
	v_cvt_f32_f16_e32 v106, v2
	v_cvt_f32_f16_sdwa v108, v2 dst_sel:DWORD dst_unused:UNUSED_PAD src0_sel:WORD_1
	s_waitcnt lgkmcnt(0)
	v_cvt_f32_f16_e32 v110, v3
	v_cvt_f32_f16_sdwa v112, v3 dst_sel:DWORD dst_unused:UNUSED_PAD src0_sel:WORD_1
	v_mov_b32_e32 v99, v98
	v_mov_b32_e32 v101, v100
	;; [unrolled: 1-line block ×8, first 2 shown]
.LBB151_6:                              ;   Parent Loop BB151_5 Depth=1
                                        ; =>  This Inner Loop Header: Depth=2
	s_lshl_b32 s17, s18, 1
	s_lshr_b32 s19, s18, 2
	v_or_b32_e32 v0, s17, v41
	s_lshl_b32 s18, s18, 2
	v_lshlrev_b32_e32 v1, 2, v0
	v_add_u32_e32 v116, s18, v145
	s_addk_i32 s19, 0x6200
	v_lshrrev_b32_e32 v114, 1, v0
	ds_read_b128 v[12:15], v1 offset:16896
	ds_read_b128 v[8:11], v1 offset:16912
	;; [unrolled: 1-line block ×4, first 2 shown]
	ds_read_b64 v[130:131], v114 offset:27200
	ds_read2_b32 v[132:133], v116 offset1:1
	ds_read2_b32 v[134:135], v116 offset0:2 offset1:3
	ds_read2_b32 v[136:137], v116 offset0:4 offset1:5
	;; [unrolled: 1-line block ×3, first 2 shown]
	v_add3_u32 v114, s19, v168, v164
	ds_read_u16 v116, v114
	ds_read_u16 v114, v114 offset:8
	s_waitcnt lgkmcnt(5)
	v_lshrrev_b32_e32 v120, 4, v132
	v_and_b32_e32 v191, 0xf0f0f0f, v120
	v_lshrrev_b32_e32 v120, 4, v133
	s_waitcnt lgkmcnt(1)
	v_and_b32_e32 v183, 0xff, v116
	v_lshrrev_b16_e32 v192, 8, v116
	v_add_u32_e32 v116, s18, v146
	v_and_b32_e32 v182, 0xf0f0f0f, v132
	v_and_b32_e32 v184, 0xf0f0f0f, v133
	;; [unrolled: 1-line block ×3, first 2 shown]
	v_lshrrev_b32_e32 v120, 4, v134
	ds_read2_b32 v[132:133], v116 offset1:1
	v_and_b32_e32 v194, 0xf0f0f0f, v120
	v_lshrrev_b32_e32 v120, 4, v135
	v_and_b32_e32 v185, 0xf0f0f0f, v134
	v_and_b32_e32 v186, 0xf0f0f0f, v135
	;; [unrolled: 1-line block ×3, first 2 shown]
	v_lshrrev_b32_e32 v120, 4, v136
	ds_read2_b32 v[134:135], v116 offset0:2 offset1:3
	v_and_b32_e32 v196, 0xf0f0f0f, v120
	v_lshrrev_b32_e32 v120, 4, v137
	v_and_b32_e32 v187, 0xf0f0f0f, v136
	v_and_b32_e32 v188, 0xf0f0f0f, v137
	;; [unrolled: 1-line block ×3, first 2 shown]
	v_lshrrev_b32_e32 v120, 4, v138
	ds_read2_b32 v[136:137], v116 offset0:4 offset1:5
	v_and_b32_e32 v189, 0xf0f0f0f, v138
	v_and_b32_e32 v190, 0xf0f0f0f, v139
	;; [unrolled: 1-line block ×3, first 2 shown]
	v_lshrrev_b32_e32 v120, 4, v139
	ds_read2_b32 v[138:139], v116 offset0:6 offset1:7
	s_waitcnt lgkmcnt(3)
	v_lshrrev_b32_e32 v124, 4, v132
	v_and_b32_e32 v209, 0xf0f0f0f, v124
	v_lshrrev_b32_e32 v124, 4, v133
	v_cvt_f32_ubyte0_e32 v118, v114
	v_and_b32_e32 v199, 0xf0f0f0f, v120
	v_cvt_f32_ubyte1_e32 v120, v114
	v_add3_u32 v114, s19, v155, v165
	v_and_b32_e32 v210, 0xf0f0f0f, v124
	s_waitcnt lgkmcnt(2)
	v_lshrrev_b32_e32 v124, 4, v134
	ds_read_u16 v116, v114
	ds_read_u16 v114, v114 offset:8
	v_and_b32_e32 v211, 0xf0f0f0f, v124
	v_lshrrev_b32_e32 v124, 4, v135
	v_and_b32_e32 v212, 0xf0f0f0f, v124
	s_waitcnt lgkmcnt(3)
	v_lshrrev_b32_e32 v124, 4, v136
	v_and_b32_e32 v213, 0xf0f0f0f, v124
	v_lshrrev_b32_e32 v124, 4, v137
	v_and_b32_e32 v215, 0xf0f0f0f, v124
	s_waitcnt lgkmcnt(2)
	v_lshrrev_b32_e32 v124, 4, v138
	s_waitcnt lgkmcnt(1)
	v_and_b32_e32 v203, 0xff, v116
	v_and_b32_e32 v216, 0xf0f0f0f, v124
	v_lshrrev_b32_e32 v124, 4, v139
	v_lshrrev_b16_e32 v214, 8, v116
	v_add_u32_e32 v116, s18, v147
	v_and_b32_e32 v180, 0xf0f0f0f, v132
	v_and_b32_e32 v201, 0xf0f0f0f, v133
	s_waitcnt lgkmcnt(0)
	v_cvt_f32_ubyte0_e32 v122, v114
	v_and_b32_e32 v217, 0xf0f0f0f, v124
	v_cvt_f32_ubyte1_e32 v124, v114
	v_add3_u32 v114, s19, v154, v166
	ds_read2_b32 v[132:133], v116 offset1:1
	v_and_b32_e32 v202, 0xf0f0f0f, v134
	v_and_b32_e32 v204, 0xf0f0f0f, v135
	;; [unrolled: 1-line block ×6, first 2 shown]
	ds_read2_b32 v[134:135], v116 offset0:2 offset1:3
	ds_read2_b32 v[136:137], v116 offset0:4 offset1:5
	;; [unrolled: 1-line block ×3, first 2 shown]
	ds_read_u16 v116, v114
	ds_read_u16 v114, v114 offset:8
	s_waitcnt lgkmcnt(5)
	v_lshrrev_b32_e32 v128, 4, v132
	v_and_b32_e32 v181, 0xf0f0f0f, v132
	v_and_b32_e32 v218, 0xf0f0f0f, v133
	s_waitcnt lgkmcnt(1)
	v_and_b32_e32 v220, 0xff, v116
	v_lshrrev_b16_e32 v231, 8, v116
	v_add_u32_e32 v116, s18, v148
	v_and_b32_e32 v226, 0xf0f0f0f, v128
	v_lshrrev_b32_e32 v128, 4, v133
	ds_read2_b32 v[132:133], v116 offset1:1
	v_mov_b32_e32 v242, 0
	v_mov_b32_e32 v244, 0
	v_mov_b32_e32 v246, 0
	v_mov_b32_e32 v248, 0
	s_waitcnt lgkmcnt(0)
	v_and_b32_e32 v200, 0xf0f0f0f, v132
	v_dot4c_i32_i8_e32 v242, v182, v12
	v_dot4c_i32_i8_e32 v244, v180, v12
	;; [unrolled: 1-line block ×4, first 2 shown]
	v_and_b32_e32 v238, 0xf0f0f0f, v133
	v_dot4c_i32_i8_e32 v242, v184, v13
	v_dot4c_i32_i8_e32 v244, v201, v13
	;; [unrolled: 1-line block ×4, first 2 shown]
	ds_read2_b32 v[12:13], v116 offset0:2 offset1:3
	v_and_b32_e32 v219, 0xf0f0f0f, v134
	v_dot4c_i32_i8_e32 v242, v185, v14
	v_dot4c_i32_i8_e32 v244, v202, v14
	;; [unrolled: 1-line block ×3, first 2 shown]
	s_waitcnt lgkmcnt(0)
	v_and_b32_e32 v236, 0xf0f0f0f, v12
	v_and_b32_e32 v221, 0xf0f0f0f, v135
	v_dot4c_i32_i8_e32 v248, v236, v14
	v_and_b32_e32 v235, 0xf0f0f0f, v13
	v_dot4c_i32_i8_e32 v242, v186, v15
	v_dot4c_i32_i8_e32 v244, v204, v15
	v_dot4c_i32_i8_e32 v246, v221, v15
	v_dot4c_i32_i8_e32 v248, v235, v15
	ds_read2_b32 v[14:15], v116 offset0:4 offset1:5
	v_and_b32_e32 v222, 0xf0f0f0f, v136
	v_dot4c_i32_i8_e32 v242, v187, v8
	v_dot4c_i32_i8_e32 v244, v205, v8
	v_dot4c_i32_i8_e32 v246, v222, v8
	s_waitcnt lgkmcnt(0)
	v_and_b32_e32 v237, 0xf0f0f0f, v14
	v_and_b32_e32 v223, 0xf0f0f0f, v137
	v_dot4c_i32_i8_e32 v248, v237, v8
	v_and_b32_e32 v239, 0xf0f0f0f, v15
	v_dot4c_i32_i8_e32 v242, v188, v9
	v_dot4c_i32_i8_e32 v244, v206, v9
	;; [unrolled: 1-line block ×3, first 2 shown]
	v_and_b32_e32 v227, 0xf0f0f0f, v128
	v_lshrrev_b32_e32 v128, 4, v134
	v_dot4c_i32_i8_e32 v248, v239, v9
	ds_read2_b32 v[8:9], v116 offset0:6 offset1:7
	v_and_b32_e32 v228, 0xf0f0f0f, v128
	v_lshrrev_b32_e32 v128, 4, v135
	v_and_b32_e32 v229, 0xf0f0f0f, v128
	v_lshrrev_b32_e32 v128, 4, v136
	;; [unrolled: 2-line block ×4, first 2 shown]
	v_and_b32_e32 v224, 0xf0f0f0f, v138
	v_and_b32_e32 v233, 0xf0f0f0f, v128
	v_lshrrev_b32_e32 v128, 4, v139
	s_waitcnt lgkmcnt(0)
	v_and_b32_e32 v240, 0xf0f0f0f, v8
	v_dot4c_i32_i8_e32 v242, v189, v10
	v_dot4c_i32_i8_e32 v244, v207, v10
	;; [unrolled: 1-line block ×3, first 2 shown]
	v_and_b32_e32 v225, 0xf0f0f0f, v139
	v_cvt_f32_ubyte0_e32 v126, v114
	v_and_b32_e32 v234, 0xf0f0f0f, v128
	v_cvt_f32_ubyte1_e32 v128, v114
	v_add3_u32 v114, s19, v153, v167
	v_dot4c_i32_i8_e32 v248, v240, v10
	v_and_b32_e32 v241, 0xf0f0f0f, v9
	v_dot4c_i32_i8_e32 v242, v190, v11
	v_dot4c_i32_i8_e32 v244, v208, v11
	;; [unrolled: 1-line block ×4, first 2 shown]
	ds_read_u16 v10, v114
	ds_read_u16 v11, v114 offset:8
	v_lshrrev_b32_e32 v114, 4, v132
	v_mov_b32_e32 v243, 0
	v_mov_b32_e32 v245, 0
	;; [unrolled: 1-line block ×3, first 2 shown]
	v_and_b32_e32 v179, 0xf0f0f0f, v114
	v_mov_b32_e32 v249, 0
	v_dot4c_i32_i8_e32 v243, v191, v4
	v_dot4c_i32_i8_e32 v245, v209, v4
	;; [unrolled: 1-line block ×4, first 2 shown]
	v_lshrrev_b32_e32 v4, 4, v133
	v_and_b32_e32 v178, 0xf0f0f0f, v4
	v_lshrrev_b32_e32 v4, 4, v12
	v_dot4c_i32_i8_e32 v243, v193, v5
	v_dot4c_i32_i8_e32 v245, v210, v5
	v_dot4c_i32_i8_e32 v247, v227, v5
	v_dot4c_i32_i8_e32 v249, v178, v5
	v_and_b32_e32 v177, 0xf0f0f0f, v4
	v_lshrrev_b32_e32 v4, 4, v13
	v_dot4c_i32_i8_e32 v243, v194, v6
	v_dot4c_i32_i8_e32 v245, v211, v6
	v_dot4c_i32_i8_e32 v247, v228, v6
	v_dot4c_i32_i8_e32 v249, v177, v6
	;; [unrolled: 6-line block ×3, first 2 shown]
	v_and_b32_e32 v175, 0xf0f0f0f, v4
	v_dot4c_i32_i8_e32 v243, v196, v0
	v_dot4c_i32_i8_e32 v245, v213, v0
	;; [unrolled: 1-line block ×4, first 2 shown]
	v_lshrrev_b32_e32 v0, 4, v15
	v_and_b32_e32 v174, 0xf0f0f0f, v0
	v_lshrrev_b32_e32 v0, 4, v8
	v_and_b32_e32 v173, 0xf0f0f0f, v0
	v_lshrrev_b32_e32 v0, 4, v9
	v_dot4c_i32_i8_e32 v243, v197, v1
	v_dot4c_i32_i8_e32 v245, v215, v1
	;; [unrolled: 1-line block ×4, first 2 shown]
	v_and_b32_e32 v172, 0xf0f0f0f, v0
	v_or_b32_e32 v0, s17, v127
	v_dot4c_i32_i8_e32 v243, v198, v2
	v_dot4c_i32_i8_e32 v245, v216, v2
	v_dot4c_i32_i8_e32 v247, v233, v2
	v_dot4c_i32_i8_e32 v249, v173, v2
	v_lshlrev_b32_e32 v1, 2, v0
	v_dot4c_i32_i8_e32 v243, v199, v3
	v_dot4c_i32_i8_e32 v245, v217, v3
	;; [unrolled: 1-line block ×3, first 2 shown]
	s_waitcnt lgkmcnt(1)
	v_and_b32_e32 v171, 0xff, v10
	s_waitcnt lgkmcnt(0)
	v_cvt_f32_ubyte0_e32 v116, v11
	v_dot4c_i32_i8_e32 v249, v172, v3
	v_lshrrev_b16_e32 v170, 8, v10
	v_cvt_f32_ubyte1_e32 v114, v11
	v_lshrrev_b32_e32 v132, 1, v0
	ds_read_b128 v[12:15], v1 offset:16896
	ds_read_b128 v[8:11], v1 offset:16912
	;; [unrolled: 1-line block ×4, first 2 shown]
	ds_read_b64 v[134:135], v132 offset:27200
	v_mov_b32_e32 v250, 0
	s_waitcnt lgkmcnt(4)
	v_dot4c_i32_i8_e32 v250, v182, v12
	v_mov_b32_e32 v252, 0
	v_dot4c_i32_i8_e32 v250, v184, v13
	s_waitcnt lgkmcnt(2)
	v_dot4c_i32_i8_e32 v252, v191, v4
	v_dot4c_i32_i8_e32 v250, v185, v14
	;; [unrolled: 1-line block ×8, first 2 shown]
	s_waitcnt lgkmcnt(1)
	v_dot4c_i32_i8_e32 v252, v196, v0
	v_dot4c_i32_i8_e32 v250, v189, v10
	;; [unrolled: 1-line block ×6, first 2 shown]
	s_waitcnt lgkmcnt(0)
	v_cvt_f32_f16_e32 v137, v134
	v_cvt_f32_f16_e32 v136, v130
	v_cvt_f32_f16_sdwa v139, v134 dst_sel:DWORD dst_unused:UNUSED_PAD src0_sel:WORD_1
	v_cvt_f32_f16_sdwa v138, v130 dst_sel:DWORD dst_unused:UNUSED_PAD src0_sel:WORD_1
	v_cvt_f32_f16_e32 v132, v131
	v_cvt_f32_f16_sdwa v134, v131 dst_sel:DWORD dst_unused:UNUSED_PAD src0_sel:WORD_1
	v_mul_lo_u32 v130, v242, v183
	v_mul_lo_u32 v131, v250, v183
	v_cvt_f32_i32_e32 v131, v131
	v_cvt_f32_i32_e32 v130, v130
	v_mul_lo_u32 v242, v243, v192
	v_mul_lo_u32 v243, v252, v192
	v_cvt_f32_f16_e32 v133, v135
	v_cvt_f32_f16_sdwa v135, v135 dst_sel:DWORD dst_unused:UNUSED_PAD src0_sel:WORD_1
	v_cvt_f32_i32_e32 v243, v243
	v_cvt_f32_i32_e32 v242, v242
	v_pk_fma_f32 v[130:131], v[136:137], v[130:131], 0 op_sel_hi:[1,1,0]
	v_pk_fma_f32 v[250:251], v[118:119], v[138:139], 0 op_sel_hi:[0,1,0]
	v_mov_b32_e32 v252, 0
	v_pk_fma_f32 v[130:131], v[132:133], v[242:243], v[130:131]
	v_pk_fma_f32 v[242:243], v[120:121], v[134:135], v[250:251] op_sel_hi:[0,1,1]
	v_pk_mul_f32 v[242:243], v[242:243], v[100:101]
	v_mov_b32_e32 v250, 0
	v_pk_fma_f32 v[130:131], v[130:131], v[98:99], v[242:243] neg_lo:[0,0,1] neg_hi:[0,0,1]
	v_dot4c_i32_i8_e32 v250, v209, v4
	v_pk_add_f32 v[32:33], v[32:33], v[130:131]
	v_mov_b32_e32 v130, 0
	v_dot4c_i32_i8_e32 v130, v180, v12
	v_dot4c_i32_i8_e32 v130, v201, v13
	;; [unrolled: 1-line block ×15, first 2 shown]
	v_mul_lo_u32 v242, v244, v203
	v_mul_lo_u32 v130, v130, v203
	v_cvt_f32_i32_e32 v131, v130
	v_cvt_f32_i32_e32 v130, v242
	v_mul_lo_u32 v244, v245, v214
	v_mul_lo_u32 v245, v250, v214
	v_cvt_f32_i32_e32 v245, v245
	v_cvt_f32_i32_e32 v244, v244
	v_pk_fma_f32 v[242:243], v[122:123], v[138:139], 0 op_sel_hi:[0,1,0]
	v_pk_fma_f32 v[130:131], v[136:137], v[130:131], 0 op_sel_hi:[1,1,0]
	;; [unrolled: 1-line block ×3, first 2 shown]
	v_pk_fma_f32 v[130:131], v[132:133], v[244:245], v[130:131]
	v_pk_mul_f32 v[242:243], v[242:243], v[104:105]
	v_mov_b32_e32 v244, 0
	v_pk_fma_f32 v[130:131], v[130:131], v[102:103], v[242:243] neg_lo:[0,0,1] neg_hi:[0,0,1]
	v_dot4c_i32_i8_e32 v244, v226, v4
	v_pk_add_f32 v[86:87], v[86:87], v[130:131]
	v_mov_b32_e32 v130, 0
	v_dot4c_i32_i8_e32 v130, v181, v12
	v_dot4c_i32_i8_e32 v130, v218, v13
	;; [unrolled: 1-line block ×15, first 2 shown]
	v_mul_lo_u32 v242, v246, v220
	v_mul_lo_u32 v130, v130, v220
	v_cvt_f32_i32_e32 v131, v130
	v_cvt_f32_i32_e32 v130, v242
	v_mul_lo_u32 v246, v247, v231
	v_mul_lo_u32 v244, v244, v231
	v_cvt_f32_i32_e32 v245, v244
	v_cvt_f32_i32_e32 v244, v246
	v_pk_fma_f32 v[242:243], v[126:127], v[138:139], 0 op_sel_hi:[0,1,0]
	v_pk_fma_f32 v[130:131], v[136:137], v[130:131], 0 op_sel_hi:[1,1,0]
	v_pk_fma_f32 v[242:243], v[128:129], v[134:135], v[242:243] op_sel_hi:[0,1,1]
	v_pk_fma_f32 v[130:131], v[132:133], v[244:245], v[130:131]
	v_pk_mul_f32 v[242:243], v[242:243], v[108:109]
	v_mov_b32_e32 v250, 0
	v_pk_fma_f32 v[130:131], v[130:131], v[106:107], v[242:243] neg_lo:[0,0,1] neg_hi:[0,0,1]
	v_mov_b32_e32 v246, 0
	v_pk_add_f32 v[92:93], v[92:93], v[130:131]
	v_mov_b32_e32 v130, 0
	v_dot4c_i32_i8_e32 v130, v200, v12
	v_dot4c_i32_i8_e32 v130, v238, v13
	;; [unrolled: 1-line block ×5, first 2 shown]
	v_mov_b32_e32 v8, 0
	v_dot4c_i32_i8_e32 v8, v179, v4
	v_dot4c_i32_i8_e32 v8, v178, v5
	;; [unrolled: 1-line block ×11, first 2 shown]
	v_mul_lo_u32 v0, v248, v171
	v_mul_lo_u32 v1, v130, v171
	v_cvt_f32_i32_e32 v1, v1
	v_cvt_f32_i32_e32 v0, v0
	v_mul_lo_u32 v4, v249, v170
	v_mul_lo_u32 v5, v8, v170
	v_cvt_f32_i32_e32 v5, v5
	v_cvt_f32_i32_e32 v4, v4
	v_pk_fma_f32 v[2:3], v[116:117], v[138:139], 0 op_sel_hi:[0,1,0]
	v_pk_fma_f32 v[0:1], v[136:137], v[0:1], 0 op_sel_hi:[1,1,0]
	v_pk_fma_f32 v[2:3], v[114:115], v[134:135], v[2:3] op_sel_hi:[0,1,1]
	v_pk_fma_f32 v[0:1], v[132:133], v[4:5], v[0:1]
	v_pk_mul_f32 v[2:3], v[2:3], v[112:113]
	v_mov_b32_e32 v248, 0
	v_pk_fma_f32 v[0:1], v[0:1], v[110:111], v[2:3] neg_lo:[0,0,1] neg_hi:[0,0,1]
	v_mov_b32_e32 v247, 0
	v_pk_add_f32 v[96:97], v[96:97], v[0:1]
	v_or_b32_e32 v0, s17, v129
	v_lshlrev_b32_e32 v1, 2, v0
	v_lshrrev_b32_e32 v130, 1, v0
	ds_read_b128 v[12:15], v1 offset:16896
	ds_read_b128 v[8:11], v1 offset:16912
	;; [unrolled: 1-line block ×4, first 2 shown]
	ds_read_b64 v[130:131], v130 offset:27200
	v_mov_b32_e32 v244, 0
	v_mov_b32_e32 v245, 0
	;; [unrolled: 1-line block ×4, first 2 shown]
	s_waitcnt lgkmcnt(4)
	v_dot4c_i32_i8_e32 v248, v182, v12
	s_waitcnt lgkmcnt(2)
	v_dot4c_i32_i8_e32 v250, v191, v4
	v_dot4c_i32_i8_e32 v246, v180, v12
	;; [unrolled: 1-line block ×32, first 2 shown]
	s_waitcnt lgkmcnt(1)
	v_dot4c_i32_i8_e32 v250, v196, v0
	v_dot4c_i32_i8_e32 v246, v205, v8
	;; [unrolled: 1-line block ×15, first 2 shown]
	v_or_b32_e32 v0, s17, v140
	v_dot4c_i32_i8_e32 v248, v189, v10
	v_dot4c_i32_i8_e32 v250, v198, v2
	;; [unrolled: 1-line block ×8, first 2 shown]
	v_lshlrev_b32_e32 v1, 2, v0
	v_dot4c_i32_i8_e32 v248, v190, v11
	v_dot4c_i32_i8_e32 v250, v199, v3
	;; [unrolled: 1-line block ×8, first 2 shown]
	v_lshrrev_b32_e32 v132, 1, v0
	ds_read_b128 v[12:15], v1 offset:16896
	ds_read_b128 v[8:11], v1 offset:16912
	;; [unrolled: 1-line block ×4, first 2 shown]
	ds_read_b64 v[134:135], v132 offset:27200
	v_mov_b32_e32 v249, 0
	s_waitcnt lgkmcnt(4)
	v_dot4c_i32_i8_e32 v249, v182, v12
	v_mov_b32_e32 v251, 0
	v_dot4c_i32_i8_e32 v249, v184, v13
	s_waitcnt lgkmcnt(2)
	v_dot4c_i32_i8_e32 v251, v191, v4
	v_dot4c_i32_i8_e32 v249, v185, v14
	;; [unrolled: 1-line block ×8, first 2 shown]
	s_waitcnt lgkmcnt(1)
	v_dot4c_i32_i8_e32 v251, v196, v0
	v_dot4c_i32_i8_e32 v249, v189, v10
	;; [unrolled: 1-line block ×6, first 2 shown]
	s_waitcnt lgkmcnt(0)
	v_cvt_f32_f16_e32 v137, v134
	v_cvt_f32_f16_e32 v136, v130
	v_cvt_f32_f16_sdwa v139, v134 dst_sel:DWORD dst_unused:UNUSED_PAD src0_sel:WORD_1
	v_cvt_f32_f16_sdwa v138, v130 dst_sel:DWORD dst_unused:UNUSED_PAD src0_sel:WORD_1
	v_cvt_f32_f16_e32 v132, v131
	v_cvt_f32_f16_sdwa v134, v131 dst_sel:DWORD dst_unused:UNUSED_PAD src0_sel:WORD_1
	v_mul_lo_u32 v130, v248, v183
	v_mul_lo_u32 v131, v249, v183
	v_cvt_f32_f16_e32 v133, v135
	v_cvt_f32_f16_sdwa v135, v135 dst_sel:DWORD dst_unused:UNUSED_PAD src0_sel:WORD_1
	v_cvt_f32_i32_e32 v131, v131
	v_cvt_f32_i32_e32 v130, v130
	v_mul_lo_u32 v250, v250, v192
	v_mul_lo_u32 v251, v251, v192
	v_cvt_f32_i32_e32 v251, v251
	v_cvt_f32_i32_e32 v250, v250
	v_pk_fma_f32 v[248:249], v[118:119], v[138:139], 0 op_sel_hi:[0,1,0]
	v_pk_fma_f32 v[130:131], v[130:131], v[136:137], 0 op_sel_hi:[1,1,0]
	;; [unrolled: 1-line block ×3, first 2 shown]
	v_pk_fma_f32 v[130:131], v[250:251], v[132:133], v[130:131]
	v_pk_mul_f32 v[248:249], v[248:249], v[100:101]
	v_mov_b32_e32 v250, 0
	v_pk_fma_f32 v[130:131], v[130:131], v[98:99], v[248:249] neg_lo:[0,0,1] neg_hi:[0,0,1]
	v_dot4c_i32_i8_e32 v250, v209, v4
	v_pk_add_f32 v[68:69], v[68:69], v[130:131]
	v_mov_b32_e32 v130, 0
	v_dot4c_i32_i8_e32 v130, v180, v12
	v_dot4c_i32_i8_e32 v130, v201, v13
	;; [unrolled: 1-line block ×15, first 2 shown]
	v_mul_lo_u32 v246, v246, v203
	v_mul_lo_u32 v130, v130, v203
	v_cvt_f32_i32_e32 v131, v130
	v_cvt_f32_i32_e32 v130, v246
	v_mul_lo_u32 v246, v247, v214
	v_mul_lo_u32 v247, v250, v214
	v_cvt_f32_i32_e32 v247, v247
	v_cvt_f32_i32_e32 v246, v246
	v_pk_fma_f32 v[130:131], v[130:131], v[136:137], 0 op_sel_hi:[1,1,0]
	v_pk_fma_f32 v[248:249], v[122:123], v[138:139], 0 op_sel_hi:[0,1,0]
	v_mul_lo_u32 v244, v244, v220
	v_pk_fma_f32 v[130:131], v[246:247], v[132:133], v[130:131]
	v_pk_fma_f32 v[246:247], v[124:125], v[134:135], v[248:249] op_sel_hi:[0,1,1]
	v_pk_mul_f32 v[246:247], v[246:247], v[104:105]
	v_mov_b32_e32 v248, 0
	v_pk_fma_f32 v[130:131], v[130:131], v[102:103], v[246:247] neg_lo:[0,0,1] neg_hi:[0,0,1]
	v_dot4c_i32_i8_e32 v248, v226, v4
	v_pk_add_f32 v[80:81], v[80:81], v[130:131]
	v_mov_b32_e32 v130, 0
	v_dot4c_i32_i8_e32 v130, v181, v12
	v_dot4c_i32_i8_e32 v130, v218, v13
	;; [unrolled: 1-line block ×15, first 2 shown]
	v_pk_fma_f32 v[246:247], v[126:127], v[138:139], 0 op_sel_hi:[0,1,0]
	v_mul_lo_u32 v130, v130, v220
	v_cvt_f32_i32_e32 v131, v130
	v_cvt_f32_i32_e32 v130, v244
	v_mul_lo_u32 v244, v245, v231
	v_mul_lo_u32 v245, v248, v231
	v_cvt_f32_i32_e32 v245, v245
	v_cvt_f32_i32_e32 v244, v244
	v_pk_fma_f32 v[130:131], v[130:131], v[136:137], 0 op_sel_hi:[1,1,0]
	v_mov_b32_e32 v248, 0
	v_mov_b32_e32 v249, 0
	v_pk_fma_f32 v[130:131], v[244:245], v[132:133], v[130:131]
	v_pk_fma_f32 v[244:245], v[128:129], v[134:135], v[246:247] op_sel_hi:[0,1,1]
	v_pk_mul_f32 v[244:245], v[244:245], v[108:109]
	v_mov_b32_e32 v247, 0
	v_pk_fma_f32 v[130:131], v[130:131], v[106:107], v[244:245] neg_lo:[0,0,1] neg_hi:[0,0,1]
	v_mov_b32_e32 v244, 0
	v_pk_add_f32 v[88:89], v[88:89], v[130:131]
	v_mov_b32_e32 v130, 0
	v_dot4c_i32_i8_e32 v130, v200, v12
	v_dot4c_i32_i8_e32 v130, v238, v13
	;; [unrolled: 1-line block ×5, first 2 shown]
	v_mov_b32_e32 v8, 0
	v_dot4c_i32_i8_e32 v8, v179, v4
	v_dot4c_i32_i8_e32 v8, v178, v5
	;; [unrolled: 1-line block ×11, first 2 shown]
	v_mul_lo_u32 v0, v242, v171
	v_mul_lo_u32 v1, v130, v171
	v_cvt_f32_i32_e32 v1, v1
	v_cvt_f32_i32_e32 v0, v0
	v_mul_lo_u32 v4, v243, v170
	v_mul_lo_u32 v5, v8, v170
	v_cvt_f32_i32_e32 v5, v5
	v_cvt_f32_i32_e32 v4, v4
	v_pk_fma_f32 v[2:3], v[116:117], v[138:139], 0 op_sel_hi:[0,1,0]
	v_pk_fma_f32 v[0:1], v[0:1], v[136:137], 0 op_sel_hi:[1,1,0]
	;; [unrolled: 1-line block ×3, first 2 shown]
	v_pk_fma_f32 v[0:1], v[4:5], v[132:133], v[0:1]
	v_pk_mul_f32 v[2:3], v[2:3], v[112:113]
	v_mov_b32_e32 v245, 0
	v_pk_fma_f32 v[0:1], v[0:1], v[110:111], v[2:3] neg_lo:[0,0,1] neg_hi:[0,0,1]
	v_mov_b32_e32 v246, 0
	v_pk_add_f32 v[94:95], v[94:95], v[0:1]
	v_or_b32_e32 v0, s17, v141
	v_lshlrev_b32_e32 v1, 2, v0
	v_lshrrev_b32_e32 v130, 1, v0
	ds_read_b128 v[12:15], v1 offset:16896
	ds_read_b128 v[8:11], v1 offset:16912
	;; [unrolled: 1-line block ×4, first 2 shown]
	ds_read_b64 v[130:131], v130 offset:27200
	v_mov_b32_e32 v242, 0
	v_mov_b32_e32 v243, 0
	s_waitcnt lgkmcnt(4)
	v_dot4c_i32_i8_e32 v244, v182, v12
	s_waitcnt lgkmcnt(2)
	v_dot4c_i32_i8_e32 v247, v191, v4
	v_dot4c_i32_i8_e32 v248, v180, v12
	;; [unrolled: 1-line block ×32, first 2 shown]
	s_waitcnt lgkmcnt(1)
	v_dot4c_i32_i8_e32 v247, v196, v0
	v_dot4c_i32_i8_e32 v248, v205, v8
	;; [unrolled: 1-line block ×15, first 2 shown]
	v_or_b32_e32 v0, s17, v142
	v_dot4c_i32_i8_e32 v244, v189, v10
	v_dot4c_i32_i8_e32 v247, v198, v2
	;; [unrolled: 1-line block ×8, first 2 shown]
	v_lshlrev_b32_e32 v1, 2, v0
	v_dot4c_i32_i8_e32 v244, v190, v11
	v_dot4c_i32_i8_e32 v247, v199, v3
	;; [unrolled: 1-line block ×8, first 2 shown]
	v_lshrrev_b32_e32 v132, 1, v0
	ds_read_b128 v[12:15], v1 offset:16896
	ds_read_b128 v[8:11], v1 offset:16912
	;; [unrolled: 1-line block ×4, first 2 shown]
	ds_read_b64 v[134:135], v132 offset:27200
	v_mov_b32_e32 v250, 0
	s_waitcnt lgkmcnt(4)
	v_dot4c_i32_i8_e32 v250, v182, v12
	v_dot4c_i32_i8_e32 v250, v184, v13
	s_waitcnt lgkmcnt(2)
	v_dot4c_i32_i8_e32 v252, v191, v4
	v_dot4c_i32_i8_e32 v250, v185, v14
	v_dot4c_i32_i8_e32 v252, v193, v5
	v_dot4c_i32_i8_e32 v250, v186, v15
	v_dot4c_i32_i8_e32 v252, v194, v6
	v_dot4c_i32_i8_e32 v250, v187, v8
	v_dot4c_i32_i8_e32 v252, v195, v7
	v_dot4c_i32_i8_e32 v250, v188, v9
	s_waitcnt lgkmcnt(1)
	v_dot4c_i32_i8_e32 v252, v196, v0
	v_dot4c_i32_i8_e32 v250, v189, v10
	;; [unrolled: 1-line block ×6, first 2 shown]
	s_waitcnt lgkmcnt(0)
	v_cvt_f32_f16_e32 v137, v134
	v_cvt_f32_f16_e32 v136, v130
	v_cvt_f32_f16_sdwa v139, v134 dst_sel:DWORD dst_unused:UNUSED_PAD src0_sel:WORD_1
	v_cvt_f32_f16_sdwa v138, v130 dst_sel:DWORD dst_unused:UNUSED_PAD src0_sel:WORD_1
	v_cvt_f32_f16_e32 v132, v131
	v_cvt_f32_f16_sdwa v134, v131 dst_sel:DWORD dst_unused:UNUSED_PAD src0_sel:WORD_1
	v_mul_lo_u32 v130, v244, v183
	v_mul_lo_u32 v131, v250, v183
	v_cvt_f32_f16_e32 v133, v135
	v_cvt_f32_f16_sdwa v135, v135 dst_sel:DWORD dst_unused:UNUSED_PAD src0_sel:WORD_1
	v_cvt_f32_i32_e32 v131, v131
	v_cvt_f32_i32_e32 v130, v130
	v_mul_lo_u32 v244, v247, v192
	v_mul_lo_u32 v247, v252, v192
	v_cvt_f32_i32_e32 v253, v247
	v_cvt_f32_i32_e32 v252, v244
	v_pk_fma_f32 v[250:251], v[118:119], v[138:139], 0 op_sel_hi:[0,1,0]
	v_pk_fma_f32 v[130:131], v[130:131], v[136:137], 0 op_sel_hi:[1,1,0]
	;; [unrolled: 1-line block ×3, first 2 shown]
	v_pk_fma_f32 v[130:131], v[252:253], v[132:133], v[130:131]
	v_pk_mul_f32 v[250:251], v[250:251], v[100:101]
	v_mov_b32_e32 v244, 0
	v_pk_fma_f32 v[130:131], v[130:131], v[98:99], v[250:251] neg_lo:[0,0,1] neg_hi:[0,0,1]
	v_dot4c_i32_i8_e32 v244, v209, v4
	v_pk_add_f32 v[58:59], v[58:59], v[130:131]
	v_mov_b32_e32 v130, 0
	v_dot4c_i32_i8_e32 v130, v180, v12
	v_dot4c_i32_i8_e32 v130, v201, v13
	;; [unrolled: 1-line block ×15, first 2 shown]
	v_mul_lo_u32 v247, v248, v203
	v_mul_lo_u32 v130, v130, v203
	v_cvt_f32_i32_e32 v131, v130
	v_cvt_f32_i32_e32 v130, v247
	v_mul_lo_u32 v247, v249, v214
	v_mul_lo_u32 v244, v244, v214
	v_cvt_f32_i32_e32 v249, v244
	v_cvt_f32_i32_e32 v248, v247
	v_pk_fma_f32 v[130:131], v[130:131], v[136:137], 0 op_sel_hi:[1,1,0]
	v_pk_fma_f32 v[250:251], v[122:123], v[138:139], 0 op_sel_hi:[0,1,0]
	v_mov_b32_e32 v247, 0
	v_pk_fma_f32 v[130:131], v[248:249], v[132:133], v[130:131]
	v_pk_fma_f32 v[248:249], v[124:125], v[134:135], v[250:251] op_sel_hi:[0,1,1]
	v_pk_mul_f32 v[248:249], v[248:249], v[104:105]
	v_dot4c_i32_i8_e32 v247, v226, v4
	v_pk_fma_f32 v[130:131], v[130:131], v[102:103], v[248:249] neg_lo:[0,0,1] neg_hi:[0,0,1]
	v_dot4c_i32_i8_e32 v247, v227, v5
	v_pk_add_f32 v[70:71], v[70:71], v[130:131]
	v_mov_b32_e32 v130, 0
	v_dot4c_i32_i8_e32 v130, v181, v12
	v_dot4c_i32_i8_e32 v130, v218, v13
	;; [unrolled: 1-line block ×14, first 2 shown]
	v_mul_lo_u32 v244, v245, v220
	v_mul_lo_u32 v130, v130, v220
	v_cvt_f32_i32_e32 v131, v130
	v_cvt_f32_i32_e32 v130, v244
	v_mul_lo_u32 v246, v246, v231
	v_mul_lo_u32 v247, v247, v231
	v_cvt_f32_i32_e32 v247, v247
	v_cvt_f32_i32_e32 v246, v246
	v_pk_fma_f32 v[244:245], v[126:127], v[138:139], 0 op_sel_hi:[0,1,0]
	v_pk_fma_f32 v[130:131], v[130:131], v[136:137], 0 op_sel_hi:[1,1,0]
	v_pk_fma_f32 v[244:245], v[128:129], v[134:135], v[244:245] op_sel_hi:[0,1,1]
	v_pk_fma_f32 v[130:131], v[246:247], v[132:133], v[130:131]
	v_pk_mul_f32 v[244:245], v[244:245], v[108:109]
	v_mov_b32_e32 v248, 0
	v_pk_fma_f32 v[130:131], v[130:131], v[106:107], v[244:245] neg_lo:[0,0,1] neg_hi:[0,0,1]
	v_mov_b32_e32 v249, 0
	v_pk_add_f32 v[82:83], v[82:83], v[130:131]
	v_mov_b32_e32 v130, 0
	v_dot4c_i32_i8_e32 v130, v200, v12
	v_dot4c_i32_i8_e32 v130, v238, v13
	v_dot4c_i32_i8_e32 v130, v236, v14
	v_dot4c_i32_i8_e32 v130, v235, v15
	v_dot4c_i32_i8_e32 v130, v237, v8
	v_mov_b32_e32 v8, 0
	v_dot4c_i32_i8_e32 v8, v179, v4
	v_dot4c_i32_i8_e32 v8, v178, v5
	;; [unrolled: 1-line block ×11, first 2 shown]
	v_mul_lo_u32 v0, v242, v171
	v_mul_lo_u32 v1, v130, v171
	v_cvt_f32_i32_e32 v1, v1
	v_cvt_f32_i32_e32 v0, v0
	v_mul_lo_u32 v4, v243, v170
	v_mul_lo_u32 v5, v8, v170
	v_cvt_f32_i32_e32 v5, v5
	v_cvt_f32_i32_e32 v4, v4
	v_pk_fma_f32 v[2:3], v[116:117], v[138:139], 0 op_sel_hi:[0,1,0]
	v_pk_fma_f32 v[0:1], v[0:1], v[136:137], 0 op_sel_hi:[1,1,0]
	;; [unrolled: 1-line block ×3, first 2 shown]
	v_pk_fma_f32 v[0:1], v[4:5], v[132:133], v[0:1]
	v_pk_mul_f32 v[2:3], v[2:3], v[112:113]
	v_mov_b32_e32 v246, 0
	v_pk_fma_f32 v[0:1], v[0:1], v[110:111], v[2:3] neg_lo:[0,0,1] neg_hi:[0,0,1]
	v_mov_b32_e32 v247, 0
	v_pk_add_f32 v[90:91], v[90:91], v[0:1]
	v_or_b32_e32 v0, s17, v143
	v_lshlrev_b32_e32 v1, 2, v0
	v_lshrrev_b32_e32 v130, 1, v0
	ds_read_b128 v[12:15], v1 offset:16896
	ds_read_b128 v[8:11], v1 offset:16912
	;; [unrolled: 1-line block ×4, first 2 shown]
	ds_read_b64 v[138:139], v130 offset:27200
	v_mov_b32_e32 v244, 0
	v_mov_b32_e32 v245, 0
	;; [unrolled: 1-line block ×4, first 2 shown]
	s_waitcnt lgkmcnt(4)
	v_dot4c_i32_i8_e32 v248, v182, v12
	s_waitcnt lgkmcnt(2)
	v_dot4c_i32_i8_e32 v249, v191, v4
	v_dot4c_i32_i8_e32 v246, v180, v12
	;; [unrolled: 1-line block ×32, first 2 shown]
	s_waitcnt lgkmcnt(1)
	v_dot4c_i32_i8_e32 v249, v196, v0
	v_dot4c_i32_i8_e32 v246, v205, v8
	;; [unrolled: 1-line block ×15, first 2 shown]
	v_or_b32_e32 v0, s17, v144
	v_dot4c_i32_i8_e32 v248, v189, v10
	v_dot4c_i32_i8_e32 v249, v198, v2
	;; [unrolled: 1-line block ×8, first 2 shown]
	v_lshlrev_b32_e32 v1, 2, v0
	v_lshrrev_b32_e32 v130, 1, v0
	v_dot4c_i32_i8_e32 v248, v190, v11
	v_dot4c_i32_i8_e32 v249, v199, v3
	v_dot4c_i32_i8_e32 v246, v208, v11
	v_dot4c_i32_i8_e32 v247, v217, v3
	v_dot4c_i32_i8_e32 v244, v225, v11
	v_dot4c_i32_i8_e32 v245, v234, v3
	v_dot4c_i32_i8_e32 v243, v241, v11
	v_dot4c_i32_i8_e32 v242, v172, v3
	ds_read_b128 v[12:15], v1 offset:16896
	ds_read_b128 v[8:11], v1 offset:16912
	;; [unrolled: 1-line block ×4, first 2 shown]
	ds_read_b64 v[130:131], v130 offset:27200
	v_mov_b32_e32 v250, 0
	s_waitcnt lgkmcnt(4)
	v_dot4c_i32_i8_e32 v250, v182, v12
	v_dot4c_i32_i8_e32 v250, v184, v13
	v_mov_b32_e32 v184, 0
	s_waitcnt lgkmcnt(2)
	v_dot4c_i32_i8_e32 v184, v191, v4
	v_dot4c_i32_i8_e32 v184, v193, v5
	;; [unrolled: 1-line block ×7, first 2 shown]
	s_waitcnt lgkmcnt(1)
	v_dot4c_i32_i8_e32 v184, v196, v0
	s_waitcnt lgkmcnt(0)
	v_cvt_f32_f16_sdwa v135, v130 dst_sel:DWORD dst_unused:UNUSED_PAD src0_sel:WORD_1
	v_cvt_f32_f16_sdwa v134, v138 dst_sel:DWORD dst_unused:UNUSED_PAD src0_sel:WORD_1
	v_dot4c_i32_i8_e32 v250, v188, v9
	v_dot4c_i32_i8_e32 v184, v197, v1
	;; [unrolled: 1-line block ×6, first 2 shown]
	v_cvt_f32_f16_e32 v137, v130
	v_cvt_f32_f16_e32 v136, v138
	;; [unrolled: 1-line block ×3, first 2 shown]
	v_cvt_f32_f16_sdwa v130, v139 dst_sel:DWORD dst_unused:UNUSED_PAD src0_sel:WORD_1
	v_mul_lo_u32 v138, v248, v183
	v_mul_lo_u32 v139, v250, v183
	v_pk_fma_f32 v[182:183], v[118:119], v[134:135], 0 op_sel_hi:[0,1,0]
	v_mul_lo_u32 v118, v249, v192
	v_mul_lo_u32 v184, v184, v192
	v_cvt_f32_i32_e32 v185, v184
	v_cvt_f32_i32_e32 v184, v118
	v_mov_b32_e32 v118, 0
	v_cvt_f32_f16_e32 v133, v131
	v_cvt_f32_f16_sdwa v131, v131 dst_sel:DWORD dst_unused:UNUSED_PAD src0_sel:WORD_1
	v_dot4c_i32_i8_e32 v118, v180, v12
	v_dot4c_i32_i8_e32 v118, v201, v13
	v_cvt_f32_i32_e32 v139, v139
	v_cvt_f32_i32_e32 v138, v138
	v_dot4c_i32_i8_e32 v118, v202, v14
	v_dot4c_i32_i8_e32 v118, v204, v15
	v_pk_fma_f32 v[182:183], v[120:121], v[130:131], v[182:183] op_sel_hi:[0,1,1]
	v_dot4c_i32_i8_e32 v118, v205, v8
	v_mov_b32_e32 v120, 0
	v_dot4c_i32_i8_e32 v118, v206, v9
	v_dot4c_i32_i8_e32 v120, v209, v4
	v_pk_fma_f32 v[138:139], v[138:139], v[136:137], 0 op_sel_hi:[1,1,0]
	v_dot4c_i32_i8_e32 v118, v207, v10
	v_dot4c_i32_i8_e32 v120, v210, v5
	v_pk_fma_f32 v[138:139], v[184:185], v[132:133], v[138:139]
	v_pk_mul_f32 v[182:183], v[182:183], v[100:101]
	v_dot4c_i32_i8_e32 v118, v208, v11
	v_dot4c_i32_i8_e32 v120, v211, v6
	v_pk_fma_f32 v[138:139], v[138:139], v[98:99], v[182:183] neg_lo:[0,0,1] neg_hi:[0,0,1]
	v_dot4c_i32_i8_e32 v120, v212, v7
	v_mul_lo_u32 v118, v118, v203
	v_pk_add_f32 v[50:51], v[50:51], v[138:139]
	v_dot4c_i32_i8_e32 v120, v213, v0
	v_cvt_f32_i32_e32 v139, v118
	v_mul_lo_u32 v118, v247, v214
	v_dot4c_i32_i8_e32 v120, v215, v1
	v_cvt_f32_i32_e32 v184, v118
	v_mov_b32_e32 v118, 0
	v_dot4c_i32_i8_e32 v120, v216, v2
	v_dot4c_i32_i8_e32 v118, v181, v12
	;; [unrolled: 1-line block ×3, first 2 shown]
	v_mul_lo_u32 v138, v246, v203
	v_dot4c_i32_i8_e32 v118, v218, v13
	v_cvt_f32_i32_e32 v138, v138
	v_mul_lo_u32 v120, v120, v214
	v_dot4c_i32_i8_e32 v118, v219, v14
	v_cvt_f32_i32_e32 v185, v120
	v_dot4c_i32_i8_e32 v118, v221, v15
	v_dot4c_i32_i8_e32 v118, v222, v8
	v_pk_fma_f32 v[182:183], v[122:123], v[134:135], 0 op_sel_hi:[0,1,0]
	v_dot4c_i32_i8_e32 v118, v223, v9
	v_pk_fma_f32 v[138:139], v[138:139], v[136:137], 0 op_sel_hi:[1,1,0]
	v_pk_fma_f32 v[182:183], v[124:125], v[130:131], v[182:183] op_sel_hi:[0,1,1]
	v_dot4c_i32_i8_e32 v118, v224, v10
	v_pk_fma_f32 v[138:139], v[184:185], v[132:133], v[138:139]
	v_pk_mul_f32 v[182:183], v[182:183], v[104:105]
	v_dot4c_i32_i8_e32 v118, v225, v11
	v_pk_fma_f32 v[138:139], v[138:139], v[102:103], v[182:183] neg_lo:[0,0,1] neg_hi:[0,0,1]
	v_mov_b32_e32 v120, 0
	v_pk_add_f32 v[60:61], v[60:61], v[138:139]
	v_mul_lo_u32 v118, v118, v220
	v_cvt_f32_i32_e32 v139, v118
	v_mul_lo_u32 v118, v245, v231
	v_cvt_f32_i32_e32 v182, v118
	v_mov_b32_e32 v118, 0
	v_dot4c_i32_i8_e32 v118, v200, v12
	v_dot4c_i32_i8_e32 v118, v238, v13
	;; [unrolled: 1-line block ×5, first 2 shown]
	v_mov_b32_e32 v8, 0
	v_dot4c_i32_i8_e32 v120, v226, v4
	v_dot4c_i32_i8_e32 v8, v179, v4
	;; [unrolled: 1-line block ×18, first 2 shown]
	v_mul_lo_u32 v122, v244, v220
	v_dot4c_i32_i8_e32 v8, v172, v3
	v_mul_lo_u32 v0, v243, v171
	v_mul_lo_u32 v1, v118, v171
	v_cvt_f32_i32_e32 v138, v122
	v_mul_lo_u32 v120, v120, v231
	v_cvt_f32_i32_e32 v1, v1
	v_cvt_f32_i32_e32 v0, v0
	v_mul_lo_u32 v4, v242, v170
	v_mul_lo_u32 v5, v8, v170
	v_cvt_f32_i32_e32 v183, v120
	v_cvt_f32_i32_e32 v5, v5
	;; [unrolled: 1-line block ×3, first 2 shown]
	v_pk_fma_f32 v[180:181], v[126:127], v[134:135], 0 op_sel_hi:[0,1,0]
	v_pk_fma_f32 v[2:3], v[116:117], v[134:135], 0 op_sel_hi:[0,1,0]
	;; [unrolled: 1-line block ×6, first 2 shown]
	v_pk_fma_f32 v[138:139], v[182:183], v[132:133], v[138:139]
	v_pk_mul_f32 v[180:181], v[180:181], v[108:109]
	v_pk_fma_f32 v[0:1], v[4:5], v[132:133], v[0:1]
	v_pk_mul_f32 v[2:3], v[2:3], v[112:113]
	v_pk_fma_f32 v[138:139], v[138:139], v[106:107], v[180:181] neg_lo:[0,0,1] neg_hi:[0,0,1]
	v_pk_fma_f32 v[0:1], v[0:1], v[110:111], v[2:3] neg_lo:[0,0,1] neg_hi:[0,0,1]
	v_pk_add_f32 v[72:73], v[72:73], v[138:139]
	v_pk_add_f32 v[84:85], v[84:85], v[0:1]
	s_mov_b32 s18, 8
	s_and_b64 vcc, exec, s[0:1]
	s_mov_b64 s[0:1], 0
	s_cbranch_vccnz .LBB151_6
; %bb.7:                                ;   in Loop: Header=BB151_5 Depth=1
	v_add_u32_e32 v14, s16, v119
	v_add_u32_e32 v0, v14, v57
	;; [unrolled: 1-line block ×6, first 2 shown]
	v_mad_i64_i32 v[0:1], s[0:1], v0, 36, v[30:31]
	v_mad_i64_i32 v[2:3], s[0:1], v2, 36, v[30:31]
	;; [unrolled: 1-line block ×4, first 2 shown]
	v_add_u32_e32 v8, v14, v75
	v_add_u32_e32 v10, v14, v77
	;; [unrolled: 1-line block ×4, first 2 shown]
	v_mad_u64_u32 v[98:99], s[0:1], v98, 36, s[2:3]
	s_barrier
	v_mad_i64_i32 v[8:9], s[0:1], v8, 36, v[30:31]
	v_mad_i64_i32 v[10:11], s[0:1], v10, 36, v[30:31]
	;; [unrolled: 1-line block ×4, first 2 shown]
	global_load_dword v98, v[98:99], off
	s_nop 0
	global_load_dword v0, v[0:1], off offset:4
	s_nop 0
	global_load_dword v1, v[2:3], off offset:4
	;; [unrolled: 2-line block ×3, first 2 shown]
	global_load_dword v3, v[6:7], off offset:4
	s_nop 0
	global_load_dword v4, v[8:9], off offset:4
	global_load_dword v5, v[10:11], off offset:4
	;; [unrolled: 1-line block ×4, first 2 shown]
	s_mov_b32 s0, 16
	s_mov_b32 s1, 0
	v_mov_b32_e32 v138, v151
	v_mov_b32_e32 v139, v150
	;; [unrolled: 1-line block ×3, first 2 shown]
	s_mov_b32 s16, 0
	s_waitcnt vmcnt(8)
	ds_write_b32 v29, v98
	s_waitcnt vmcnt(7)
	ds_write_b32 v156, v0
	;; [unrolled: 2-line block ×9, first 2 shown]
	s_waitcnt lgkmcnt(0)
	s_barrier
	ds_read_b32 v0, v117
	ds_read_b32 v1, v121 offset:128
	ds_read_b32 v2, v123 offset:256
	;; [unrolled: 1-line block ×3, first 2 shown]
	s_waitcnt lgkmcnt(2)
	v_cvt_f32_f16_e32 v102, v1
	v_cvt_f32_f16_e32 v98, v0
	v_cvt_f32_f16_sdwa v100, v0 dst_sel:DWORD dst_unused:UNUSED_PAD src0_sel:WORD_1
	v_cvt_f32_f16_sdwa v104, v1 dst_sel:DWORD dst_unused:UNUSED_PAD src0_sel:WORD_1
	s_waitcnt lgkmcnt(1)
	v_cvt_f32_f16_e32 v106, v2
	v_cvt_f32_f16_sdwa v108, v2 dst_sel:DWORD dst_unused:UNUSED_PAD src0_sel:WORD_1
	s_waitcnt lgkmcnt(0)
	v_cvt_f32_f16_e32 v110, v3
	v_cvt_f32_f16_sdwa v112, v3 dst_sel:DWORD dst_unused:UNUSED_PAD src0_sel:WORD_1
	v_mov_b32_e32 v99, v98
	v_mov_b32_e32 v101, v100
	;; [unrolled: 1-line block ×8, first 2 shown]
.LBB151_8:                              ;   Parent Loop BB151_5 Depth=1
                                        ; =>  This Inner Loop Header: Depth=2
	ds_read_b128 v[12:15], v138
	ds_read_b128 v[8:11], v138 offset:16
	ds_read_b128 v[4:7], v138 offset:32
	;; [unrolled: 1-line block ×3, first 2 shown]
	ds_read2_b32 v[130:131], v169 offset1:1
	ds_read2_b32 v[132:133], v169 offset0:2 offset1:3
	ds_read2_b32 v[134:135], v169 offset0:4 offset1:5
	;; [unrolled: 1-line block ×3, first 2 shown]
	s_lshr_b32 s17, s0, 2
	s_and_b32 s17, s17, 0x3ffffffc
	v_add_u32_e32 v114, s1, v152
	v_add3_u32 v116, v168, s17, v114
	s_waitcnt lgkmcnt(3)
	v_lshrrev_b32_e32 v122, 4, v130
	ds_read_u16 v120, v116 offset:25088
	ds_read_u16 v116, v116 offset:25096
	v_and_b32_e32 v202, 0xf0f0f0f, v122
	v_lshrrev_b32_e32 v122, 4, v131
	v_and_b32_e32 v210, 0xf0f0f0f, v122
	s_waitcnt lgkmcnt(4)
	v_lshrrev_b32_e32 v122, 4, v132
	v_and_b32_e32 v211, 0xf0f0f0f, v122
	v_lshrrev_b32_e32 v122, 4, v133
	v_and_b32_e32 v212, 0xf0f0f0f, v122
	s_waitcnt lgkmcnt(3)
	v_lshrrev_b32_e32 v122, 4, v134
	s_waitcnt lgkmcnt(1)
	v_and_b32_e32 v197, 0xff, v120
	v_and_b32_e32 v214, 0xf0f0f0f, v122
	v_lshrrev_b32_e32 v122, 4, v135
	v_lshrrev_b16_e32 v209, 8, v120
	v_add_u32_e32 v120, 0x1080, v169
	v_and_b32_e32 v188, 0xf0f0f0f, v130
	v_and_b32_e32 v186, 0xf0f0f0f, v131
	;; [unrolled: 1-line block ×3, first 2 shown]
	v_lshrrev_b32_e32 v122, 4, v136
	ds_read2_b32 v[130:131], v120 offset1:1
	v_add_u32_e32 v120, 0x1088, v169
	v_and_b32_e32 v190, 0xf0f0f0f, v132
	v_and_b32_e32 v191, 0xf0f0f0f, v133
	v_and_b32_e32 v217, 0xf0f0f0f, v122
	v_lshrrev_b32_e32 v122, 4, v137
	ds_read2_b32 v[132:133], v120 offset1:1
	v_add_u32_e32 v120, 0x1090, v169
	v_and_b32_e32 v195, 0xf0f0f0f, v134
	v_and_b32_e32 v196, 0xf0f0f0f, v135
	s_waitcnt lgkmcnt(2)
	v_cvt_f32_ubyte0_e32 v118, v116
	v_and_b32_e32 v218, 0xf0f0f0f, v122
	v_cvt_f32_ubyte1_e32 v122, v116
	v_add3_u32 v116, v155, s17, v114
	ds_read2_b32 v[134:135], v120 offset1:1
	v_add_u32_e32 v120, 0x1098, v169
	v_and_b32_e32 v198, 0xf0f0f0f, v136
	v_and_b32_e32 v199, 0xf0f0f0f, v137
	ds_read2_b32 v[136:137], v120 offset1:1
	ds_read_u16 v124, v116 offset:25600
	ds_read_u16 v116, v116 offset:25608
	s_waitcnt lgkmcnt(5)
	v_lshrrev_b32_e32 v126, 4, v130
	v_and_b32_e32 v207, 0xf0f0f0f, v126
	v_lshrrev_b32_e32 v126, 4, v131
	s_waitcnt lgkmcnt(1)
	v_and_b32_e32 v203, 0xff, v124
	v_lshrrev_b16_e32 v228, 8, v124
	v_add_u32_e32 v124, 0x2100, v169
	v_and_b32_e32 v187, 0xf0f0f0f, v130
	v_and_b32_e32 v192, 0xf0f0f0f, v131
	v_and_b32_e32 v220, 0xf0f0f0f, v126
	v_lshrrev_b32_e32 v126, 4, v132
	ds_read2_b32 v[130:131], v124 offset1:1
	v_and_b32_e32 v223, 0xf0f0f0f, v126
	v_lshrrev_b32_e32 v126, 4, v133
	v_add_u32_e32 v124, 0x2108, v169
	v_and_b32_e32 v193, 0xf0f0f0f, v132
	v_and_b32_e32 v194, 0xf0f0f0f, v133
	v_and_b32_e32 v224, 0xf0f0f0f, v126
	v_lshrrev_b32_e32 v126, 4, v134
	ds_read2_b32 v[132:133], v124 offset1:1
	v_and_b32_e32 v227, 0xf0f0f0f, v126
	v_lshrrev_b32_e32 v126, 4, v135
	;; [unrolled: 8-line block ×3, first 2 shown]
	s_waitcnt lgkmcnt(2)
	v_and_b32_e32 v206, 0xf0f0f0f, v130
	v_add_u32_e32 v124, 0x2118, v169
	v_lshrrev_b32_e32 v130, 4, v130
	v_and_b32_e32 v204, 0xf0f0f0f, v136
	v_and_b32_e32 v205, 0xf0f0f0f, v137
	v_cvt_f32_ubyte0_e32 v120, v116
	v_and_b32_e32 v232, 0xf0f0f0f, v126
	v_cvt_f32_ubyte1_e32 v126, v116
	v_add3_u32 v116, v154, s17, v114
	ds_read2_b32 v[136:137], v124 offset1:1
	v_and_b32_e32 v231, 0xf0f0f0f, v130
	v_lshrrev_b32_e32 v130, 4, v131
	ds_read_u16 v128, v116 offset:26112
	ds_read_u16 v116, v116 offset:26120
	v_and_b32_e32 v234, 0xf0f0f0f, v130
	s_waitcnt lgkmcnt(4)
	v_lshrrev_b32_e32 v130, 4, v132
	v_and_b32_e32 v235, 0xf0f0f0f, v130
	v_lshrrev_b32_e32 v130, 4, v133
	v_and_b32_e32 v236, 0xf0f0f0f, v130
	s_waitcnt lgkmcnt(3)
	v_lshrrev_b32_e32 v130, 4, v134
	v_and_b32_e32 v237, 0xf0f0f0f, v130
	v_lshrrev_b32_e32 v130, 4, v135
	v_and_b32_e32 v239, 0xf0f0f0f, v130
	s_waitcnt lgkmcnt(2)
	v_lshrrev_b32_e32 v130, 4, v136
	s_waitcnt lgkmcnt(1)
	v_and_b32_e32 v219, 0xff, v128
	s_waitcnt lgkmcnt(0)
	v_cvt_f32_ubyte0_e32 v124, v116
	v_and_b32_e32 v240, 0xf0f0f0f, v130
	v_lshrrev_b32_e32 v130, 4, v137
	v_lshrrev_b16_e32 v238, 8, v128
	v_cvt_f32_ubyte1_e32 v128, v116
	v_add_u32_e32 v116, 0x3180, v169
	v_and_b32_e32 v208, 0xf0f0f0f, v131
	v_and_b32_e32 v241, 0xf0f0f0f, v130
	ds_read2_b32 v[130:131], v116 offset1:1
	v_mov_b32_e32 v242, 0
	v_mov_b32_e32 v243, 0
	;; [unrolled: 1-line block ×4, first 2 shown]
	s_waitcnt lgkmcnt(0)
	v_and_b32_e32 v233, 0xf0f0f0f, v130
	v_dot4c_i32_i8_e32 v242, v188, v12
	v_dot4c_i32_i8_e32 v243, v187, v12
	;; [unrolled: 1-line block ×4, first 2 shown]
	v_and_b32_e32 v189, 0xf0f0f0f, v131
	v_add_u32_e32 v12, 0x3188, v169
	v_dot4c_i32_i8_e32 v242, v186, v13
	v_dot4c_i32_i8_e32 v243, v192, v13
	;; [unrolled: 1-line block ×4, first 2 shown]
	ds_read2_b32 v[12:13], v12 offset1:1
	v_and_b32_e32 v213, 0xf0f0f0f, v132
	v_dot4c_i32_i8_e32 v242, v190, v14
	v_dot4c_i32_i8_e32 v243, v193, v14
	;; [unrolled: 1-line block ×3, first 2 shown]
	s_waitcnt lgkmcnt(0)
	v_and_b32_e32 v181, 0xf0f0f0f, v12
	v_and_b32_e32 v215, 0xf0f0f0f, v133
	v_dot4c_i32_i8_e32 v247, v181, v14
	v_and_b32_e32 v180, 0xf0f0f0f, v13
	v_add_u32_e32 v14, 0x3190, v169
	v_dot4c_i32_i8_e32 v242, v191, v15
	v_dot4c_i32_i8_e32 v243, v194, v15
	;; [unrolled: 1-line block ×4, first 2 shown]
	ds_read2_b32 v[14:15], v14 offset1:1
	v_and_b32_e32 v221, 0xf0f0f0f, v134
	v_dot4c_i32_i8_e32 v242, v195, v8
	v_dot4c_i32_i8_e32 v243, v200, v8
	;; [unrolled: 1-line block ×3, first 2 shown]
	s_waitcnt lgkmcnt(0)
	v_and_b32_e32 v182, 0xf0f0f0f, v14
	v_and_b32_e32 v222, 0xf0f0f0f, v135
	v_dot4c_i32_i8_e32 v247, v182, v8
	v_and_b32_e32 v183, 0xf0f0f0f, v15
	v_add_u32_e32 v8, 0x3198, v169
	v_dot4c_i32_i8_e32 v242, v196, v9
	v_dot4c_i32_i8_e32 v243, v201, v9
	;; [unrolled: 1-line block ×4, first 2 shown]
	ds_read2_b32 v[8:9], v8 offset1:1
	v_and_b32_e32 v225, 0xf0f0f0f, v136
	v_dot4c_i32_i8_e32 v242, v198, v10
	v_dot4c_i32_i8_e32 v243, v204, v10
	;; [unrolled: 1-line block ×3, first 2 shown]
	s_waitcnt lgkmcnt(0)
	v_and_b32_e32 v184, 0xf0f0f0f, v8
	v_and_b32_e32 v226, 0xf0f0f0f, v137
	v_add3_u32 v114, v153, s17, v114
	v_dot4c_i32_i8_e32 v247, v184, v10
	v_and_b32_e32 v185, 0xf0f0f0f, v9
	v_dot4c_i32_i8_e32 v242, v199, v11
	v_dot4c_i32_i8_e32 v243, v205, v11
	v_dot4c_i32_i8_e32 v245, v226, v11
	v_dot4c_i32_i8_e32 v247, v185, v11
	ds_read_u16 v10, v114 offset:26624
	ds_read_u16 v11, v114 offset:26632
	v_lshrrev_b32_e32 v114, 4, v130
	v_mov_b32_e32 v244, 0
	v_mov_b32_e32 v246, 0
	;; [unrolled: 1-line block ×3, first 2 shown]
	v_and_b32_e32 v177, 0xf0f0f0f, v114
	v_mov_b32_e32 v249, 0
	v_dot4c_i32_i8_e32 v244, v202, v4
	v_dot4c_i32_i8_e32 v246, v207, v4
	;; [unrolled: 1-line block ×4, first 2 shown]
	v_lshrrev_b32_e32 v4, 4, v131
	v_and_b32_e32 v179, 0xf0f0f0f, v4
	v_lshrrev_b32_e32 v4, 4, v12
	v_dot4c_i32_i8_e32 v244, v210, v5
	v_dot4c_i32_i8_e32 v246, v220, v5
	v_dot4c_i32_i8_e32 v248, v234, v5
	v_dot4c_i32_i8_e32 v249, v179, v5
	v_and_b32_e32 v178, 0xf0f0f0f, v4
	v_lshrrev_b32_e32 v4, 4, v13
	v_dot4c_i32_i8_e32 v244, v211, v6
	v_dot4c_i32_i8_e32 v246, v223, v6
	v_dot4c_i32_i8_e32 v248, v235, v6
	v_dot4c_i32_i8_e32 v249, v178, v6
	;; [unrolled: 6-line block ×3, first 2 shown]
	v_and_b32_e32 v173, 0xf0f0f0f, v4
	v_dot4c_i32_i8_e32 v244, v214, v0
	v_dot4c_i32_i8_e32 v246, v227, v0
	;; [unrolled: 1-line block ×4, first 2 shown]
	v_lshrrev_b32_e32 v0, 4, v15
	v_and_b32_e32 v174, 0xf0f0f0f, v0
	v_lshrrev_b32_e32 v0, 4, v8
	v_dot4c_i32_i8_e32 v244, v216, v1
	v_dot4c_i32_i8_e32 v246, v229, v1
	v_dot4c_i32_i8_e32 v248, v239, v1
	v_dot4c_i32_i8_e32 v249, v174, v1
	v_and_b32_e32 v175, 0xf0f0f0f, v0
	v_lshrrev_b32_e32 v0, 4, v9
	v_dot4c_i32_i8_e32 v244, v217, v2
	v_dot4c_i32_i8_e32 v246, v230, v2
	;; [unrolled: 1-line block ×4, first 2 shown]
	v_and_b32_e32 v176, 0xf0f0f0f, v0
	v_dot4c_i32_i8_e32 v244, v218, v3
	v_dot4c_i32_i8_e32 v246, v232, v3
	;; [unrolled: 1-line block ×3, first 2 shown]
	s_waitcnt lgkmcnt(1)
	v_and_b32_e32 v171, 0xff, v10
	s_waitcnt lgkmcnt(0)
	v_cvt_f32_ubyte0_e32 v116, v11
	v_dot4c_i32_i8_e32 v249, v176, v3
	v_lshrrev_b16_e32 v170, 8, v10
	v_cvt_f32_ubyte1_e32 v114, v11
	ds_read_b128 v[12:15], v138 offset:1024
	ds_read_b128 v[8:11], v138 offset:1040
	;; [unrolled: 1-line block ×4, first 2 shown]
	v_mov_b32_e32 v254, 0
	s_waitcnt lgkmcnt(3)
	v_dot4c_i32_i8_e32 v254, v188, v12
	v_dot4c_i32_i8_e32 v254, v186, v13
	v_mov_b32_e32 v255, 0
	v_dot4c_i32_i8_e32 v254, v190, v14
	s_waitcnt lgkmcnt(1)
	v_dot4c_i32_i8_e32 v255, v202, v4
	v_dot4c_i32_i8_e32 v254, v191, v15
	;; [unrolled: 1-line block ×3, first 2 shown]
	ds_read2_b64 v[250:253], v139 offset1:16
	v_dot4c_i32_i8_e32 v254, v195, v8
	v_dot4c_i32_i8_e32 v255, v211, v6
	;; [unrolled: 1-line block ×5, first 2 shown]
	s_waitcnt lgkmcnt(1)
	v_dot4c_i32_i8_e32 v255, v214, v0
	v_dot4c_i32_i8_e32 v254, v199, v11
	;; [unrolled: 1-line block ×4, first 2 shown]
	s_waitcnt lgkmcnt(0)
	v_cvt_f32_f16_e32 v134, v250
	v_cvt_f32_f16_sdwa v136, v250 dst_sel:DWORD dst_unused:UNUSED_PAD src0_sel:WORD_1
	v_mul_lo_u32 v242, v242, v197
	v_mul_lo_u32 v250, v254, v197
	v_dot4c_i32_i8_e32 v255, v218, v3
	v_cvt_f32_f16_e32 v130, v251
	v_cvt_f32_f16_sdwa v132, v251 dst_sel:DWORD dst_unused:UNUSED_PAD src0_sel:WORD_1
	v_cvt_f32_i32_e32 v251, v250
	v_cvt_f32_i32_e32 v250, v242
	v_mul_lo_u32 v242, v244, v209
	v_mul_lo_u32 v244, v255, v209
	v_cvt_f32_i32_e32 v254, v242
	v_mov_b32_e32 v242, 0
	v_cvt_f32_f16_sdwa v137, v252 dst_sel:DWORD dst_unused:UNUSED_PAD src0_sel:WORD_1
	v_cvt_f32_i32_e32 v255, v244
	v_dot4c_i32_i8_e32 v242, v187, v12
	v_mov_b32_e32 v244, 0
	v_cvt_f32_f16_e32 v135, v252
	v_cvt_f32_f16_sdwa v133, v253 dst_sel:DWORD dst_unused:UNUSED_PAD src0_sel:WORD_1
	v_dot4c_i32_i8_e32 v242, v192, v13
	v_dot4c_i32_i8_e32 v244, v207, v4
	v_cvt_f32_f16_e32 v131, v253
	v_dot4c_i32_i8_e32 v242, v193, v14
	v_dot4c_i32_i8_e32 v244, v220, v5
	;; [unrolled: 1-line block ×4, first 2 shown]
	v_pk_fma_f32 v[252:253], v[118:119], v[136:137], 0 op_sel_hi:[0,1,0]
	v_dot4c_i32_i8_e32 v242, v200, v8
	v_dot4c_i32_i8_e32 v244, v224, v7
	v_pk_fma_f32 v[250:251], v[134:135], v[250:251], 0 op_sel_hi:[1,1,0]
	v_pk_fma_f32 v[252:253], v[122:123], v[132:133], v[252:253] op_sel_hi:[0,1,1]
	v_dot4c_i32_i8_e32 v242, v201, v9
	v_dot4c_i32_i8_e32 v244, v227, v0
	v_pk_fma_f32 v[250:251], v[130:131], v[254:255], v[250:251]
	v_pk_mul_f32 v[252:253], v[252:253], v[100:101]
	v_dot4c_i32_i8_e32 v242, v204, v10
	v_dot4c_i32_i8_e32 v244, v229, v1
	v_pk_fma_f32 v[250:251], v[250:251], v[98:99], v[252:253] neg_lo:[0,0,1] neg_hi:[0,0,1]
	v_dot4c_i32_i8_e32 v242, v205, v11
	v_dot4c_i32_i8_e32 v244, v230, v2
	v_pk_add_f32 v[32:33], v[32:33], v[250:251]
	v_dot4c_i32_i8_e32 v244, v232, v3
	v_mul_lo_u32 v250, v243, v203
	v_mul_lo_u32 v242, v242, v203
	v_cvt_f32_i32_e32 v243, v242
	v_cvt_f32_i32_e32 v242, v250
	v_mul_lo_u32 v246, v246, v228
	v_mul_lo_u32 v244, v244, v228
	v_cvt_f32_i32_e32 v253, v244
	v_cvt_f32_i32_e32 v252, v246
	v_pk_fma_f32 v[250:251], v[120:121], v[136:137], 0 op_sel_hi:[0,1,0]
	v_pk_fma_f32 v[242:243], v[134:135], v[242:243], 0 op_sel_hi:[1,1,0]
	;; [unrolled: 1-line block ×3, first 2 shown]
	v_pk_fma_f32 v[242:243], v[130:131], v[252:253], v[242:243]
	v_pk_mul_f32 v[250:251], v[250:251], v[104:105]
	v_mov_b32_e32 v246, 0
	v_pk_fma_f32 v[242:243], v[242:243], v[102:103], v[250:251] neg_lo:[0,0,1] neg_hi:[0,0,1]
	v_dot4c_i32_i8_e32 v246, v231, v4
	v_pk_add_f32 v[86:87], v[86:87], v[242:243]
	v_mov_b32_e32 v242, 0
	v_dot4c_i32_i8_e32 v242, v206, v12
	v_dot4c_i32_i8_e32 v242, v208, v13
	;; [unrolled: 1-line block ×15, first 2 shown]
	v_mul_lo_u32 v244, v245, v219
	v_mul_lo_u32 v242, v242, v219
	v_cvt_f32_i32_e32 v243, v242
	v_cvt_f32_i32_e32 v242, v244
	v_mul_lo_u32 v248, v248, v238
	v_mul_lo_u32 v246, v246, v238
	v_cvt_f32_i32_e32 v251, v246
	v_cvt_f32_i32_e32 v250, v248
	v_pk_fma_f32 v[244:245], v[124:125], v[136:137], 0 op_sel_hi:[0,1,0]
	v_pk_fma_f32 v[242:243], v[134:135], v[242:243], 0 op_sel_hi:[1,1,0]
	;; [unrolled: 1-line block ×3, first 2 shown]
	v_pk_fma_f32 v[242:243], v[130:131], v[250:251], v[242:243]
	v_pk_mul_f32 v[244:245], v[244:245], v[108:109]
	v_mov_b32_e32 v252, 0
	v_pk_fma_f32 v[242:243], v[242:243], v[106:107], v[244:245] neg_lo:[0,0,1] neg_hi:[0,0,1]
	v_mov_b32_e32 v246, 0
	v_pk_add_f32 v[92:93], v[92:93], v[242:243]
	v_mov_b32_e32 v242, 0
	v_dot4c_i32_i8_e32 v242, v233, v12
	v_dot4c_i32_i8_e32 v242, v189, v13
	;; [unrolled: 1-line block ×5, first 2 shown]
	v_mov_b32_e32 v8, 0
	v_dot4c_i32_i8_e32 v8, v177, v4
	v_dot4c_i32_i8_e32 v8, v179, v5
	;; [unrolled: 1-line block ×11, first 2 shown]
	v_mul_lo_u32 v0, v247, v171
	v_mul_lo_u32 v1, v242, v171
	v_cvt_f32_i32_e32 v1, v1
	v_cvt_f32_i32_e32 v0, v0
	v_mul_lo_u32 v4, v249, v170
	v_mul_lo_u32 v5, v8, v170
	v_cvt_f32_i32_e32 v5, v5
	v_cvt_f32_i32_e32 v4, v4
	v_pk_fma_f32 v[2:3], v[116:117], v[136:137], 0 op_sel_hi:[0,1,0]
	v_pk_fma_f32 v[0:1], v[134:135], v[0:1], 0 op_sel_hi:[1,1,0]
	;; [unrolled: 1-line block ×3, first 2 shown]
	v_pk_fma_f32 v[0:1], v[130:131], v[4:5], v[0:1]
	v_pk_mul_f32 v[2:3], v[2:3], v[112:113]
	v_mov_b32_e32 v247, 0
	v_pk_fma_f32 v[0:1], v[0:1], v[110:111], v[2:3] neg_lo:[0,0,1] neg_hi:[0,0,1]
	v_mov_b32_e32 v254, 0
	v_pk_add_f32 v[96:97], v[96:97], v[0:1]
	ds_read_b128 v[12:15], v138 offset:2048
	ds_read_b128 v[8:11], v138 offset:2064
	;; [unrolled: 1-line block ×4, first 2 shown]
	v_mov_b32_e32 v244, 0
	v_mov_b32_e32 v245, 0
	;; [unrolled: 1-line block ×4, first 2 shown]
	s_waitcnt lgkmcnt(3)
	v_dot4c_i32_i8_e32 v247, v188, v12
	s_waitcnt lgkmcnt(1)
	v_dot4c_i32_i8_e32 v252, v202, v4
	v_dot4c_i32_i8_e32 v246, v187, v12
	;; [unrolled: 1-line block ×32, first 2 shown]
	s_waitcnt lgkmcnt(0)
	v_dot4c_i32_i8_e32 v252, v214, v0
	v_dot4c_i32_i8_e32 v246, v200, v8
	;; [unrolled: 1-line block ×31, first 2 shown]
	ds_read_b128 v[12:15], v138 offset:3072
	ds_read_b128 v[8:11], v138 offset:3088
	;; [unrolled: 1-line block ×4, first 2 shown]
	v_mov_b32_e32 v253, 0
	s_waitcnt lgkmcnt(3)
	v_dot4c_i32_i8_e32 v253, v188, v12
	v_mov_b32_e32 v255, 0
	v_dot4c_i32_i8_e32 v253, v186, v13
	s_waitcnt lgkmcnt(1)
	v_dot4c_i32_i8_e32 v255, v202, v4
	v_dot4c_i32_i8_e32 v253, v190, v14
	;; [unrolled: 1-line block ×5, first 2 shown]
	ds_read2_b64 v[248:251], v139 offset0:32 offset1:48
	v_dot4c_i32_i8_e32 v253, v195, v8
	v_dot4c_i32_i8_e32 v255, v212, v7
	;; [unrolled: 1-line block ×3, first 2 shown]
	s_waitcnt lgkmcnt(1)
	v_dot4c_i32_i8_e32 v255, v214, v0
	v_dot4c_i32_i8_e32 v253, v198, v10
	;; [unrolled: 1-line block ×6, first 2 shown]
	s_waitcnt lgkmcnt(0)
	v_cvt_f32_f16_e32 v134, v248
	v_cvt_f32_f16_sdwa v137, v250 dst_sel:DWORD dst_unused:UNUSED_PAD src0_sel:WORD_1
	v_cvt_f32_f16_sdwa v136, v248 dst_sel:DWORD dst_unused:UNUSED_PAD src0_sel:WORD_1
	v_mul_lo_u32 v247, v247, v197
	v_mul_lo_u32 v248, v253, v197
	v_cvt_f32_f16_e32 v135, v250
	v_cvt_f32_f16_e32 v130, v249
	v_cvt_f32_f16_sdwa v133, v251 dst_sel:DWORD dst_unused:UNUSED_PAD src0_sel:WORD_1
	v_cvt_f32_f16_sdwa v132, v249 dst_sel:DWORD dst_unused:UNUSED_PAD src0_sel:WORD_1
	v_cvt_f32_i32_e32 v249, v248
	v_cvt_f32_i32_e32 v248, v247
	v_mul_lo_u32 v247, v252, v209
	v_mul_lo_u32 v252, v255, v209
	v_cvt_f32_f16_e32 v131, v251
	v_cvt_f32_i32_e32 v253, v252
	v_cvt_f32_i32_e32 v252, v247
	v_pk_fma_f32 v[250:251], v[118:119], v[136:137], 0 op_sel_hi:[0,1,0]
	v_pk_fma_f32 v[248:249], v[248:249], v[134:135], 0 op_sel_hi:[1,1,0]
	;; [unrolled: 1-line block ×3, first 2 shown]
	v_pk_fma_f32 v[248:249], v[252:253], v[130:131], v[248:249]
	v_pk_mul_f32 v[250:251], v[250:251], v[100:101]
	v_mov_b32_e32 v247, 0
	v_pk_fma_f32 v[248:249], v[248:249], v[98:99], v[250:251] neg_lo:[0,0,1] neg_hi:[0,0,1]
	v_dot4c_i32_i8_e32 v247, v187, v12
	v_mov_b32_e32 v250, 0
	v_dot4c_i32_i8_e32 v247, v192, v13
	v_dot4c_i32_i8_e32 v250, v207, v4
	;; [unrolled: 1-line block ×15, first 2 shown]
	v_mul_lo_u32 v246, v246, v203
	v_mul_lo_u32 v247, v247, v203
	v_cvt_f32_i32_e32 v247, v247
	v_cvt_f32_i32_e32 v246, v246
	v_mul_lo_u32 v252, v254, v228
	v_mul_lo_u32 v250, v250, v228
	v_cvt_f32_i32_e32 v251, v250
	v_cvt_f32_i32_e32 v250, v252
	v_pk_add_f32 v[68:69], v[68:69], v[248:249]
	v_pk_fma_f32 v[248:249], v[120:121], v[136:137], 0 op_sel_hi:[0,1,0]
	v_pk_fma_f32 v[246:247], v[246:247], v[134:135], 0 op_sel_hi:[1,1,0]
	;; [unrolled: 1-line block ×3, first 2 shown]
	v_pk_fma_f32 v[246:247], v[250:251], v[130:131], v[246:247]
	v_pk_mul_f32 v[248:249], v[248:249], v[104:105]
	v_mov_b32_e32 v250, 0
	v_pk_fma_f32 v[246:247], v[246:247], v[102:103], v[248:249] neg_lo:[0,0,1] neg_hi:[0,0,1]
	v_dot4c_i32_i8_e32 v250, v231, v4
	v_pk_add_f32 v[80:81], v[80:81], v[246:247]
	v_mov_b32_e32 v246, 0
	v_dot4c_i32_i8_e32 v246, v206, v12
	v_dot4c_i32_i8_e32 v246, v208, v13
	;; [unrolled: 1-line block ×15, first 2 shown]
	v_mul_lo_u32 v244, v244, v219
	v_mul_lo_u32 v246, v246, v219
	v_cvt_f32_i32_e32 v247, v246
	v_cvt_f32_i32_e32 v246, v244
	v_mul_lo_u32 v244, v245, v238
	v_mul_lo_u32 v245, v250, v238
	v_cvt_f32_i32_e32 v245, v245
	v_cvt_f32_i32_e32 v244, v244
	v_pk_fma_f32 v[246:247], v[246:247], v[134:135], 0 op_sel_hi:[1,1,0]
	v_pk_fma_f32 v[248:249], v[124:125], v[136:137], 0 op_sel_hi:[0,1,0]
	v_mov_b32_e32 v254, 0
	v_pk_fma_f32 v[244:245], v[244:245], v[130:131], v[246:247]
	v_pk_fma_f32 v[246:247], v[128:129], v[132:133], v[248:249] op_sel_hi:[0,1,1]
	v_pk_mul_f32 v[246:247], v[246:247], v[108:109]
	v_mov_b32_e32 v248, 0
	v_pk_fma_f32 v[244:245], v[244:245], v[106:107], v[246:247] neg_lo:[0,0,1] neg_hi:[0,0,1]
	v_mov_b32_e32 v249, 0
	v_pk_add_f32 v[88:89], v[88:89], v[244:245]
	v_mov_b32_e32 v244, 0
	v_dot4c_i32_i8_e32 v244, v233, v12
	v_dot4c_i32_i8_e32 v244, v189, v13
	;; [unrolled: 1-line block ×5, first 2 shown]
	v_mov_b32_e32 v8, 0
	v_dot4c_i32_i8_e32 v8, v177, v4
	v_dot4c_i32_i8_e32 v8, v179, v5
	;; [unrolled: 1-line block ×11, first 2 shown]
	v_mul_lo_u32 v0, v242, v171
	v_mul_lo_u32 v1, v244, v171
	v_cvt_f32_i32_e32 v1, v1
	v_cvt_f32_i32_e32 v0, v0
	v_mul_lo_u32 v4, v243, v170
	v_mul_lo_u32 v5, v8, v170
	v_cvt_f32_i32_e32 v5, v5
	v_cvt_f32_i32_e32 v4, v4
	v_pk_fma_f32 v[2:3], v[116:117], v[136:137], 0 op_sel_hi:[0,1,0]
	v_pk_fma_f32 v[0:1], v[0:1], v[134:135], 0 op_sel_hi:[1,1,0]
	;; [unrolled: 1-line block ×3, first 2 shown]
	v_pk_fma_f32 v[0:1], v[4:5], v[130:131], v[0:1]
	v_pk_mul_f32 v[2:3], v[2:3], v[112:113]
	v_mov_b32_e32 v246, 0
	v_pk_fma_f32 v[0:1], v[0:1], v[110:111], v[2:3] neg_lo:[0,0,1] neg_hi:[0,0,1]
	v_mov_b32_e32 v247, 0
	v_pk_add_f32 v[94:95], v[94:95], v[0:1]
	ds_read_b128 v[12:15], v138 offset:4096
	ds_read_b128 v[8:11], v138 offset:4112
	;; [unrolled: 1-line block ×4, first 2 shown]
	v_mov_b32_e32 v244, 0
	v_mov_b32_e32 v245, 0
	;; [unrolled: 1-line block ×4, first 2 shown]
	s_waitcnt lgkmcnt(3)
	v_dot4c_i32_i8_e32 v248, v188, v12
	s_waitcnt lgkmcnt(1)
	v_dot4c_i32_i8_e32 v249, v202, v4
	v_dot4c_i32_i8_e32 v246, v187, v12
	;; [unrolled: 1-line block ×32, first 2 shown]
	s_waitcnt lgkmcnt(0)
	v_dot4c_i32_i8_e32 v249, v214, v0
	v_dot4c_i32_i8_e32 v246, v200, v8
	;; [unrolled: 1-line block ×31, first 2 shown]
	ds_read_b128 v[12:15], v138 offset:5120
	ds_read_b128 v[8:11], v138 offset:5136
	;; [unrolled: 1-line block ×4, first 2 shown]
	v_mov_b32_e32 v255, 0
	s_waitcnt lgkmcnt(3)
	v_dot4c_i32_i8_e32 v254, v188, v12
	v_dot4c_i32_i8_e32 v254, v186, v13
	s_waitcnt lgkmcnt(1)
	v_dot4c_i32_i8_e32 v255, v202, v4
	v_dot4c_i32_i8_e32 v254, v190, v14
	;; [unrolled: 1-line block ×5, first 2 shown]
	ds_read2_b64 v[250:253], v139 offset0:64 offset1:80
	v_dot4c_i32_i8_e32 v254, v195, v8
	v_dot4c_i32_i8_e32 v255, v212, v7
	;; [unrolled: 1-line block ×3, first 2 shown]
	s_waitcnt lgkmcnt(1)
	v_dot4c_i32_i8_e32 v255, v214, v0
	v_dot4c_i32_i8_e32 v254, v198, v10
	;; [unrolled: 1-line block ×6, first 2 shown]
	s_waitcnt lgkmcnt(0)
	v_cvt_f32_f16_e32 v134, v250
	v_cvt_f32_f16_sdwa v136, v250 dst_sel:DWORD dst_unused:UNUSED_PAD src0_sel:WORD_1
	v_mul_lo_u32 v248, v248, v197
	v_mul_lo_u32 v250, v254, v197
	v_cvt_f32_f16_e32 v135, v252
	v_cvt_f32_f16_sdwa v137, v252 dst_sel:DWORD dst_unused:UNUSED_PAD src0_sel:WORD_1
	v_cvt_f32_f16_e32 v130, v251
	v_cvt_f32_f16_sdwa v132, v251 dst_sel:DWORD dst_unused:UNUSED_PAD src0_sel:WORD_1
	v_cvt_f32_i32_e32 v251, v250
	v_cvt_f32_i32_e32 v250, v248
	v_mul_lo_u32 v248, v249, v209
	v_mul_lo_u32 v249, v255, v209
	v_cvt_f32_f16_e32 v131, v253
	v_cvt_f32_f16_sdwa v133, v253 dst_sel:DWORD dst_unused:UNUSED_PAD src0_sel:WORD_1
	v_cvt_f32_i32_e32 v249, v249
	v_cvt_f32_i32_e32 v248, v248
	v_pk_fma_f32 v[250:251], v[250:251], v[134:135], 0 op_sel_hi:[1,1,0]
	v_pk_fma_f32 v[252:253], v[118:119], v[136:137], 0 op_sel_hi:[0,1,0]
	v_mul_lo_u32 v246, v246, v203
	v_pk_fma_f32 v[248:249], v[248:249], v[130:131], v[250:251]
	v_pk_fma_f32 v[250:251], v[122:123], v[132:133], v[252:253] op_sel_hi:[0,1,1]
	v_pk_mul_f32 v[250:251], v[250:251], v[100:101]
	v_mov_b32_e32 v252, 0
	v_pk_fma_f32 v[248:249], v[248:249], v[98:99], v[250:251] neg_lo:[0,0,1] neg_hi:[0,0,1]
	v_dot4c_i32_i8_e32 v252, v207, v4
	v_pk_add_f32 v[58:59], v[58:59], v[248:249]
	v_mov_b32_e32 v248, 0
	v_dot4c_i32_i8_e32 v248, v187, v12
	v_dot4c_i32_i8_e32 v248, v192, v13
	;; [unrolled: 1-line block ×15, first 2 shown]
	v_pk_fma_f32 v[250:251], v[120:121], v[136:137], 0 op_sel_hi:[0,1,0]
	v_mul_lo_u32 v248, v248, v203
	v_cvt_f32_i32_e32 v249, v248
	v_cvt_f32_i32_e32 v248, v246
	v_mul_lo_u32 v246, v247, v228
	v_mul_lo_u32 v247, v252, v228
	v_cvt_f32_i32_e32 v247, v247
	v_cvt_f32_i32_e32 v246, v246
	v_pk_fma_f32 v[248:249], v[248:249], v[134:135], 0 op_sel_hi:[1,1,0]
	v_mul_lo_u32 v244, v244, v219
	v_mov_b32_e32 v254, 0
	v_pk_fma_f32 v[246:247], v[246:247], v[130:131], v[248:249]
	v_pk_fma_f32 v[248:249], v[126:127], v[132:133], v[250:251] op_sel_hi:[0,1,1]
	v_pk_mul_f32 v[248:249], v[248:249], v[104:105]
	v_mov_b32_e32 v250, 0
	v_pk_fma_f32 v[246:247], v[246:247], v[102:103], v[248:249] neg_lo:[0,0,1] neg_hi:[0,0,1]
	v_dot4c_i32_i8_e32 v250, v231, v4
	v_pk_add_f32 v[70:71], v[70:71], v[246:247]
	v_mov_b32_e32 v246, 0
	v_dot4c_i32_i8_e32 v246, v206, v12
	v_dot4c_i32_i8_e32 v246, v208, v13
	;; [unrolled: 1-line block ×15, first 2 shown]
	v_pk_fma_f32 v[248:249], v[124:125], v[136:137], 0 op_sel_hi:[0,1,0]
	v_mul_lo_u32 v246, v246, v219
	v_cvt_f32_i32_e32 v247, v246
	v_cvt_f32_i32_e32 v246, v244
	v_mul_lo_u32 v244, v245, v238
	v_mul_lo_u32 v245, v250, v238
	v_cvt_f32_i32_e32 v245, v245
	v_cvt_f32_i32_e32 v244, v244
	v_pk_fma_f32 v[246:247], v[246:247], v[134:135], 0 op_sel_hi:[1,1,0]
	s_add_i32 s0, s0, 8
	s_add_i32 s17, s16, 8
	v_pk_fma_f32 v[244:245], v[244:245], v[130:131], v[246:247]
	v_pk_fma_f32 v[246:247], v[128:129], v[132:133], v[248:249] op_sel_hi:[0,1,1]
	v_pk_mul_f32 v[246:247], v[246:247], v[108:109]
	v_mov_b32_e32 v248, 0
	v_pk_fma_f32 v[244:245], v[244:245], v[106:107], v[246:247] neg_lo:[0,0,1] neg_hi:[0,0,1]
	v_mov_b32_e32 v249, 0
	v_pk_add_f32 v[82:83], v[82:83], v[244:245]
	v_mov_b32_e32 v244, 0
	v_dot4c_i32_i8_e32 v244, v233, v12
	v_dot4c_i32_i8_e32 v244, v189, v13
	;; [unrolled: 1-line block ×5, first 2 shown]
	v_mov_b32_e32 v8, 0
	v_dot4c_i32_i8_e32 v8, v177, v4
	v_dot4c_i32_i8_e32 v8, v179, v5
	;; [unrolled: 1-line block ×11, first 2 shown]
	v_mul_lo_u32 v0, v242, v171
	v_mul_lo_u32 v1, v244, v171
	v_cvt_f32_i32_e32 v1, v1
	v_cvt_f32_i32_e32 v0, v0
	v_mul_lo_u32 v4, v243, v170
	v_mul_lo_u32 v5, v8, v170
	v_cvt_f32_i32_e32 v5, v5
	v_cvt_f32_i32_e32 v4, v4
	v_pk_fma_f32 v[2:3], v[116:117], v[136:137], 0 op_sel_hi:[0,1,0]
	v_pk_fma_f32 v[0:1], v[0:1], v[134:135], 0 op_sel_hi:[1,1,0]
	;; [unrolled: 1-line block ×3, first 2 shown]
	v_pk_fma_f32 v[0:1], v[4:5], v[130:131], v[0:1]
	v_pk_mul_f32 v[2:3], v[2:3], v[112:113]
	v_mov_b32_e32 v246, 0
	v_pk_fma_f32 v[0:1], v[0:1], v[110:111], v[2:3] neg_lo:[0,0,1] neg_hi:[0,0,1]
	v_mov_b32_e32 v247, 0
	v_pk_add_f32 v[90:91], v[90:91], v[0:1]
	ds_read_b128 v[8:11], v138 offset:6144
	ds_read_b128 v[12:15], v138 offset:6160
	;; [unrolled: 1-line block ×4, first 2 shown]
	v_mov_b32_e32 v244, 0
	v_mov_b32_e32 v245, 0
	;; [unrolled: 1-line block ×4, first 2 shown]
	s_waitcnt lgkmcnt(3)
	v_dot4c_i32_i8_e32 v248, v188, v8
	s_waitcnt lgkmcnt(1)
	v_dot4c_i32_i8_e32 v249, v202, v4
	v_dot4c_i32_i8_e32 v246, v187, v8
	;; [unrolled: 1-line block ×32, first 2 shown]
	s_waitcnt lgkmcnt(0)
	v_dot4c_i32_i8_e32 v249, v214, v0
	v_dot4c_i32_i8_e32 v246, v200, v12
	;; [unrolled: 1-line block ×31, first 2 shown]
	ds_read_b128 v[8:11], v138 offset:7168
	ds_read_b128 v[12:15], v138 offset:7184
	;; [unrolled: 1-line block ×4, first 2 shown]
	ds_read2_b64 v[250:253], v139 offset0:96 offset1:112
	s_waitcnt lgkmcnt(4)
	v_dot4c_i32_i8_e32 v254, v188, v8
	v_dot4c_i32_i8_e32 v254, v186, v9
	;; [unrolled: 1-line block ×4, first 2 shown]
	s_waitcnt lgkmcnt(3)
	v_dot4c_i32_i8_e32 v254, v195, v12
	s_waitcnt lgkmcnt(0)
	v_cvt_f32_f16_sdwa v135, v252 dst_sel:DWORD dst_unused:UNUSED_PAD src0_sel:WORD_1
	v_cvt_f32_f16_sdwa v134, v250 dst_sel:DWORD dst_unused:UNUSED_PAD src0_sel:WORD_1
	v_dot4c_i32_i8_e32 v254, v196, v13
	v_dot4c_i32_i8_e32 v254, v198, v14
	;; [unrolled: 1-line block ×3, first 2 shown]
	v_mov_b32_e32 v186, 0
	v_dot4c_i32_i8_e32 v186, v202, v4
	v_mul_lo_u32 v188, v248, v197
	v_mul_lo_u32 v190, v254, v197
	v_pk_fma_f32 v[196:197], v[118:119], v[134:135], 0 op_sel_hi:[0,1,0]
	v_mul_lo_u32 v118, v249, v209
	v_dot4c_i32_i8_e32 v186, v210, v5
	v_cvt_f32_i32_e32 v198, v118
	v_mov_b32_e32 v118, 0
	v_dot4c_i32_i8_e32 v186, v211, v6
	v_cvt_f32_f16_sdwa v131, v253 dst_sel:DWORD dst_unused:UNUSED_PAD src0_sel:WORD_1
	v_cvt_f32_f16_sdwa v130, v251 dst_sel:DWORD dst_unused:UNUSED_PAD src0_sel:WORD_1
	v_dot4c_i32_i8_e32 v118, v187, v8
	v_dot4c_i32_i8_e32 v186, v212, v7
	;; [unrolled: 1-line block ×8, first 2 shown]
	v_pk_fma_f32 v[196:197], v[122:123], v[130:131], v[196:197] op_sel_hi:[0,1,1]
	v_dot4c_i32_i8_e32 v118, v200, v12
	v_mov_b32_e32 v122, 0
	v_dot4c_i32_i8_e32 v186, v218, v3
	v_dot4c_i32_i8_e32 v118, v201, v13
	;; [unrolled: 1-line block ×3, first 2 shown]
	v_cvt_f32_f16_e32 v137, v252
	v_cvt_f32_f16_e32 v136, v250
	v_cvt_f32_i32_e32 v191, v190
	v_cvt_f32_i32_e32 v190, v188
	v_mul_lo_u32 v186, v186, v209
	v_dot4c_i32_i8_e32 v118, v204, v14
	v_dot4c_i32_i8_e32 v122, v220, v5
	v_cvt_f32_f16_e32 v133, v253
	v_cvt_f32_f16_e32 v132, v251
	v_cvt_f32_i32_e32 v199, v186
	v_dot4c_i32_i8_e32 v118, v205, v15
	v_dot4c_i32_i8_e32 v122, v223, v6
	;; [unrolled: 1-line block ×4, first 2 shown]
	v_mul_lo_u32 v118, v118, v203
	v_cvt_f32_i32_e32 v187, v118
	v_mul_lo_u32 v118, v247, v228
	v_pk_fma_f32 v[190:191], v[190:191], v[136:137], 0 op_sel_hi:[1,1,0]
	v_dot4c_i32_i8_e32 v122, v229, v1
	v_cvt_f32_i32_e32 v192, v118
	v_mov_b32_e32 v118, 0
	v_pk_fma_f32 v[190:191], v[198:199], v[132:133], v[190:191]
	v_pk_mul_f32 v[196:197], v[196:197], v[100:101]
	v_dot4c_i32_i8_e32 v122, v230, v2
	v_dot4c_i32_i8_e32 v118, v206, v8
	v_pk_fma_f32 v[190:191], v[190:191], v[98:99], v[196:197] neg_lo:[0,0,1] neg_hi:[0,0,1]
	v_dot4c_i32_i8_e32 v122, v232, v3
	v_mul_lo_u32 v186, v246, v203
	v_dot4c_i32_i8_e32 v118, v208, v9
	v_pk_add_f32 v[50:51], v[50:51], v[190:191]
	v_cvt_f32_i32_e32 v186, v186
	v_pk_fma_f32 v[190:191], v[120:121], v[134:135], 0 op_sel_hi:[0,1,0]
	v_mul_lo_u32 v120, v122, v228
	v_dot4c_i32_i8_e32 v118, v213, v10
	v_cvt_f32_i32_e32 v193, v120
	v_dot4c_i32_i8_e32 v118, v215, v11
	v_dot4c_i32_i8_e32 v118, v221, v12
	;; [unrolled: 1-line block ×3, first 2 shown]
	v_pk_fma_f32 v[186:187], v[186:187], v[136:137], 0 op_sel_hi:[1,1,0]
	v_pk_fma_f32 v[190:191], v[126:127], v[130:131], v[190:191] op_sel_hi:[0,1,1]
	v_dot4c_i32_i8_e32 v118, v225, v14
	v_pk_fma_f32 v[186:187], v[192:193], v[132:133], v[186:187]
	v_pk_mul_f32 v[190:191], v[190:191], v[104:105]
	v_dot4c_i32_i8_e32 v118, v226, v15
	v_pk_fma_f32 v[186:187], v[186:187], v[102:103], v[190:191] neg_lo:[0,0,1] neg_hi:[0,0,1]
	v_mov_b32_e32 v120, 0
	v_pk_add_f32 v[60:61], v[60:61], v[186:187]
	v_mul_lo_u32 v118, v118, v219
	v_cvt_f32_i32_e32 v187, v118
	v_mul_lo_u32 v118, v245, v238
	v_cvt_f32_i32_e32 v192, v118
	v_mov_b32_e32 v118, 0
	v_dot4c_i32_i8_e32 v118, v233, v8
	v_mov_b32_e32 v8, 0
	v_dot4c_i32_i8_e32 v120, v231, v4
	v_dot4c_i32_i8_e32 v118, v189, v9
	;; [unrolled: 1-line block ×22, first 2 shown]
	v_mul_lo_u32 v122, v244, v219
	v_dot4c_i32_i8_e32 v8, v176, v3
	v_mul_lo_u32 v0, v243, v171
	v_mul_lo_u32 v1, v118, v171
	v_cvt_f32_i32_e32 v186, v122
	v_mul_lo_u32 v120, v120, v238
	v_cvt_f32_i32_e32 v1, v1
	v_cvt_f32_i32_e32 v0, v0
	v_mul_lo_u32 v4, v242, v170
	v_mul_lo_u32 v5, v8, v170
	v_cvt_f32_i32_e32 v193, v120
	v_cvt_f32_i32_e32 v5, v5
	;; [unrolled: 1-line block ×3, first 2 shown]
	v_pk_fma_f32 v[190:191], v[124:125], v[134:135], 0 op_sel_hi:[0,1,0]
	v_pk_fma_f32 v[2:3], v[116:117], v[134:135], 0 op_sel_hi:[0,1,0]
	;; [unrolled: 1-line block ×6, first 2 shown]
	v_pk_fma_f32 v[186:187], v[192:193], v[132:133], v[186:187]
	v_pk_mul_f32 v[190:191], v[190:191], v[108:109]
	v_pk_fma_f32 v[0:1], v[4:5], v[132:133], v[0:1]
	v_pk_mul_f32 v[2:3], v[2:3], v[112:113]
	v_pk_fma_f32 v[186:187], v[186:187], v[106:107], v[190:191] neg_lo:[0,0,1] neg_hi:[0,0,1]
	v_pk_fma_f32 v[0:1], v[0:1], v[110:111], v[2:3] neg_lo:[0,0,1] neg_hi:[0,0,1]
	s_add_i32 s16, s16, 16
	s_add_i32 s1, s1, 2
	v_pk_add_f32 v[72:73], v[72:73], v[186:187]
	v_pk_add_f32 v[84:85], v[84:85], v[0:1]
	v_add_u32_e32 v169, 32, v169
	v_add_u32_e32 v139, 8, v139
	;; [unrolled: 1-line block ×3, first 2 shown]
	s_cmp_lt_u32 s16, 24
	s_mov_b32 s16, s17
	s_cbranch_scc1 .LBB151_8
; %bb.9:                                ;   in Loop: Header=BB151_5 Depth=1
	s_add_i32 s7, s7, 1
	s_cmp_eq_u32 s7, s4
	s_barrier
	s_cbranch_scc0 .LBB151_5
; %bb.10:
	v_cvt_pk_f16_f32 v22, v32, v33
	v_cvt_pk_f16_f32 v20, v86, v87
	;; [unrolled: 1-line block ×16, first 2 shown]
	v_mov_b32_e32 v5, v21
.LBB151_11:
	v_cmp_gt_u32_e32 vcc, s8, v23
	s_and_saveexec_b64 s[0:1], vcc
	s_cbranch_execz .LBB151_62
; %bb.12:
	v_add_u32_e32 v0, s6, v17
	v_mul_lo_u32 v17, v23, s10
	v_cmp_gt_u32_e32 vcc, s10, v0
	s_and_saveexec_b64 s[0:1], vcc
	s_cbranch_execz .LBB151_14
; %bb.13:
	v_add_u32_e32 v6, v0, v17
	v_mov_b32_e32 v7, 0
	s_waitcnt lgkmcnt(0)
	v_lshl_add_u64 v[6:7], v[6:7], 1, s[12:13]
	global_store_short v[6:7], v22, off
.LBB151_14:
	s_or_b64 exec, exec, s[0:1]
	v_add_u32_e32 v6, 32, v0
	v_cmp_gt_u32_e64 s[0:1], s10, v6
	s_and_saveexec_b64 s[2:3], s[0:1]
	s_cbranch_execz .LBB151_16
; %bb.15:
	v_add_u32_e32 v24, v6, v17
	v_mov_b32_e32 v25, 0
	s_waitcnt lgkmcnt(0)
	v_lshl_add_u64 v[24:25], v[24:25], 1, s[12:13]
	global_store_short v[24:25], v20, off
.LBB151_16:
	s_or_b64 exec, exec, s[2:3]
	v_add_u32_e32 v7, 64, v0
	v_cmp_gt_u32_e64 s[2:3], s10, v7
	s_and_saveexec_b64 s[4:5], s[2:3]
	s_cbranch_execz .LBB151_18
; %bb.17:
	v_add_u32_e32 v24, v7, v17
	v_mov_b32_e32 v25, 0
	s_waitcnt lgkmcnt(0)
	v_lshl_add_u64 v[24:25], v[24:25], 1, s[12:13]
	global_store_short v[24:25], v19, off
.LBB151_18:
	s_or_b64 exec, exec, s[4:5]
	v_add_u32_e32 v8, 0x60, v0
	v_cmp_gt_u32_e64 s[4:5], s10, v8
	s_and_saveexec_b64 s[6:7], s[4:5]
	s_cbranch_execz .LBB151_20
; %bb.19:
	v_add_u32_e32 v24, v8, v17
	v_mov_b32_e32 v25, 0
	s_waitcnt lgkmcnt(0)
	v_lshl_add_u64 v[24:25], v[24:25], 1, s[12:13]
	global_store_short v[24:25], v18, off
.LBB151_20:
	s_or_b64 exec, exec, s[6:7]
	v_add3_u32 v17, v5, s11, 8
	v_cmp_gt_u32_e64 s[6:7], s8, v17
	s_and_b64 exec, exec, s[6:7]
	s_cbranch_execz .LBB151_62
; %bb.21:
	v_mul_lo_u32 v17, v17, s10
	s_and_saveexec_b64 s[6:7], vcc
	s_cbranch_execnz .LBB151_63
; %bb.22:
	s_or_b64 exec, exec, s[6:7]
	s_and_saveexec_b64 s[6:7], s[0:1]
	s_cbranch_execnz .LBB151_64
.LBB151_23:
	s_or_b64 exec, exec, s[6:7]
	s_and_saveexec_b64 s[6:7], s[2:3]
	s_cbranch_execnz .LBB151_65
.LBB151_24:
	s_or_b64 exec, exec, s[6:7]
	s_and_saveexec_b64 s[6:7], s[4:5]
	s_cbranch_execz .LBB151_26
.LBB151_25:
	v_add_u32_e32 v20, v17, v8
	v_mov_b32_e32 v21, 0
	s_waitcnt lgkmcnt(0)
	v_lshl_add_u64 v[20:21], v[20:21], 1, s[12:13]
	global_store_short_d16_hi v[20:21], v18, off
.LBB151_26:
	s_or_b64 exec, exec, s[6:7]
	v_add3_u32 v17, v5, s11, 16
	v_cmp_gt_u32_e64 s[6:7], s8, v17
	s_and_b64 exec, exec, s[6:7]
	s_cbranch_execz .LBB151_62
; %bb.27:
	v_mul_lo_u32 v17, v17, s10
	s_and_saveexec_b64 s[6:7], vcc
	s_cbranch_execnz .LBB151_66
; %bb.28:
	s_or_b64 exec, exec, s[6:7]
	s_and_saveexec_b64 s[6:7], s[0:1]
	s_cbranch_execnz .LBB151_67
.LBB151_29:
	s_or_b64 exec, exec, s[6:7]
	s_and_saveexec_b64 s[6:7], s[2:3]
	s_cbranch_execnz .LBB151_68
.LBB151_30:
	s_or_b64 exec, exec, s[6:7]
	s_and_saveexec_b64 s[6:7], s[4:5]
	s_cbranch_execz .LBB151_32
.LBB151_31:
	v_add_u32_e32 v18, v17, v8
	v_mov_b32_e32 v19, 0
	s_waitcnt lgkmcnt(0)
	v_lshl_add_u64 v[18:19], v[18:19], 1, s[12:13]
	global_store_short v[18:19], v13, off
.LBB151_32:
	s_or_b64 exec, exec, s[6:7]
	v_add3_u32 v17, v5, s11, 24
	v_cmp_gt_u32_e64 s[6:7], s8, v17
	s_and_b64 exec, exec, s[6:7]
	s_cbranch_execz .LBB151_62
; %bb.33:
	v_mul_lo_u32 v17, v17, s10
	s_and_saveexec_b64 s[6:7], vcc
	s_cbranch_execnz .LBB151_69
; %bb.34:
	s_or_b64 exec, exec, s[6:7]
	s_and_saveexec_b64 s[6:7], s[0:1]
	s_cbranch_execnz .LBB151_70
.LBB151_35:
	s_or_b64 exec, exec, s[6:7]
	s_and_saveexec_b64 s[6:7], s[2:3]
	s_cbranch_execnz .LBB151_71
.LBB151_36:
	s_or_b64 exec, exec, s[6:7]
	s_and_saveexec_b64 s[6:7], s[4:5]
	s_cbranch_execz .LBB151_38
.LBB151_37:
	v_add_u32_e32 v14, v17, v8
	v_mov_b32_e32 v15, 0
	s_waitcnt lgkmcnt(0)
	v_lshl_add_u64 v[14:15], v[14:15], 1, s[12:13]
	global_store_short_d16_hi v[14:15], v13, off
.LBB151_38:
	s_or_b64 exec, exec, s[6:7]
	v_add3_u32 v13, v5, s11, 32
	v_cmp_gt_u32_e64 s[6:7], s8, v13
	s_and_b64 exec, exec, s[6:7]
	s_cbranch_execz .LBB151_62
; %bb.39:
	v_mul_lo_u32 v13, v13, s10
	s_and_saveexec_b64 s[6:7], vcc
	s_cbranch_execnz .LBB151_72
; %bb.40:
	s_or_b64 exec, exec, s[6:7]
	s_and_saveexec_b64 s[6:7], s[0:1]
	s_cbranch_execnz .LBB151_73
.LBB151_41:
	s_or_b64 exec, exec, s[6:7]
	s_and_saveexec_b64 s[6:7], s[2:3]
	s_cbranch_execnz .LBB151_74
.LBB151_42:
	s_or_b64 exec, exec, s[6:7]
	s_and_saveexec_b64 s[6:7], s[4:5]
	s_cbranch_execz .LBB151_44
.LBB151_43:
	v_add_u32_e32 v14, v13, v8
	v_mov_b32_e32 v15, 0
	s_waitcnt lgkmcnt(0)
	v_lshl_add_u64 v[14:15], v[14:15], 1, s[12:13]
	global_store_short v[14:15], v9, off
.LBB151_44:
	s_or_b64 exec, exec, s[6:7]
	v_add3_u32 v13, v5, s11, 40
	v_cmp_gt_u32_e64 s[6:7], s8, v13
	s_and_b64 exec, exec, s[6:7]
	s_cbranch_execz .LBB151_62
; %bb.45:
	v_mul_lo_u32 v13, v13, s10
	s_and_saveexec_b64 s[6:7], vcc
	s_cbranch_execnz .LBB151_75
; %bb.46:
	s_or_b64 exec, exec, s[6:7]
	s_and_saveexec_b64 s[6:7], s[0:1]
	s_cbranch_execnz .LBB151_76
.LBB151_47:
	s_or_b64 exec, exec, s[6:7]
	s_and_saveexec_b64 s[6:7], s[2:3]
	s_cbranch_execnz .LBB151_77
.LBB151_48:
	s_or_b64 exec, exec, s[6:7]
	s_and_saveexec_b64 s[6:7], s[4:5]
	s_cbranch_execz .LBB151_50
.LBB151_49:
	v_add_u32_e32 v10, v13, v8
	v_mov_b32_e32 v11, 0
	s_waitcnt lgkmcnt(0)
	v_lshl_add_u64 v[10:11], v[10:11], 1, s[12:13]
	global_store_short_d16_hi v[10:11], v9, off
.LBB151_50:
	s_or_b64 exec, exec, s[6:7]
	v_add3_u32 v9, v5, s11, 48
	v_cmp_gt_u32_e64 s[6:7], s8, v9
	s_and_b64 exec, exec, s[6:7]
	s_cbranch_execz .LBB151_62
; %bb.51:
	v_mul_lo_u32 v9, v9, s10
	s_and_saveexec_b64 s[6:7], vcc
	s_cbranch_execnz .LBB151_78
; %bb.52:
	s_or_b64 exec, exec, s[6:7]
	s_and_saveexec_b64 s[6:7], s[0:1]
	s_cbranch_execnz .LBB151_79
.LBB151_53:
	s_or_b64 exec, exec, s[6:7]
	s_and_saveexec_b64 s[6:7], s[2:3]
	s_cbranch_execnz .LBB151_80
.LBB151_54:
	s_or_b64 exec, exec, s[6:7]
	s_and_saveexec_b64 s[6:7], s[4:5]
	s_cbranch_execz .LBB151_56
.LBB151_55:
	v_add_u32_e32 v10, v9, v8
	v_mov_b32_e32 v11, 0
	s_waitcnt lgkmcnt(0)
	v_lshl_add_u64 v[10:11], v[10:11], 1, s[12:13]
	global_store_short v[10:11], v1, off
.LBB151_56:
	s_or_b64 exec, exec, s[6:7]
	v_add3_u32 v5, v5, s11, 56
	v_cmp_gt_u32_e64 s[6:7], s8, v5
	s_and_b64 exec, exec, s[6:7]
	s_cbranch_execz .LBB151_62
; %bb.57:
	v_mul_lo_u32 v5, v5, s10
	s_and_saveexec_b64 s[6:7], vcc
	s_cbranch_execnz .LBB151_81
; %bb.58:
	s_or_b64 exec, exec, s[6:7]
	s_and_saveexec_b64 s[6:7], s[0:1]
	s_cbranch_execnz .LBB151_82
.LBB151_59:
	s_or_b64 exec, exec, s[6:7]
	s_and_saveexec_b64 s[0:1], s[2:3]
	s_cbranch_execnz .LBB151_83
.LBB151_60:
	s_or_b64 exec, exec, s[0:1]
	s_and_b64 exec, exec, s[4:5]
	s_cbranch_execz .LBB151_62
.LBB151_61:
	v_add_u32_e32 v2, v5, v8
	v_mov_b32_e32 v3, 0
	s_waitcnt lgkmcnt(0)
	v_lshl_add_u64 v[2:3], v[2:3], 1, s[12:13]
	global_store_short_d16_hi v[2:3], v1, off
.LBB151_62:
	s_endpgm
.LBB151_63:
	v_add_u32_e32 v24, v17, v0
	v_mov_b32_e32 v25, 0
	s_waitcnt lgkmcnt(0)
	v_lshl_add_u64 v[24:25], v[24:25], 1, s[12:13]
	global_store_short_d16_hi v[24:25], v22, off
	s_or_b64 exec, exec, s[6:7]
	s_and_saveexec_b64 s[6:7], s[0:1]
	s_cbranch_execz .LBB151_23
.LBB151_64:
	v_add_u32_e32 v22, v17, v6
	v_mov_b32_e32 v23, 0
	s_waitcnt lgkmcnt(0)
	v_lshl_add_u64 v[22:23], v[22:23], 1, s[12:13]
	global_store_short_d16_hi v[22:23], v20, off
	s_or_b64 exec, exec, s[6:7]
	s_and_saveexec_b64 s[6:7], s[2:3]
	s_cbranch_execz .LBB151_24
.LBB151_65:
	v_add_u32_e32 v20, v17, v7
	v_mov_b32_e32 v21, 0
	s_waitcnt lgkmcnt(0)
	v_lshl_add_u64 v[20:21], v[20:21], 1, s[12:13]
	global_store_short_d16_hi v[20:21], v19, off
	s_or_b64 exec, exec, s[6:7]
	s_and_saveexec_b64 s[6:7], s[4:5]
	s_cbranch_execnz .LBB151_25
	s_branch .LBB151_26
.LBB151_66:
	v_add_u32_e32 v18, v17, v0
	v_mov_b32_e32 v19, 0
	s_waitcnt lgkmcnt(0)
	v_lshl_add_u64 v[18:19], v[18:19], 1, s[12:13]
	global_store_short v[18:19], v16, off
	s_or_b64 exec, exec, s[6:7]
	s_and_saveexec_b64 s[6:7], s[0:1]
	s_cbranch_execz .LBB151_29
.LBB151_67:
	v_add_u32_e32 v18, v17, v6
	v_mov_b32_e32 v19, 0
	s_waitcnt lgkmcnt(0)
	v_lshl_add_u64 v[18:19], v[18:19], 1, s[12:13]
	global_store_short v[18:19], v15, off
	s_or_b64 exec, exec, s[6:7]
	s_and_saveexec_b64 s[6:7], s[2:3]
	s_cbranch_execz .LBB151_30
.LBB151_68:
	v_add_u32_e32 v18, v17, v7
	v_mov_b32_e32 v19, 0
	s_waitcnt lgkmcnt(0)
	v_lshl_add_u64 v[18:19], v[18:19], 1, s[12:13]
	global_store_short v[18:19], v14, off
	s_or_b64 exec, exec, s[6:7]
	s_and_saveexec_b64 s[6:7], s[4:5]
	s_cbranch_execnz .LBB151_31
	s_branch .LBB151_32
.LBB151_69:
	v_add_u32_e32 v18, v17, v0
	v_mov_b32_e32 v19, 0
	s_waitcnt lgkmcnt(0)
	v_lshl_add_u64 v[18:19], v[18:19], 1, s[12:13]
	global_store_short_d16_hi v[18:19], v16, off
	s_or_b64 exec, exec, s[6:7]
	s_and_saveexec_b64 s[6:7], s[0:1]
	s_cbranch_execz .LBB151_35
.LBB151_70:
	v_add_u32_e32 v18, v17, v6
	v_mov_b32_e32 v19, 0
	s_waitcnt lgkmcnt(0)
	v_lshl_add_u64 v[18:19], v[18:19], 1, s[12:13]
	global_store_short_d16_hi v[18:19], v15, off
	s_or_b64 exec, exec, s[6:7]
	s_and_saveexec_b64 s[6:7], s[2:3]
	s_cbranch_execz .LBB151_36
.LBB151_71:
	v_add_u32_e32 v18, v17, v7
	v_mov_b32_e32 v19, 0
	s_waitcnt lgkmcnt(0)
	v_lshl_add_u64 v[18:19], v[18:19], 1, s[12:13]
	global_store_short_d16_hi v[18:19], v14, off
	s_or_b64 exec, exec, s[6:7]
	s_and_saveexec_b64 s[6:7], s[4:5]
	s_cbranch_execnz .LBB151_37
	s_branch .LBB151_38
.LBB151_72:
	v_add_u32_e32 v14, v13, v0
	v_mov_b32_e32 v15, 0
	s_waitcnt lgkmcnt(0)
	v_lshl_add_u64 v[14:15], v[14:15], 1, s[12:13]
	global_store_short v[14:15], v12, off
	s_or_b64 exec, exec, s[6:7]
	s_and_saveexec_b64 s[6:7], s[0:1]
	s_cbranch_execz .LBB151_41
.LBB151_73:
	v_add_u32_e32 v14, v13, v6
	v_mov_b32_e32 v15, 0
	s_waitcnt lgkmcnt(0)
	v_lshl_add_u64 v[14:15], v[14:15], 1, s[12:13]
	global_store_short v[14:15], v11, off
	s_or_b64 exec, exec, s[6:7]
	s_and_saveexec_b64 s[6:7], s[2:3]
	s_cbranch_execz .LBB151_42
.LBB151_74:
	v_add_u32_e32 v14, v13, v7
	v_mov_b32_e32 v15, 0
	s_waitcnt lgkmcnt(0)
	v_lshl_add_u64 v[14:15], v[14:15], 1, s[12:13]
	global_store_short v[14:15], v10, off
	s_or_b64 exec, exec, s[6:7]
	s_and_saveexec_b64 s[6:7], s[4:5]
	s_cbranch_execnz .LBB151_43
	s_branch .LBB151_44
.LBB151_75:
	v_add_u32_e32 v14, v13, v0
	v_mov_b32_e32 v15, 0
	s_waitcnt lgkmcnt(0)
	v_lshl_add_u64 v[14:15], v[14:15], 1, s[12:13]
	global_store_short_d16_hi v[14:15], v12, off
	s_or_b64 exec, exec, s[6:7]
	s_and_saveexec_b64 s[6:7], s[0:1]
	s_cbranch_execz .LBB151_47
.LBB151_76:
	v_add_u32_e32 v14, v13, v6
	v_mov_b32_e32 v15, 0
	s_waitcnt lgkmcnt(0)
	v_lshl_add_u64 v[14:15], v[14:15], 1, s[12:13]
	global_store_short_d16_hi v[14:15], v11, off
	s_or_b64 exec, exec, s[6:7]
	s_and_saveexec_b64 s[6:7], s[2:3]
	s_cbranch_execz .LBB151_48
.LBB151_77:
	v_add_u32_e32 v14, v13, v7
	v_mov_b32_e32 v15, 0
	s_waitcnt lgkmcnt(0)
	v_lshl_add_u64 v[14:15], v[14:15], 1, s[12:13]
	global_store_short_d16_hi v[14:15], v10, off
	s_or_b64 exec, exec, s[6:7]
	s_and_saveexec_b64 s[6:7], s[4:5]
	s_cbranch_execnz .LBB151_49
	s_branch .LBB151_50
.LBB151_78:
	v_add_u32_e32 v10, v9, v0
	v_mov_b32_e32 v11, 0
	s_waitcnt lgkmcnt(0)
	v_lshl_add_u64 v[10:11], v[10:11], 1, s[12:13]
	global_store_short v[10:11], v4, off
	s_or_b64 exec, exec, s[6:7]
	s_and_saveexec_b64 s[6:7], s[0:1]
	s_cbranch_execz .LBB151_53
.LBB151_79:
	v_add_u32_e32 v10, v9, v6
	v_mov_b32_e32 v11, 0
	s_waitcnt lgkmcnt(0)
	v_lshl_add_u64 v[10:11], v[10:11], 1, s[12:13]
	global_store_short v[10:11], v3, off
	s_or_b64 exec, exec, s[6:7]
	s_and_saveexec_b64 s[6:7], s[2:3]
	s_cbranch_execz .LBB151_54
.LBB151_80:
	v_add_u32_e32 v10, v9, v7
	v_mov_b32_e32 v11, 0
	s_waitcnt lgkmcnt(0)
	v_lshl_add_u64 v[10:11], v[10:11], 1, s[12:13]
	global_store_short v[10:11], v2, off
	s_or_b64 exec, exec, s[6:7]
	s_and_saveexec_b64 s[6:7], s[4:5]
	s_cbranch_execnz .LBB151_55
	s_branch .LBB151_56
.LBB151_81:
	v_add_u32_e32 v10, v5, v0
	v_mov_b32_e32 v11, 0
	s_waitcnt lgkmcnt(0)
	v_lshl_add_u64 v[10:11], v[10:11], 1, s[12:13]
	global_store_short_d16_hi v[10:11], v4, off
	s_or_b64 exec, exec, s[6:7]
	s_and_saveexec_b64 s[6:7], s[0:1]
	s_cbranch_execz .LBB151_59
.LBB151_82:
	v_add_u32_e32 v10, v5, v6
	v_mov_b32_e32 v11, 0
	s_waitcnt lgkmcnt(0)
	v_lshl_add_u64 v[10:11], v[10:11], 1, s[12:13]
	global_store_short_d16_hi v[10:11], v3, off
	s_or_b64 exec, exec, s[6:7]
	s_and_saveexec_b64 s[0:1], s[2:3]
	s_cbranch_execz .LBB151_60
.LBB151_83:
	v_add_u32_e32 v6, v5, v7
	v_mov_b32_e32 v7, 0
	s_waitcnt lgkmcnt(0)
	v_lshl_add_u64 v[6:7], v[6:7], 1, s[12:13]
	global_store_short_d16_hi v[6:7], v2, off
	s_or_b64 exec, exec, s[0:1]
	s_and_b64 exec, exec, s[4:5]
	s_cbranch_execnz .LBB151_61
	s_branch .LBB151_62
	.section	.rodata,"a",@progbits
	.p2align	6, 0x0
	.amdhsa_kernel _ZL12mul_mat_q4_KIN3c104HalfELb0EEvPKvS3_PT_iiiii
		.amdhsa_group_segment_fixed_size 28752
		.amdhsa_private_segment_fixed_size 0
		.amdhsa_kernarg_size 44
		.amdhsa_user_sgpr_count 2
		.amdhsa_user_sgpr_dispatch_ptr 0
		.amdhsa_user_sgpr_queue_ptr 0
		.amdhsa_user_sgpr_kernarg_segment_ptr 1
		.amdhsa_user_sgpr_dispatch_id 0
		.amdhsa_user_sgpr_kernarg_preload_length 0
		.amdhsa_user_sgpr_kernarg_preload_offset 0
		.amdhsa_user_sgpr_private_segment_size 0
		.amdhsa_uses_dynamic_stack 0
		.amdhsa_enable_private_segment 0
		.amdhsa_system_sgpr_workgroup_id_x 1
		.amdhsa_system_sgpr_workgroup_id_y 1
		.amdhsa_system_sgpr_workgroup_id_z 0
		.amdhsa_system_sgpr_workgroup_info 0
		.amdhsa_system_vgpr_workitem_id 1
		.amdhsa_next_free_vgpr 256
		.amdhsa_next_free_sgpr 96
		.amdhsa_accum_offset 256
		.amdhsa_reserve_vcc 1
		.amdhsa_float_round_mode_32 0
		.amdhsa_float_round_mode_16_64 0
		.amdhsa_float_denorm_mode_32 3
		.amdhsa_float_denorm_mode_16_64 3
		.amdhsa_dx10_clamp 1
		.amdhsa_ieee_mode 1
		.amdhsa_fp16_overflow 0
		.amdhsa_tg_split 0
		.amdhsa_exception_fp_ieee_invalid_op 0
		.amdhsa_exception_fp_denorm_src 0
		.amdhsa_exception_fp_ieee_div_zero 0
		.amdhsa_exception_fp_ieee_overflow 0
		.amdhsa_exception_fp_ieee_underflow 0
		.amdhsa_exception_fp_ieee_inexact 0
		.amdhsa_exception_int_div_zero 0
	.end_amdhsa_kernel
	.section	.text._ZL12mul_mat_q4_KIN3c104HalfELb0EEvPKvS3_PT_iiiii,"axG",@progbits,_ZL12mul_mat_q4_KIN3c104HalfELb0EEvPKvS3_PT_iiiii,comdat
.Lfunc_end151:
	.size	_ZL12mul_mat_q4_KIN3c104HalfELb0EEvPKvS3_PT_iiiii, .Lfunc_end151-_ZL12mul_mat_q4_KIN3c104HalfELb0EEvPKvS3_PT_iiiii
                                        ; -- End function
	.set _ZL12mul_mat_q4_KIN3c104HalfELb0EEvPKvS3_PT_iiiii.num_vgpr, 256
	.set _ZL12mul_mat_q4_KIN3c104HalfELb0EEvPKvS3_PT_iiiii.num_agpr, 0
	.set _ZL12mul_mat_q4_KIN3c104HalfELb0EEvPKvS3_PT_iiiii.numbered_sgpr, 20
	.set _ZL12mul_mat_q4_KIN3c104HalfELb0EEvPKvS3_PT_iiiii.num_named_barrier, 0
	.set _ZL12mul_mat_q4_KIN3c104HalfELb0EEvPKvS3_PT_iiiii.private_seg_size, 0
	.set _ZL12mul_mat_q4_KIN3c104HalfELb0EEvPKvS3_PT_iiiii.uses_vcc, 1
	.set _ZL12mul_mat_q4_KIN3c104HalfELb0EEvPKvS3_PT_iiiii.uses_flat_scratch, 0
	.set _ZL12mul_mat_q4_KIN3c104HalfELb0EEvPKvS3_PT_iiiii.has_dyn_sized_stack, 0
	.set _ZL12mul_mat_q4_KIN3c104HalfELb0EEvPKvS3_PT_iiiii.has_recursion, 0
	.set _ZL12mul_mat_q4_KIN3c104HalfELb0EEvPKvS3_PT_iiiii.has_indirect_call, 0
	.section	.AMDGPU.csdata,"",@progbits
; Kernel info:
; codeLenInByte = 16604
; TotalNumSgprs: 26
; NumVgprs: 256
; NumAgprs: 0
; TotalNumVgprs: 256
; ScratchSize: 0
; MemoryBound: 0
; FloatMode: 240
; IeeeMode: 1
; LDSByteSize: 28752 bytes/workgroup (compile time only)
; SGPRBlocks: 12
; VGPRBlocks: 31
; NumSGPRsForWavesPerEU: 102
; NumVGPRsForWavesPerEU: 256
; AccumOffset: 256
; Occupancy: 2
; WaveLimiterHint : 0
; COMPUTE_PGM_RSRC2:SCRATCH_EN: 0
; COMPUTE_PGM_RSRC2:USER_SGPR: 2
; COMPUTE_PGM_RSRC2:TRAP_HANDLER: 0
; COMPUTE_PGM_RSRC2:TGID_X_EN: 1
; COMPUTE_PGM_RSRC2:TGID_Y_EN: 1
; COMPUTE_PGM_RSRC2:TGID_Z_EN: 0
; COMPUTE_PGM_RSRC2:TIDIG_COMP_CNT: 1
; COMPUTE_PGM_RSRC3_GFX90A:ACCUM_OFFSET: 63
; COMPUTE_PGM_RSRC3_GFX90A:TG_SPLIT: 0
	.section	.text._ZL12mul_mat_q4_KIN3c104HalfELb1EEvPKvS3_PT_iiiii,"axG",@progbits,_ZL12mul_mat_q4_KIN3c104HalfELb1EEvPKvS3_PT_iiiii,comdat
	.globl	_ZL12mul_mat_q4_KIN3c104HalfELb1EEvPKvS3_PT_iiiii ; -- Begin function _ZL12mul_mat_q4_KIN3c104HalfELb1EEvPKvS3_PT_iiiii
	.p2align	8
	.type	_ZL12mul_mat_q4_KIN3c104HalfELb1EEvPKvS3_PT_iiiii,@function
_ZL12mul_mat_q4_KIN3c104HalfELb1EEvPKvS3_PT_iiiii: ; @_ZL12mul_mat_q4_KIN3c104HalfELb1EEvPKvS3_PT_iiiii
; %bb.0:
	s_load_dwordx4 s[8:11], s[0:1], 0x18
	s_load_dword s14, s[0:1], 0x28
	s_lshl_b32 s15, s3, 6
	v_bfe_u32 v66, v0, 10, 10
	s_waitcnt lgkmcnt(0)
	s_cmpk_gt_i32 s8, 0xff
	s_cbranch_scc1 .LBB152_2
; %bb.1:
	v_bfe_u32 v5, v0, 10, 10
	v_and_b32_e32 v17, 0x3ff, v0
	v_add_u32_e32 v6, s15, v5
	s_mov_b64 s[4:5], 0
	s_branch .LBB152_3
.LBB152_2:
	s_mov_b64 s[4:5], -1
                                        ; implicit-def: $vgpr5
                                        ; implicit-def: $vgpr17
                                        ; implicit-def: $vgpr6
.LBB152_3:
	s_load_dwordx2 s[12:13], s[0:1], 0x10
	s_lshl_b32 s6, s2, 7
	s_mov_b32 s7, 0
	v_mov_b32_e32 v1, 0
	s_andn2_b64 vcc, exec, s[4:5]
	v_mov_b32_e32 v9, 0
	v_mov_b32_e32 v13, 0
	;; [unrolled: 1-line block ×15, first 2 shown]
	s_cbranch_vccnz .LBB152_11
; %bb.4:
	s_ashr_i32 s4, s8, 31
	s_load_dwordx4 s[0:3], s[0:1], 0x0
	s_lshr_b32 s4, s4, 24
	s_add_i32 s4, s8, s4
	s_ashr_i32 s5, s11, 31
	s_ashr_i32 s4, s4, 8
	s_lshr_b32 s5, s5, 27
	s_add_i32 s5, s11, s5
	s_mul_i32 s8, s4, s6
	s_ashr_i32 s17, s5, 5
	s_mul_hi_i32 s11, s8, 0x90
	s_mulk_i32 s8, 0x90
	s_waitcnt lgkmcnt(0)
	s_add_u32 s8, s0, s8
	s_addc_u32 s11, s1, s11
	s_not_b32 s0, s6
	s_add_i32 s9, s9, s0
	v_and_b32_e32 v17, 0x3ff, v0
	v_lshlrev_b32_e32 v2, 2, v17
	v_min_i32_e32 v1, s9, v66
	s_movk_i32 s16, 0x84
                                        ; kill: def $vgpr3 killed $sgpr0 killed $exec
	v_mad_u64_u32 v[4:5], s[0:1], v1, s16, v[2:3]
	scratch_store_dwordx2 off, v[4:5], off  ; 8-byte Folded Spill
	v_add_u32_e32 v5, 8, v66
	v_min_i32_e32 v10, s9, v5
	v_add_u32_e32 v11, 16, v66
	v_mad_u64_u32 v[6:7], s[0:1], v10, s16, v[2:3]
	v_min_i32_e32 v12, s9, v11
	v_add_u32_e32 v13, 24, v66
	scratch_store_dwordx2 off, v[6:7], off offset:8 ; 8-byte Folded Spill
	v_mad_u64_u32 v[6:7], s[0:1], v12, s16, v[2:3]
	v_min_i32_e32 v14, s9, v13
	v_add_u32_e32 v15, 32, v66
	scratch_store_dwordx2 off, v[6:7], off offset:16 ; 8-byte Folded Spill
	v_mad_u64_u32 v[6:7], s[0:1], v14, s16, v[2:3]
	v_min_i32_e32 v20, s9, v15
	v_add_u32_e32 v21, 40, v66
	v_add_u32_e32 v24, 48, v66
	;; [unrolled: 1-line block ×3, first 2 shown]
	scratch_store_dwordx2 off, v[6:7], off offset:24 ; 8-byte Folded Spill
	v_mad_u64_u32 v[6:7], s[0:1], v20, s16, v[2:3]
	v_min_i32_e32 v22, s9, v21
	v_min_i32_e32 v36, s9, v24
	;; [unrolled: 1-line block ×3, first 2 shown]
	scratch_store_dwordx2 off, v[6:7], off offset:32 ; 8-byte Folded Spill
	v_mad_u64_u32 v[6:7], s[0:1], v22, s16, v[2:3]
	v_mad_u64_u32 v[32:33], s[0:1], v36, s16, v[2:3]
	;; [unrolled: 1-line block ×3, first 2 shown]
	v_add_u32_e32 v3, 64, v66
	v_min_i32_e32 v38, s9, v3
	scratch_store_dwordx2 off, v[6:7], off offset:40 ; 8-byte Folded Spill
	v_mad_u64_u32 v[6:7], s[0:1], v38, s16, v[2:3]
	v_add_u32_e32 v3, 0x48, v66
	v_min_i32_e32 v39, s9, v3
	scratch_store_dwordx2 off, v[6:7], off offset:48 ; 8-byte Folded Spill
	v_mad_u64_u32 v[6:7], s[0:1], v39, s16, v[2:3]
	v_add_u32_e32 v3, 0x50, v66
	v_min_i32_e32 v63, s9, v3
	v_mad_u64_u32 v[40:41], s[0:1], v63, s16, v[2:3]
	v_add_u32_e32 v3, 0x58, v66
	v_min_i32_e32 v84, s9, v3
	;; [unrolled: 3-line block ×5, first 2 shown]
	v_add_u32_e32 v3, 0x78, v66
	v_lshlrev_b32_e32 v23, 5, v66
	v_min_i32_e32 v92, s9, v3
	v_add_u32_e32 v3, v23, v17
	v_and_b32_e32 v3, 0x7f, v3
	v_min_i32_e32 v93, s9, v3
	v_ashrrev_i32_e32 v3, 31, v93
	v_lshrrev_b32_e32 v3, 27, v3
	v_add_u32_e32 v3, v93, v3
	v_ashrrev_i32_e32 v3, 5, v3
	v_lshlrev_b32_e32 v3, 2, v3
	v_lshlrev_b32_e32 v4, 2, v93
	s_movk_i32 s18, 0x6e40
	v_add3_u32 v25, v3, v4, s18
	v_and_b32_e32 v4, 3, v0
	scratch_store_dwordx2 off, v[6:7], off offset:56 ; 8-byte Folded Spill
	v_add_u32_e32 v6, 0xfe, v4
	v_bfe_u32 v3, v0, 2, 8
	v_and_b32_e32 v6, 0xff, v6
	v_cmp_gt_u32_e32 vcc, 2, v4
	v_lshl_add_u32 v3, v66, 3, v3
	v_lshlrev_b32_e32 v8, 2, v4
	v_cndmask_b32_e32 v58, v6, v4, vcc
	v_and_b32_e32 v6, 4, v2
	v_cmp_lt_u32_e32 vcc, 1, v4
	s_movk_i32 s0, 0x6200
	v_and_b32_e32 v9, 31, v0
	v_cndmask_b32_e32 v27, 0, v6, vcc
	v_and_b32_e32 v6, 0x7f, v3
	v_min_i32_e32 v96, s9, v6
	v_ashrrev_i32_e32 v6, 31, v96
	v_lshrrev_b32_e32 v6, 29, v6
	v_add_u32_e32 v6, v96, v6
	v_ashrrev_i32_e32 v6, 3, v6
	v_lshlrev_b32_e32 v6, 2, v6
	v_add3_u32 v26, v6, v8, s0
	v_mov_b32_e32 v6, 0x7f
	v_bitop3_b32 v6, v3, 64, v6 bitop3:0x6c
	v_min_i32_e32 v97, s9, v6
	v_ashrrev_i32_e32 v6, 31, v97
	v_lshrrev_b32_e32 v6, 29, v6
	v_add_u32_e32 v6, v97, v6
	v_ashrrev_i32_e32 v6, 3, v6
	v_lshlrev_b32_e32 v6, 2, v6
	v_mov_b32_e32 v29, 0x4200
	v_and_b32_e32 v3, 63, v3
	v_add3_u32 v41, v6, v8, s0
	s_add_i32 s0, s10, -1
	v_lshl_or_b32 v56, v9, 2, v29
	v_or_b32_e32 v9, s15, v3
	v_add_u32_e32 v31, s15, v66
	v_min_i32_e32 v9, s0, v9
	v_cvt_f64_i32_e32 v[6:7], s0
	v_mad_u64_u32 v[48:49], s[0:1], v9, s17, v[4:5]
	v_lshl_or_b32 v45, v3, 4, v8
	v_cvt_f64_u32_e32 v[8:9], v31
	v_min_f64 v[8:9], v[8:9], v[6:7]
	v_add_u32_e32 v3, 8, v31
	v_cvt_i32_f64_e32 v49, v[8:9]
	v_cvt_f64_u32_e32 v[8:9], v3
	v_min_f64 v[8:9], v[8:9], v[6:7]
	v_add_u32_e32 v3, 16, v31
	v_cvt_i32_f64_e32 v54, v[8:9]
	v_cvt_f64_u32_e32 v[8:9], v3
	v_min_f64 v[8:9], v[8:9], v[6:7]
	v_add_u32_e32 v3, 24, v31
	v_cvt_i32_f64_e32 v55, v[8:9]
	v_cvt_f64_u32_e32 v[8:9], v3
	v_min_f64 v[8:9], v[8:9], v[6:7]
	v_add_u32_e32 v3, 32, v31
	v_cvt_i32_f64_e32 v57, v[8:9]
	v_cvt_f64_u32_e32 v[8:9], v3
	v_min_f64 v[8:9], v[8:9], v[6:7]
	v_add_u32_e32 v3, 40, v31
	v_cvt_i32_f64_e32 v59, v[8:9]
	v_cvt_f64_u32_e32 v[8:9], v3
	v_min_f64 v[8:9], v[8:9], v[6:7]
	v_add_u32_e32 v3, 48, v31
	v_cvt_i32_f64_e32 v60, v[8:9]
	v_cvt_f64_u32_e32 v[8:9], v3
	v_min_f64 v[8:9], v[8:9], v[6:7]
	v_add_u32_e32 v3, 56, v31
	v_cvt_i32_f64_e32 v61, v[8:9]
	v_cvt_f64_u32_e32 v[8:9], v3
	v_min_f64 v[6:7], v[8:9], v[6:7]
	v_bfe_u32 v16, v0, 5, 5
	v_cvt_i32_f64_e32 v6, v[6:7]
	v_add_u32_e32 v7, 32, v17
	scratch_store_dword off, v31, off offset:76 ; 4-byte Folded Spill
	v_lshlrev_b32_e32 v3, 2, v16
	v_lshrrev_b32_e32 v31, 3, v7
	v_add_u32_e32 v8, 64, v17
	v_add3_u32 v29, v3, v2, s18
	v_and_b32_e32 v3, 60, v31
	v_lshrrev_b32_e32 v9, 3, v8
	v_add_u32_e32 v62, 0x60, v17
	v_add3_u32 v33, v2, v3, s18
	v_and_b32_e32 v3, 60, v9
	v_lshrrev_b32_e32 v64, 3, v62
	v_add3_u32 v35, v2, v3, s18
	v_and_b32_e32 v3, 60, v64
	v_mad_u64_u32 v[50:51], s[0:1], v90, s16, v[2:3]
	v_mad_u64_u32 v[52:53], s[0:1], v92, s16, v[2:3]
	v_bfe_u32 v47, v0, 3, 7
	v_lshlrev_b32_e32 v0, 7, v5
	v_mov_b32_e32 v19, 0
	v_lshlrev_b32_e32 v28, 4, v96
	v_lshlrev_b32_e32 v43, 4, v97
	;; [unrolled: 1-line block ×15, first 2 shown]
	v_mov_b32_e32 v30, 0x1080
	v_add_u32_e32 v99, v56, v0
	v_lshlrev_b32_e32 v0, 7, v66
	v_cmp_ne_u32_e64 s[0:1], 0, v4
	v_and_b32_e32 v18, 0x7c, v2
	v_add_u32_e32 v26, v26, v28
	v_add_u32_e32 v28, v41, v43
	v_add3_u32 v41, v2, v3, s18
	v_lshlrev_b32_e32 v43, 2, v2
	v_and_b32_e32 v2, 28, v2
	v_mov_b32_e32 v3, v19
	v_mad_u32_u24 v89, v17, s16, v30
	v_mov_b32_e32 v30, 0x2100
	v_add_u32_e32 v157, v56, v0
	v_add_u32_e32 v159, 0x4200, v0
	v_addc_co_u32_e64 v0, s[0:1], 0, v58, s[0:1]
	v_mul_lo_u32 v51, s17, v54
	v_mul_lo_u32 v53, s17, v55
	;; [unrolled: 1-line block ×4, first 2 shown]
	v_lshlrev_b32_e32 v6, 2, v7
	v_lshlrev_b32_e32 v7, 2, v8
	;; [unrolled: 1-line block ×3, first 2 shown]
	v_mad_u32_u24 v91, v17, s16, v30
	v_mov_b32_e32 v30, 0x3180
	v_lshl_add_u64 v[54:55], s[2:3], 0, v[2:3]
	v_mov_b32_e32 v2, 0x6a40
	v_add_u32_e32 v105, v56, v5
	v_add_u32_e32 v147, v56, v11
	;; [unrolled: 1-line block ×6, first 2 shown]
	v_mov_b32_e32 v56, v19
	v_mov_b32_e32 v57, v19
	v_lshlrev_b32_e32 v173, 1, v58
	v_lshlrev_b32_e32 v58, 2, v0
	v_cndmask_b32_e64 v0, 0, 1, vcc
	s_movk_i32 s5, 0x90
	v_add_u32_e32 v45, 0x6a40, v45
	v_mul_lo_u32 v49, s17, v49
	v_mul_lo_u32 v67, s17, v59
	;; [unrolled: 1-line block ×4, first 2 shown]
	v_mad_u32_u24 v95, v17, s16, v30
	v_lshl_add_u32 v30, v66, 4, v2
	scratch_store_dword off, v66, off offset:72 ; 4-byte Folded Spill
	v_lshlrev_b32_e32 v161, 2, v64
	v_lshlrev_b32_e32 v172, 2, v9
	v_mov_b32_e32 v59, v19
	v_lshlrev_b32_e32 v60, 2, v0
	v_mov_b32_e32 v61, v19
	s_mov_b32 s9, 0x30303030
	v_lshlrev_b32_e32 v174, 2, v6
	v_lshlrev_b32_e32 v175, 2, v7
	;; [unrolled: 1-line block ×3, first 2 shown]
	v_mul_lo_u32 v62, v1, s4
	v_mul_lo_u32 v64, v10, s4
	;; [unrolled: 1-line block ×19, first 2 shown]
	v_mad_u32_u24 v177, v17, s16, 64
	v_lshlrev_b32_e32 v178, 2, v31
	v_lshlrev_b32_e32 v179, 2, v47
	v_mov_b64_e32 v[106:107], v[56:57]
	v_mov_b64_e32 v[100:101], v[56:57]
	;; [unrolled: 1-line block ×15, first 2 shown]
	scratch_store_dwordx2 off, v[0:1], off offset:64 ; 8-byte Folded Spill
.LBB152_5:                              ; =>This Loop Header: Depth=1
                                        ;     Child Loop BB152_6 Depth 2
                                        ;     Child Loop BB152_8 Depth 2
	s_mul_i32 s0, s7, 0x90
	s_mul_hi_u32 s1, s7, 0x90
	s_add_u32 s0, s8, s0
	s_addc_u32 s1, s11, s1
	v_mov_b64_e32 v[0:1], s[0:1]
	v_mad_u64_u32 v[2:3], s[0:1], v16, s5, v[0:1]
	v_mad_i64_i32 v[4:5], s[0:1], v62, s5, v[2:3]
	v_mad_i64_i32 v[6:7], s[0:1], v64, s5, v[2:3]
	;; [unrolled: 1-line block ×8, first 2 shown]
	v_lshl_add_u64 v[4:5], v[4:5], 0, v[18:19]
	v_lshl_add_u64 v[6:7], v[6:7], 0, v[18:19]
	;; [unrolled: 1-line block ×8, first 2 shown]
	global_load_dword v22, v[4:5], off offset:16
	global_load_dword v24, v[6:7], off offset:16
	;; [unrolled: 1-line block ×7, first 2 shown]
	s_nop 0
	global_load_dword v36, v[36:37], off offset:16
	v_mad_i64_i32 v[4:5], s[0:1], v78, s5, v[2:3]
	v_mad_i64_i32 v[6:7], s[0:1], v80, s5, v[2:3]
	;; [unrolled: 1-line block ×8, first 2 shown]
	v_lshl_add_u64 v[4:5], v[4:5], 0, v[18:19]
	v_lshl_add_u64 v[20:21], v[20:21], 0, v[18:19]
	;; [unrolled: 1-line block ×8, first 2 shown]
	global_load_dword v37, v[4:5], off offset:16
	global_load_dword v130, v[6:7], off offset:16
	;; [unrolled: 1-line block ×6, first 2 shown]
	s_nop 0
	global_load_dword v20, v[20:21], off offset:16
	s_nop 0
	global_load_dword v21, v[2:3], off offset:16
	s_nop 0
	scratch_load_dwordx2 v[2:3], off, off offset:64 ; 8-byte Folded Reload
	v_mad_i64_i32 v[4:5], s[0:1], v98, s5, v[0:1]
	s_lshl_b32 s16, s7, 3
	v_lshl_add_u64 v[6:7], v[4:5], 0, v[58:59]
	v_lshl_add_u64 v[4:5], v[4:5], 0, v[60:61]
	v_add_u32_e32 v14, s16, v47
	v_add_u32_e32 v180, s16, v48
	;; [unrolled: 1-line block ×4, first 2 shown]
	v_mad_i64_i32 v[10:11], s[0:1], v10, 36, v[54:55]
	v_mad_i64_i32 v[12:13], s[0:1], v12, 36, v[54:55]
	s_mov_b32 s18, 0
	s_waitcnt vmcnt(0)
	v_mad_i64_i32 v[2:3], s[0:1], v2, s5, v[0:1]
	v_mad_i64_i32 v[0:1], s[0:1], v104, s5, v[0:1]
	v_lshl_add_u64 v[8:9], v[0:1], 0, v[58:59]
	v_lshl_add_u64 v[0:1], v[0:1], 0, v[60:61]
	global_load_dword v135, v[2:3], off
	global_load_dword v136, v[6:7], off offset:4
	global_load_dword v137, v[4:5], off offset:4
	;; [unrolled: 1-line block ×4, first 2 shown]
	v_add_u32_e32 v0, v14, v49
	v_add_u32_e32 v2, v14, v51
	;; [unrolled: 1-line block ×5, first 2 shown]
	v_mad_i64_i32 v[0:1], s[0:1], v0, 36, v[54:55]
	v_mad_i64_i32 v[2:3], s[0:1], v2, 36, v[54:55]
	;; [unrolled: 1-line block ×5, first 2 shown]
	v_add_u32_e32 v14, v14, v73
	v_mad_i64_i32 v[14:15], s[0:1], v14, 36, v[54:55]
	global_load_dword v140, v[0:1], off offset:4
	s_nop 0
	global_load_dword v2, v[2:3], off offset:4
	s_nop 0
	;; [unrolled: 2-line block ×3, first 2 shown]
	global_load_dword v4, v[6:7], off offset:4
	global_load_dword v5, v[8:9], off offset:4
	s_nop 0
	global_load_dword v6, v[10:11], off offset:4
	global_load_dword v7, v[12:13], off offset:4
	global_load_dword v8, v[14:15], off offset:4
	v_mad_u64_u32 v[0:1], s[0:1], v180, 36, s[2:3]
	global_load_dword v0, v[0:1], off
	s_nop 0
	scratch_load_dwordx2 v[10:11], off, off ; 8-byte Folded Reload
	s_mov_b64 s[0:1], -1
	s_waitcnt vmcnt(13)
	v_ashrrev_i32_e32 v1, v27, v136
	v_and_b32_e32 v1, 0xf0f0f0f, v1
	s_waitcnt vmcnt(12)
	v_ashrrev_i32_e32 v9, v173, v137
	v_and_or_b32 v1, v9, s9, v1
	s_waitcnt vmcnt(10)
	v_ashrrev_i32_e32 v9, v173, v139
	s_waitcnt vmcnt(0)
	ds_write_b32 v10, v22
	scratch_load_dwordx2 v[10:11], off, off offset:8 ; 8-byte Folded Reload
	s_waitcnt vmcnt(0)
	ds_write_b32 v10, v24
	scratch_load_dwordx2 v[10:11], off, off offset:16 ; 8-byte Folded Reload
	;; [unrolled: 3-line block ×5, first 2 shown]
	s_waitcnt vmcnt(0)
	ds_write_b32 v10, v96
	ds_write_b32 v32, v97
	;; [unrolled: 1-line block ×3, first 2 shown]
	scratch_load_dwordx2 v[10:11], off, off offset:48 ; 8-byte Folded Reload
	s_waitcnt vmcnt(0)
	ds_write_b32 v10, v37
	scratch_load_dwordx2 v[10:11], off, off offset:56 ; 8-byte Folded Reload
	s_waitcnt vmcnt(0)
	ds_write_b32 v10, v130
	ds_write_b32 v40, v131
	;; [unrolled: 1-line block ×9, first 2 shown]
	v_ashrrev_i32_e32 v1, v27, v138
	v_and_b32_e32 v1, 0xf0f0f0f, v1
	v_and_or_b32 v1, v9, s9, v1
	ds_write_b32 v28, v1
	ds_write_b32 v157, v140
	;; [unrolled: 1-line block ×10, first 2 shown]
	s_waitcnt lgkmcnt(0)
	s_barrier
	ds_read_b32 v0, v29
	ds_read_b32 v1, v33 offset:128
	ds_read_b32 v2, v35 offset:256
	;; [unrolled: 1-line block ×3, first 2 shown]
	s_waitcnt lgkmcnt(3)
	v_cvt_f32_f16_e32 v130, v0
	v_cvt_f32_f16_sdwa v132, v0 dst_sel:DWORD dst_unused:UNUSED_PAD src0_sel:WORD_1
	s_waitcnt lgkmcnt(2)
	v_cvt_f32_f16_e32 v134, v1
	v_cvt_f32_f16_sdwa v136, v1 dst_sel:DWORD dst_unused:UNUSED_PAD src0_sel:WORD_1
	;; [unrolled: 3-line block ×4, first 2 shown]
	v_mov_b32_e32 v131, v130
	v_mov_b32_e32 v133, v132
	;; [unrolled: 1-line block ×8, first 2 shown]
.LBB152_6:                              ;   Parent Loop BB152_5 Depth=1
                                        ; =>  This Inner Loop Header: Depth=2
	s_lshl_b32 s17, s18, 1
	v_or_b32_e32 v0, s17, v23
	v_lshlrev_b32_e32 v1, 2, v0
	v_lshrrev_b32_e32 v20, 1, v0
	s_lshr_b32 s19, s18, 2
	ds_read_b128 v[12:15], v1 offset:16896
	ds_read_b128 v[8:11], v1 offset:16912
	;; [unrolled: 1-line block ×4, first 2 shown]
	ds_read_b64 v[162:163], v20 offset:27200
	s_lshl_b32 s18, s18, 2
	v_mul_u32_u24_e32 v20, 0x84, v17
	v_add_u32_e32 v24, s18, v20
	ds_read2_b32 v[20:21], v24 offset1:1
	ds_read2_b32 v[36:37], v24 offset0:2 offset1:3
	ds_read2_b32 v[38:39], v24 offset0:4 offset1:5
	;; [unrolled: 1-line block ×3, first 2 shown]
	s_addk_i32 s19, 0x6200
	s_waitcnt lgkmcnt(3)
	v_and_b32_e32 v193, 0xf0f0f0f, v20
	v_lshrrev_b32_e32 v20, 4, v20
	v_and_b32_e32 v194, 0xf0f0f0f, v20
	v_lshrrev_b32_e32 v20, 4, v21
	v_and_b32_e32 v213, 0xf0f0f0f, v20
	s_waitcnt lgkmcnt(2)
	v_lshrrev_b32_e32 v20, 4, v36
	v_add3_u32 v22, s19, v179, v43
	v_and_b32_e32 v214, 0xf0f0f0f, v20
	v_lshrrev_b32_e32 v20, 4, v37
	ds_read_u16 v24, v22
	ds_read_u16 v22, v22 offset:8
	v_and_b32_e32 v215, 0xf0f0f0f, v20
	s_waitcnt lgkmcnt(3)
	v_lshrrev_b32_e32 v20, 4, v38
	v_and_b32_e32 v216, 0xf0f0f0f, v20
	v_lshrrev_b32_e32 v20, 4, v39
	v_and_b32_e32 v195, 0xf0f0f0f, v21
	v_and_b32_e32 v217, 0xf0f0f0f, v20
	s_waitcnt lgkmcnt(2)
	v_lshrrev_b32_e32 v20, 4, v164
	v_add_u32_e32 v21, s18, v89
	v_and_b32_e32 v197, 0xf0f0f0f, v36
	v_and_b32_e32 v198, 0xf0f0f0f, v37
	v_and_b32_e32 v218, 0xf0f0f0f, v20
	v_lshrrev_b32_e32 v20, 4, v165
	ds_read2_b32 v[36:37], v21 offset1:1
	ds_read2_b32 v[166:167], v21 offset0:6 offset1:7
	v_and_b32_e32 v199, 0xf0f0f0f, v38
	v_and_b32_e32 v200, 0xf0f0f0f, v39
	;; [unrolled: 1-line block ×3, first 2 shown]
	v_add3_u32 v20, s19, v178, v174
	ds_read2_b32 v[38:39], v21 offset0:2 offset1:3
	v_and_b32_e32 v201, 0xf0f0f0f, v164
	v_and_b32_e32 v202, 0xf0f0f0f, v165
	s_waitcnt lgkmcnt(3)
	v_cvt_f32_ubyte0_e32 v150, v22
	v_cvt_f32_ubyte1_e32 v154, v22
	ds_read2_b32 v[164:165], v21 offset0:4 offset1:5
	ds_read_u16 v22, v20
	ds_read_u16 v20, v20 offset:8
	v_and_b32_e32 v192, 0xff, v24
	v_lshrrev_b16_e32 v211, 8, v24
	s_waitcnt lgkmcnt(5)
	v_lshrrev_b32_e32 v24, 4, v37
	s_waitcnt lgkmcnt(1)
	v_and_b32_e32 v203, 0xff, v22
	v_and_b32_e32 v221, 0xf0f0f0f, v24
	v_lshrrev_b32_e32 v24, 4, v38
	v_lshrrev_b16_e32 v225, 8, v22
	v_add_u32_e32 v22, s18, v91
	v_and_b32_e32 v191, 0xf0f0f0f, v36
	v_and_b32_e32 v205, 0xf0f0f0f, v37
	v_lshrrev_b32_e32 v21, 4, v36
	v_and_b32_e32 v222, 0xf0f0f0f, v24
	v_lshrrev_b32_e32 v24, 4, v39
	ds_read2_b32 v[36:37], v22 offset1:1
	v_and_b32_e32 v206, 0xf0f0f0f, v38
	v_and_b32_e32 v207, 0xf0f0f0f, v39
	;; [unrolled: 1-line block ×3, first 2 shown]
	v_lshrrev_b32_e32 v24, 4, v164
	ds_read2_b32 v[38:39], v22 offset0:2 offset1:3
	v_and_b32_e32 v224, 0xf0f0f0f, v24
	v_lshrrev_b32_e32 v24, 4, v165
	v_and_b32_e32 v208, 0xf0f0f0f, v164
	v_and_b32_e32 v209, 0xf0f0f0f, v165
	;; [unrolled: 1-line block ×3, first 2 shown]
	v_lshrrev_b32_e32 v24, 4, v166
	ds_read2_b32 v[164:165], v22 offset0:4 offset1:5
	s_waitcnt lgkmcnt(3)
	v_cvt_f32_ubyte0_e32 v152, v20
	v_and_b32_e32 v227, 0xf0f0f0f, v24
	v_lshrrev_b32_e32 v24, 4, v167
	v_cvt_f32_ubyte1_e32 v156, v20
	v_add3_u32 v20, s19, v172, v175
	v_and_b32_e32 v210, 0xf0f0f0f, v166
	v_and_b32_e32 v212, 0xf0f0f0f, v167
	;; [unrolled: 1-line block ×3, first 2 shown]
	ds_read2_b32 v[166:167], v22 offset0:6 offset1:7
	s_waitcnt lgkmcnt(3)
	v_and_b32_e32 v196, 0xf0f0f0f, v36
	ds_read_u16 v22, v20
	ds_read_u16 v24, v20 offset:8
	v_lshrrev_b32_e32 v20, 4, v36
	v_lshrrev_b32_e32 v36, 4, v37
	v_and_b32_e32 v238, 0xf0f0f0f, v36
	s_waitcnt lgkmcnt(4)
	v_lshrrev_b32_e32 v36, 4, v38
	v_and_b32_e32 v239, 0xf0f0f0f, v36
	v_lshrrev_b32_e32 v36, 4, v39
	v_and_b32_e32 v240, 0xf0f0f0f, v36
	s_waitcnt lgkmcnt(3)
	v_lshrrev_b32_e32 v36, 4, v164
	v_and_b32_e32 v241, 0xf0f0f0f, v36
	;; [unrolled: 5-line block ×3, first 2 shown]
	v_and_b32_e32 v244, 0xf0f0f0f, v36
	v_lshrrev_b32_e32 v36, 4, v167
	v_add_u32_e32 v38, s18, v95
	v_and_b32_e32 v231, 0xf0f0f0f, v37
	v_and_b32_e32 v245, 0xf0f0f0f, v36
	ds_read2_b32 v[36:37], v38 offset1:1
	v_mov_b32_e32 v253, 0
	v_mov_b32_e32 v254, 0
	;; [unrolled: 1-line block ×3, first 2 shown]
	s_waitcnt lgkmcnt(2)
	v_and_b32_e32 v229, 0xff, v22
	v_lshrrev_b16_e32 v242, 8, v22
	s_waitcnt lgkmcnt(0)
	v_and_b32_e32 v220, 0xf0f0f0f, v36
	v_mov_b32_e32 v22, 0
	v_dot4c_i32_i8_e32 v253, v193, v12
	v_dot4c_i32_i8_e32 v254, v191, v12
	;; [unrolled: 1-line block ×4, first 2 shown]
	v_and_b32_e32 v246, 0xf0f0f0f, v37
	v_dot4c_i32_i8_e32 v253, v195, v13
	v_dot4c_i32_i8_e32 v254, v205, v13
	;; [unrolled: 1-line block ×4, first 2 shown]
	ds_read2_b32 v[12:13], v38 offset0:2 offset1:3
	v_dot4c_i32_i8_e32 v253, v197, v14
	v_dot4c_i32_i8_e32 v254, v206, v14
	;; [unrolled: 1-line block ×3, first 2 shown]
	v_and_b32_e32 v233, 0xf0f0f0f, v39
	s_waitcnt lgkmcnt(0)
	v_and_b32_e32 v247, 0xf0f0f0f, v12
	v_dot4c_i32_i8_e32 v22, v247, v14
	v_and_b32_e32 v248, 0xf0f0f0f, v13
	v_dot4c_i32_i8_e32 v253, v198, v15
	v_dot4c_i32_i8_e32 v254, v207, v15
	;; [unrolled: 1-line block ×4, first 2 shown]
	ds_read2_b32 v[14:15], v38 offset0:4 offset1:5
	v_and_b32_e32 v234, 0xf0f0f0f, v164
	v_dot4c_i32_i8_e32 v253, v199, v8
	v_dot4c_i32_i8_e32 v254, v208, v8
	;; [unrolled: 1-line block ×3, first 2 shown]
	s_waitcnt lgkmcnt(0)
	v_and_b32_e32 v249, 0xf0f0f0f, v14
	v_and_b32_e32 v235, 0xf0f0f0f, v165
	v_dot4c_i32_i8_e32 v22, v249, v8
	v_and_b32_e32 v250, 0xf0f0f0f, v15
	v_dot4c_i32_i8_e32 v253, v200, v9
	v_dot4c_i32_i8_e32 v254, v209, v9
	;; [unrolled: 1-line block ×4, first 2 shown]
	ds_read2_b32 v[8:9], v38 offset0:6 offset1:7
	v_and_b32_e32 v236, 0xf0f0f0f, v166
	v_dot4c_i32_i8_e32 v253, v201, v10
	v_dot4c_i32_i8_e32 v254, v210, v10
	;; [unrolled: 1-line block ×3, first 2 shown]
	s_waitcnt lgkmcnt(0)
	v_and_b32_e32 v251, 0xf0f0f0f, v8
	v_and_b32_e32 v237, 0xf0f0f0f, v167
	v_cvt_f32_ubyte0_e32 v158, v24
	v_cvt_f32_ubyte1_e32 v160, v24
	v_add3_u32 v24, s19, v161, v176
	v_dot4c_i32_i8_e32 v22, v251, v10
	v_and_b32_e32 v252, 0xf0f0f0f, v9
	v_dot4c_i32_i8_e32 v253, v202, v11
	v_dot4c_i32_i8_e32 v254, v212, v11
	;; [unrolled: 1-line block ×4, first 2 shown]
	ds_read_u16 v10, v24
	ds_read_u16 v11, v24 offset:8
	v_lshrrev_b32_e32 v24, 4, v36
	v_mov_b32_e32 v255, 0
	v_and_b32_e32 v204, 0xf0f0f0f, v21
	v_mov_b32_e32 v21, 0
	v_and_b32_e32 v230, 0xf0f0f0f, v20
	;; [unrolled: 2-line block ×3, first 2 shown]
	v_mov_b32_e32 v24, 0
	v_dot4c_i32_i8_e32 v255, v194, v4
	v_dot4c_i32_i8_e32 v21, v204, v4
	;; [unrolled: 1-line block ×4, first 2 shown]
	v_lshrrev_b32_e32 v4, 4, v37
	v_and_b32_e32 v190, 0xf0f0f0f, v4
	v_lshrrev_b32_e32 v4, 4, v12
	v_dot4c_i32_i8_e32 v255, v213, v5
	v_dot4c_i32_i8_e32 v21, v221, v5
	v_dot4c_i32_i8_e32 v20, v238, v5
	v_dot4c_i32_i8_e32 v24, v190, v5
	v_and_b32_e32 v188, 0xf0f0f0f, v4
	v_lshrrev_b32_e32 v4, 4, v13
	v_dot4c_i32_i8_e32 v255, v214, v6
	v_dot4c_i32_i8_e32 v21, v222, v6
	v_dot4c_i32_i8_e32 v20, v239, v6
	v_dot4c_i32_i8_e32 v24, v188, v6
	;; [unrolled: 6-line block ×3, first 2 shown]
	v_and_b32_e32 v184, 0xf0f0f0f, v4
	v_dot4c_i32_i8_e32 v255, v216, v0
	v_dot4c_i32_i8_e32 v21, v224, v0
	;; [unrolled: 1-line block ×4, first 2 shown]
	v_lshrrev_b32_e32 v0, 4, v15
	v_and_b32_e32 v185, 0xf0f0f0f, v0
	v_lshrrev_b32_e32 v0, 4, v8
	v_and_b32_e32 v186, 0xf0f0f0f, v0
	v_lshrrev_b32_e32 v0, 4, v9
	v_dot4c_i32_i8_e32 v255, v217, v1
	v_dot4c_i32_i8_e32 v21, v226, v1
	;; [unrolled: 1-line block ×4, first 2 shown]
	v_and_b32_e32 v187, 0xf0f0f0f, v0
	v_or_b32_e32 v0, s17, v75
	v_dot4c_i32_i8_e32 v255, v218, v2
	v_dot4c_i32_i8_e32 v21, v227, v2
	;; [unrolled: 1-line block ×4, first 2 shown]
	v_lshlrev_b32_e32 v1, 2, v0
	v_lshrrev_b32_e32 v36, 1, v0
	v_dot4c_i32_i8_e32 v255, v219, v3
	v_dot4c_i32_i8_e32 v21, v228, v3
	;; [unrolled: 1-line block ×3, first 2 shown]
	s_waitcnt lgkmcnt(1)
	v_and_b32_e32 v182, 0xff, v10
	s_waitcnt lgkmcnt(0)
	v_cvt_f32_ubyte0_e32 v148, v11
	v_dot4c_i32_i8_e32 v24, v187, v3
	v_lshrrev_b16_e32 v181, 8, v10
	v_cvt_f32_ubyte1_e32 v146, v11
	ds_read_b128 v[12:15], v1 offset:16896
	ds_read_b128 v[8:11], v1 offset:16912
	;; [unrolled: 1-line block ×4, first 2 shown]
	ds_read_b64 v[36:37], v36 offset:27200
	v_mov_b32_e32 v38, 0
	s_waitcnt lgkmcnt(4)
	v_dot4c_i32_i8_e32 v38, v193, v12
	v_mov_b32_e32 v96, 0
	v_dot4c_i32_i8_e32 v38, v195, v13
	s_waitcnt lgkmcnt(2)
	v_dot4c_i32_i8_e32 v96, v194, v4
	v_dot4c_i32_i8_e32 v38, v197, v14
	;; [unrolled: 1-line block ×8, first 2 shown]
	s_waitcnt lgkmcnt(1)
	v_dot4c_i32_i8_e32 v96, v216, v0
	v_dot4c_i32_i8_e32 v38, v201, v10
	v_dot4c_i32_i8_e32 v96, v217, v1
	v_dot4c_i32_i8_e32 v38, v202, v11
	v_dot4c_i32_i8_e32 v96, v218, v2
	v_dot4c_i32_i8_e32 v96, v219, v3
	s_waitcnt lgkmcnt(0)
	v_cvt_f32_f16_e32 v169, v36
	v_cvt_f32_f16_sdwa v171, v36 dst_sel:DWORD dst_unused:UNUSED_PAD src0_sel:WORD_1
	v_cvt_f32_f16_sdwa v170, v162 dst_sel:DWORD dst_unused:UNUSED_PAD src0_sel:WORD_1
	v_cvt_f32_f16_e32 v165, v37
	v_cvt_f32_f16_sdwa v167, v37 dst_sel:DWORD dst_unused:UNUSED_PAD src0_sel:WORD_1
	v_mul_lo_u32 v36, v253, v192
	v_mul_lo_u32 v37, v38, v192
	v_cvt_f32_f16_e32 v168, v162
	v_cvt_f32_f16_sdwa v166, v163 dst_sel:DWORD dst_unused:UNUSED_PAD src0_sel:WORD_1
	v_cvt_f32_i32_e32 v37, v37
	v_cvt_f32_i32_e32 v36, v36
	v_mul_lo_u32 v97, v255, v211
	v_mul_lo_u32 v96, v96, v211
	v_cvt_f32_f16_e32 v164, v163
	v_cvt_f32_i32_e32 v163, v96
	v_cvt_f32_i32_e32 v162, v97
	v_pk_fma_f32 v[38:39], v[150:151], v[170:171], 0 op_sel_hi:[0,1,0]
	v_pk_fma_f32 v[36:37], v[168:169], v[36:37], 0 op_sel_hi:[1,1,0]
	v_pk_fma_f32 v[38:39], v[154:155], v[166:167], v[38:39] op_sel_hi:[0,1,1]
	v_pk_fma_f32 v[36:37], v[164:165], v[162:163], v[36:37]
	v_pk_mul_f32 v[38:39], v[38:39], v[132:133]
	v_mov_b32_e32 v96, 0
	v_pk_fma_f32 v[36:37], v[36:37], v[130:131], v[38:39] neg_lo:[0,0,1] neg_hi:[0,0,1]
	v_dot4c_i32_i8_e32 v96, v204, v4
	v_pk_add_f32 v[56:57], v[56:57], v[36:37]
	v_mov_b32_e32 v36, 0
	v_dot4c_i32_i8_e32 v36, v191, v12
	v_dot4c_i32_i8_e32 v96, v221, v5
	;; [unrolled: 1-line block ×14, first 2 shown]
	v_mul_lo_u32 v21, v21, v225
	v_dot4c_i32_i8_e32 v36, v212, v11
	v_cvt_f32_i32_e32 v162, v21
	v_mul_lo_u32 v96, v96, v225
	v_mov_b32_e32 v21, 0
	v_mul_lo_u32 v38, v254, v203
	v_mul_lo_u32 v36, v36, v203
	v_cvt_f32_i32_e32 v163, v96
	v_dot4c_i32_i8_e32 v21, v196, v12
	v_mov_b32_e32 v96, 0
	v_cvt_f32_i32_e32 v37, v36
	v_cvt_f32_i32_e32 v36, v38
	v_dot4c_i32_i8_e32 v21, v231, v13
	v_dot4c_i32_i8_e32 v96, v230, v4
	;; [unrolled: 1-line block ×6, first 2 shown]
	v_pk_fma_f32 v[38:39], v[152:153], v[170:171], 0 op_sel_hi:[0,1,0]
	v_dot4c_i32_i8_e32 v21, v234, v8
	v_dot4c_i32_i8_e32 v96, v240, v7
	v_pk_fma_f32 v[36:37], v[168:169], v[36:37], 0 op_sel_hi:[1,1,0]
	v_pk_fma_f32 v[38:39], v[156:157], v[166:167], v[38:39] op_sel_hi:[0,1,1]
	v_dot4c_i32_i8_e32 v21, v235, v9
	v_dot4c_i32_i8_e32 v96, v241, v0
	v_pk_fma_f32 v[36:37], v[164:165], v[162:163], v[36:37]
	v_pk_mul_f32 v[38:39], v[38:39], v[136:137]
	v_dot4c_i32_i8_e32 v21, v236, v10
	v_dot4c_i32_i8_e32 v96, v243, v1
	v_pk_fma_f32 v[36:37], v[36:37], v[134:135], v[38:39] neg_lo:[0,0,1] neg_hi:[0,0,1]
	v_dot4c_i32_i8_e32 v21, v237, v11
	v_dot4c_i32_i8_e32 v96, v244, v2
	v_pk_add_f32 v[118:119], v[118:119], v[36:37]
	v_dot4c_i32_i8_e32 v96, v245, v3
	v_mul_lo_u32 v36, v63, v229
	v_mul_lo_u32 v21, v21, v229
	v_cvt_f32_i32_e32 v37, v21
	v_cvt_f32_i32_e32 v36, v36
	v_mul_lo_u32 v20, v20, v242
	v_mul_lo_u32 v21, v96, v242
	v_cvt_f32_i32_e32 v21, v21
	v_cvt_f32_i32_e32 v20, v20
	v_pk_fma_f32 v[36:37], v[168:169], v[36:37], 0 op_sel_hi:[1,1,0]
	v_pk_fma_f32 v[38:39], v[158:159], v[170:171], 0 op_sel_hi:[0,1,0]
	v_mov_b32_e32 v96, 0
	v_pk_fma_f32 v[20:21], v[164:165], v[20:21], v[36:37]
	v_pk_fma_f32 v[36:37], v[160:161], v[166:167], v[38:39] op_sel_hi:[0,1,1]
	v_pk_mul_f32 v[36:37], v[36:37], v[140:141]
	v_mov_b32_e32 v38, 0
	v_pk_fma_f32 v[20:21], v[20:21], v[138:139], v[36:37] neg_lo:[0,0,1] neg_hi:[0,0,1]
	v_mov_b32_e32 v63, 0
	v_pk_add_f32 v[124:125], v[124:125], v[20:21]
	v_mov_b32_e32 v20, 0
	v_dot4c_i32_i8_e32 v20, v220, v12
	v_dot4c_i32_i8_e32 v20, v246, v13
	;; [unrolled: 1-line block ×5, first 2 shown]
	v_mov_b32_e32 v8, 0
	v_dot4c_i32_i8_e32 v8, v189, v4
	v_dot4c_i32_i8_e32 v8, v190, v5
	;; [unrolled: 1-line block ×11, first 2 shown]
	v_mul_lo_u32 v0, v22, v182
	v_mul_lo_u32 v1, v20, v182
	v_cvt_f32_i32_e32 v1, v1
	v_cvt_f32_i32_e32 v0, v0
	v_mul_lo_u32 v4, v24, v181
	v_mul_lo_u32 v5, v8, v181
	v_cvt_f32_i32_e32 v5, v5
	v_cvt_f32_i32_e32 v4, v4
	v_pk_fma_f32 v[2:3], v[148:149], v[170:171], 0 op_sel_hi:[0,1,0]
	v_pk_fma_f32 v[0:1], v[168:169], v[0:1], 0 op_sel_hi:[1,1,0]
	;; [unrolled: 1-line block ×3, first 2 shown]
	v_pk_fma_f32 v[0:1], v[164:165], v[4:5], v[0:1]
	v_pk_mul_f32 v[2:3], v[2:3], v[144:145]
	v_mov_b32_e32 v253, 0
	v_pk_fma_f32 v[0:1], v[0:1], v[142:143], v[2:3] neg_lo:[0,0,1] neg_hi:[0,0,1]
	v_mov_b32_e32 v22, 0
	v_pk_add_f32 v[128:129], v[128:129], v[0:1]
	v_or_b32_e32 v0, s17, v77
	v_lshlrev_b32_e32 v1, 2, v0
	v_lshrrev_b32_e32 v20, 1, v0
	ds_read_b128 v[12:15], v1 offset:16896
	ds_read_b128 v[8:11], v1 offset:16912
	;; [unrolled: 1-line block ×4, first 2 shown]
	ds_read_b64 v[162:163], v20 offset:27200
	v_mov_b32_e32 v24, 0
	v_mov_b32_e32 v20, 0
	v_mov_b32_e32 v21, 0
	s_waitcnt lgkmcnt(4)
	v_dot4c_i32_i8_e32 v38, v193, v12
	s_waitcnt lgkmcnt(2)
	v_dot4c_i32_i8_e32 v96, v194, v4
	v_dot4c_i32_i8_e32 v63, v191, v12
	;; [unrolled: 1-line block ×32, first 2 shown]
	s_waitcnt lgkmcnt(1)
	v_dot4c_i32_i8_e32 v96, v216, v0
	v_dot4c_i32_i8_e32 v63, v208, v8
	;; [unrolled: 1-line block ×15, first 2 shown]
	v_or_b32_e32 v0, s17, v79
	v_dot4c_i32_i8_e32 v38, v201, v10
	v_dot4c_i32_i8_e32 v96, v218, v2
	;; [unrolled: 1-line block ×8, first 2 shown]
	v_lshlrev_b32_e32 v1, 2, v0
	v_lshrrev_b32_e32 v36, 1, v0
	v_dot4c_i32_i8_e32 v38, v202, v11
	v_dot4c_i32_i8_e32 v96, v219, v3
	;; [unrolled: 1-line block ×8, first 2 shown]
	ds_read_b128 v[12:15], v1 offset:16896
	ds_read_b128 v[8:11], v1 offset:16912
	;; [unrolled: 1-line block ×4, first 2 shown]
	ds_read_b64 v[36:37], v36 offset:27200
	v_mov_b32_e32 v39, 0
	s_waitcnt lgkmcnt(4)
	v_dot4c_i32_i8_e32 v39, v193, v12
	v_mov_b32_e32 v97, 0
	v_dot4c_i32_i8_e32 v39, v195, v13
	s_waitcnt lgkmcnt(2)
	v_dot4c_i32_i8_e32 v97, v194, v4
	v_dot4c_i32_i8_e32 v39, v197, v14
	;; [unrolled: 1-line block ×8, first 2 shown]
	s_waitcnt lgkmcnt(1)
	v_dot4c_i32_i8_e32 v97, v216, v0
	v_dot4c_i32_i8_e32 v39, v201, v10
	;; [unrolled: 1-line block ×6, first 2 shown]
	s_waitcnt lgkmcnt(0)
	v_cvt_f32_f16_e32 v169, v36
	v_cvt_f32_f16_sdwa v171, v36 dst_sel:DWORD dst_unused:UNUSED_PAD src0_sel:WORD_1
	v_cvt_f32_f16_sdwa v170, v162 dst_sel:DWORD dst_unused:UNUSED_PAD src0_sel:WORD_1
	v_cvt_f32_f16_e32 v165, v37
	v_cvt_f32_f16_sdwa v167, v37 dst_sel:DWORD dst_unused:UNUSED_PAD src0_sel:WORD_1
	v_mul_lo_u32 v36, v38, v192
	v_mul_lo_u32 v37, v39, v192
	v_cvt_f32_f16_e32 v168, v162
	v_cvt_f32_f16_sdwa v166, v163 dst_sel:DWORD dst_unused:UNUSED_PAD src0_sel:WORD_1
	v_cvt_f32_i32_e32 v37, v37
	v_cvt_f32_i32_e32 v36, v36
	v_mul_lo_u32 v96, v96, v211
	v_mul_lo_u32 v97, v97, v211
	v_cvt_f32_f16_e32 v164, v163
	v_cvt_f32_i32_e32 v163, v97
	v_cvt_f32_i32_e32 v162, v96
	v_pk_fma_f32 v[38:39], v[150:151], v[170:171], 0 op_sel_hi:[0,1,0]
	v_pk_fma_f32 v[36:37], v[36:37], v[168:169], 0 op_sel_hi:[1,1,0]
	;; [unrolled: 1-line block ×3, first 2 shown]
	v_pk_fma_f32 v[36:37], v[162:163], v[164:165], v[36:37]
	v_pk_mul_f32 v[38:39], v[38:39], v[132:133]
	v_mov_b32_e32 v96, 0
	v_pk_fma_f32 v[36:37], v[36:37], v[130:131], v[38:39] neg_lo:[0,0,1] neg_hi:[0,0,1]
	v_dot4c_i32_i8_e32 v96, v204, v4
	v_pk_add_f32 v[106:107], v[106:107], v[36:37]
	v_mov_b32_e32 v36, 0
	v_dot4c_i32_i8_e32 v36, v191, v12
	v_dot4c_i32_i8_e32 v36, v205, v13
	v_dot4c_i32_i8_e32 v36, v206, v14
	v_dot4c_i32_i8_e32 v96, v221, v5
	v_dot4c_i32_i8_e32 v36, v207, v15
	v_dot4c_i32_i8_e32 v96, v222, v6
	v_dot4c_i32_i8_e32 v36, v208, v8
	v_dot4c_i32_i8_e32 v96, v223, v7
	v_dot4c_i32_i8_e32 v36, v209, v9
	v_dot4c_i32_i8_e32 v96, v224, v0
	v_dot4c_i32_i8_e32 v36, v210, v10
	v_dot4c_i32_i8_e32 v96, v226, v1
	v_dot4c_i32_i8_e32 v36, v212, v11
	v_dot4c_i32_i8_e32 v96, v227, v2
	v_dot4c_i32_i8_e32 v96, v228, v3
	v_mul_lo_u32 v38, v63, v203
	v_mul_lo_u32 v36, v36, v203
	v_cvt_f32_i32_e32 v37, v36
	v_cvt_f32_i32_e32 v36, v38
	v_mul_lo_u32 v63, v253, v225
	v_mul_lo_u32 v96, v96, v225
	v_cvt_f32_i32_e32 v163, v96
	v_cvt_f32_i32_e32 v162, v63
	v_pk_fma_f32 v[38:39], v[152:153], v[170:171], 0 op_sel_hi:[0,1,0]
	v_pk_fma_f32 v[36:37], v[36:37], v[168:169], 0 op_sel_hi:[1,1,0]
	;; [unrolled: 1-line block ×3, first 2 shown]
	v_pk_fma_f32 v[36:37], v[162:163], v[164:165], v[36:37]
	v_pk_mul_f32 v[38:39], v[38:39], v[136:137]
	v_mul_lo_u32 v22, v22, v229
	v_pk_fma_f32 v[36:37], v[36:37], v[134:135], v[38:39] neg_lo:[0,0,1] neg_hi:[0,0,1]
	v_mov_b32_e32 v63, 0
	v_pk_add_f32 v[112:113], v[112:113], v[36:37]
	v_mov_b32_e32 v36, 0
	v_dot4c_i32_i8_e32 v36, v196, v12
	v_dot4c_i32_i8_e32 v36, v231, v13
	;; [unrolled: 1-line block ×11, first 2 shown]
	v_mul_lo_u32 v36, v36, v229
	v_cvt_f32_i32_e32 v37, v36
	v_cvt_f32_i32_e32 v36, v22
	v_mul_lo_u32 v22, v24, v242
	v_cvt_f32_i32_e32 v162, v22
	v_mov_b32_e32 v22, 0
	v_dot4c_i32_i8_e32 v22, v220, v12
	v_dot4c_i32_i8_e32 v22, v246, v13
	;; [unrolled: 1-line block ×5, first 2 shown]
	v_mov_b32_e32 v8, 0
	v_dot4c_i32_i8_e32 v8, v189, v4
	v_dot4c_i32_i8_e32 v8, v190, v5
	;; [unrolled: 1-line block ×14, first 2 shown]
	v_mul_lo_u32 v0, v20, v182
	v_mul_lo_u32 v1, v22, v182
	v_cvt_f32_i32_e32 v1, v1
	v_cvt_f32_i32_e32 v0, v0
	v_mul_lo_u32 v4, v21, v181
	v_mul_lo_u32 v5, v8, v181
	v_cvt_f32_i32_e32 v5, v5
	v_cvt_f32_i32_e32 v4, v4
	v_dot4c_i32_i8_e32 v63, v244, v2
	v_dot4c_i32_i8_e32 v63, v245, v3
	v_pk_fma_f32 v[2:3], v[148:149], v[170:171], 0 op_sel_hi:[0,1,0]
	v_pk_fma_f32 v[0:1], v[0:1], v[168:169], 0 op_sel_hi:[1,1,0]
	;; [unrolled: 1-line block ×3, first 2 shown]
	v_mul_lo_u32 v24, v63, v242
	v_cvt_f32_i32_e32 v163, v24
	v_pk_fma_f32 v[0:1], v[4:5], v[164:165], v[0:1]
	v_pk_mul_f32 v[2:3], v[2:3], v[144:145]
	v_pk_fma_f32 v[36:37], v[36:37], v[168:169], 0 op_sel_hi:[1,1,0]
	v_pk_fma_f32 v[0:1], v[0:1], v[142:143], v[2:3] neg_lo:[0,0,1] neg_hi:[0,0,1]
	v_pk_fma_f32 v[36:37], v[162:163], v[164:165], v[36:37]
	v_pk_add_f32 v[126:127], v[126:127], v[0:1]
	v_or_b32_e32 v0, s17, v81
	v_lshlrev_b32_e32 v1, 2, v0
	v_lshrrev_b32_e32 v20, 1, v0
	ds_read_b128 v[12:15], v1 offset:16896
	ds_read_b128 v[8:11], v1 offset:16912
	;; [unrolled: 1-line block ×4, first 2 shown]
	ds_read_b64 v[162:163], v20 offset:27200
	v_mov_b32_e32 v63, 0
	v_mov_b32_e32 v96, 0
	;; [unrolled: 1-line block ×8, first 2 shown]
	s_waitcnt lgkmcnt(4)
	v_dot4c_i32_i8_e32 v63, v193, v12
	s_waitcnt lgkmcnt(2)
	v_dot4c_i32_i8_e32 v96, v194, v4
	v_dot4c_i32_i8_e32 v253, v191, v12
	;; [unrolled: 1-line block ×15, first 2 shown]
	v_pk_fma_f32 v[38:39], v[158:159], v[170:171], 0 op_sel_hi:[0,1,0]
	v_dot4c_i32_i8_e32 v63, v197, v14
	v_dot4c_i32_i8_e32 v96, v214, v6
	;; [unrolled: 1-line block ×8, first 2 shown]
	v_pk_fma_f32 v[38:39], v[160:161], v[166:167], v[38:39] op_sel_hi:[0,1,1]
	v_dot4c_i32_i8_e32 v63, v198, v15
	v_dot4c_i32_i8_e32 v96, v215, v7
	;; [unrolled: 1-line block ×8, first 2 shown]
	v_pk_mul_f32 v[38:39], v[38:39], v[140:141]
	v_dot4c_i32_i8_e32 v63, v199, v8
	s_waitcnt lgkmcnt(1)
	v_dot4c_i32_i8_e32 v96, v216, v0
	v_dot4c_i32_i8_e32 v253, v208, v8
	;; [unrolled: 1-line block ×7, first 2 shown]
	v_pk_fma_f32 v[36:37], v[36:37], v[138:139], v[38:39] neg_lo:[0,0,1] neg_hi:[0,0,1]
	v_dot4c_i32_i8_e32 v63, v200, v9
	v_dot4c_i32_i8_e32 v96, v217, v1
	v_dot4c_i32_i8_e32 v253, v209, v9
	v_dot4c_i32_i8_e32 v254, v226, v1
	v_dot4c_i32_i8_e32 v22, v235, v9
	v_dot4c_i32_i8_e32 v24, v243, v1
	v_dot4c_i32_i8_e32 v20, v250, v9
	v_dot4c_i32_i8_e32 v21, v185, v1
	v_or_b32_e32 v0, s17, v83
	v_pk_add_f32 v[120:121], v[120:121], v[36:37]
	v_dot4c_i32_i8_e32 v63, v201, v10
	v_dot4c_i32_i8_e32 v96, v218, v2
	;; [unrolled: 1-line block ×8, first 2 shown]
	v_lshlrev_b32_e32 v1, 2, v0
	v_lshrrev_b32_e32 v36, 1, v0
	v_dot4c_i32_i8_e32 v63, v202, v11
	v_dot4c_i32_i8_e32 v96, v219, v3
	;; [unrolled: 1-line block ×8, first 2 shown]
	ds_read_b128 v[12:15], v1 offset:16896
	ds_read_b128 v[8:11], v1 offset:16912
	;; [unrolled: 1-line block ×4, first 2 shown]
	ds_read_b64 v[36:37], v36 offset:27200
	v_mov_b32_e32 v38, 0
	s_waitcnt lgkmcnt(4)
	v_dot4c_i32_i8_e32 v38, v193, v12
	v_mov_b32_e32 v97, 0
	v_dot4c_i32_i8_e32 v38, v195, v13
	s_waitcnt lgkmcnt(2)
	v_dot4c_i32_i8_e32 v97, v194, v4
	v_dot4c_i32_i8_e32 v38, v197, v14
	;; [unrolled: 1-line block ×8, first 2 shown]
	s_waitcnt lgkmcnt(1)
	v_dot4c_i32_i8_e32 v97, v216, v0
	v_dot4c_i32_i8_e32 v38, v201, v10
	;; [unrolled: 1-line block ×6, first 2 shown]
	s_waitcnt lgkmcnt(0)
	v_cvt_f32_f16_e32 v169, v36
	v_cvt_f32_f16_sdwa v171, v36 dst_sel:DWORD dst_unused:UNUSED_PAD src0_sel:WORD_1
	v_cvt_f32_f16_sdwa v170, v162 dst_sel:DWORD dst_unused:UNUSED_PAD src0_sel:WORD_1
	v_cvt_f32_f16_e32 v165, v37
	v_cvt_f32_f16_sdwa v167, v37 dst_sel:DWORD dst_unused:UNUSED_PAD src0_sel:WORD_1
	v_mul_lo_u32 v36, v63, v192
	v_mul_lo_u32 v37, v38, v192
	v_cvt_f32_f16_e32 v168, v162
	v_cvt_f32_f16_sdwa v166, v163 dst_sel:DWORD dst_unused:UNUSED_PAD src0_sel:WORD_1
	v_cvt_f32_i32_e32 v37, v37
	v_cvt_f32_i32_e32 v36, v36
	v_mul_lo_u32 v63, v96, v211
	v_mul_lo_u32 v96, v97, v211
	v_cvt_f32_f16_e32 v164, v163
	v_cvt_f32_i32_e32 v163, v96
	v_cvt_f32_i32_e32 v162, v63
	v_pk_fma_f32 v[38:39], v[150:151], v[170:171], 0 op_sel_hi:[0,1,0]
	v_pk_fma_f32 v[36:37], v[36:37], v[168:169], 0 op_sel_hi:[1,1,0]
	;; [unrolled: 1-line block ×3, first 2 shown]
	v_pk_fma_f32 v[36:37], v[162:163], v[164:165], v[36:37]
	v_pk_mul_f32 v[38:39], v[38:39], v[132:133]
	v_mov_b32_e32 v63, 0
	v_pk_fma_f32 v[36:37], v[36:37], v[130:131], v[38:39] neg_lo:[0,0,1] neg_hi:[0,0,1]
	v_dot4c_i32_i8_e32 v63, v204, v4
	v_pk_add_f32 v[100:101], v[100:101], v[36:37]
	v_mov_b32_e32 v36, 0
	v_dot4c_i32_i8_e32 v36, v191, v12
	v_dot4c_i32_i8_e32 v36, v205, v13
	;; [unrolled: 1-line block ×15, first 2 shown]
	v_mul_lo_u32 v38, v253, v203
	v_mul_lo_u32 v36, v36, v203
	v_cvt_f32_i32_e32 v37, v36
	v_cvt_f32_i32_e32 v36, v38
	v_mul_lo_u32 v96, v254, v225
	v_mul_lo_u32 v63, v63, v225
	v_cvt_f32_i32_e32 v163, v63
	v_cvt_f32_i32_e32 v162, v96
	v_pk_fma_f32 v[38:39], v[152:153], v[170:171], 0 op_sel_hi:[0,1,0]
	v_pk_fma_f32 v[36:37], v[36:37], v[168:169], 0 op_sel_hi:[1,1,0]
	;; [unrolled: 1-line block ×3, first 2 shown]
	v_pk_fma_f32 v[36:37], v[162:163], v[164:165], v[36:37]
	v_pk_mul_f32 v[38:39], v[38:39], v[136:137]
	v_mul_lo_u32 v22, v22, v229
	v_pk_fma_f32 v[36:37], v[36:37], v[134:135], v[38:39] neg_lo:[0,0,1] neg_hi:[0,0,1]
	v_mov_b32_e32 v63, 0
	v_pk_add_f32 v[108:109], v[108:109], v[36:37]
	v_mov_b32_e32 v36, 0
	v_dot4c_i32_i8_e32 v36, v196, v12
	v_dot4c_i32_i8_e32 v36, v231, v13
	;; [unrolled: 1-line block ×11, first 2 shown]
	v_mul_lo_u32 v36, v36, v229
	v_cvt_f32_i32_e32 v37, v36
	v_cvt_f32_i32_e32 v36, v22
	v_mul_lo_u32 v22, v24, v242
	v_cvt_f32_i32_e32 v162, v22
	v_mov_b32_e32 v22, 0
	v_dot4c_i32_i8_e32 v22, v220, v12
	v_dot4c_i32_i8_e32 v22, v246, v13
	;; [unrolled: 1-line block ×5, first 2 shown]
	v_mov_b32_e32 v8, 0
	v_dot4c_i32_i8_e32 v8, v189, v4
	v_dot4c_i32_i8_e32 v8, v190, v5
	;; [unrolled: 1-line block ×14, first 2 shown]
	v_mul_lo_u32 v0, v20, v182
	v_mul_lo_u32 v1, v22, v182
	v_cvt_f32_i32_e32 v1, v1
	v_cvt_f32_i32_e32 v0, v0
	v_mul_lo_u32 v4, v21, v181
	v_mul_lo_u32 v5, v8, v181
	v_cvt_f32_i32_e32 v5, v5
	v_cvt_f32_i32_e32 v4, v4
	v_dot4c_i32_i8_e32 v63, v244, v2
	v_dot4c_i32_i8_e32 v63, v245, v3
	v_pk_fma_f32 v[2:3], v[148:149], v[170:171], 0 op_sel_hi:[0,1,0]
	v_pk_fma_f32 v[0:1], v[0:1], v[168:169], 0 op_sel_hi:[1,1,0]
	;; [unrolled: 1-line block ×3, first 2 shown]
	v_mul_lo_u32 v24, v63, v242
	v_pk_fma_f32 v[0:1], v[4:5], v[164:165], v[0:1]
	v_pk_mul_f32 v[2:3], v[2:3], v[144:145]
	v_cvt_f32_i32_e32 v163, v24
	v_pk_fma_f32 v[0:1], v[0:1], v[142:143], v[2:3] neg_lo:[0,0,1] neg_hi:[0,0,1]
	v_pk_fma_f32 v[38:39], v[158:159], v[170:171], 0 op_sel_hi:[0,1,0]
	v_pk_add_f32 v[122:123], v[122:123], v[0:1]
	v_or_b32_e32 v0, s17, v85
	v_lshlrev_b32_e32 v1, 2, v0
	v_pk_fma_f32 v[36:37], v[36:37], v[168:169], 0 op_sel_hi:[1,1,0]
	v_pk_fma_f32 v[38:39], v[160:161], v[166:167], v[38:39] op_sel_hi:[0,1,1]
	v_lshrrev_b32_e32 v20, 1, v0
	ds_read_b128 v[12:15], v1 offset:16896
	ds_read_b128 v[8:11], v1 offset:16912
	;; [unrolled: 1-line block ×4, first 2 shown]
	ds_read_b64 v[170:171], v20 offset:27200
	v_pk_fma_f32 v[36:37], v[162:163], v[164:165], v[36:37]
	v_pk_mul_f32 v[38:39], v[38:39], v[140:141]
	v_mov_b32_e32 v63, 0
	v_pk_fma_f32 v[36:37], v[36:37], v[138:139], v[38:39] neg_lo:[0,0,1] neg_hi:[0,0,1]
	v_mov_b32_e32 v38, 0
	v_mov_b32_e32 v22, 0
	;; [unrolled: 1-line block ×7, first 2 shown]
	s_waitcnt lgkmcnt(4)
	v_dot4c_i32_i8_e32 v38, v193, v12
	s_waitcnt lgkmcnt(2)
	v_dot4c_i32_i8_e32 v63, v194, v4
	v_dot4c_i32_i8_e32 v22, v191, v12
	;; [unrolled: 1-line block ×32, first 2 shown]
	s_waitcnt lgkmcnt(1)
	v_dot4c_i32_i8_e32 v63, v216, v0
	v_dot4c_i32_i8_e32 v22, v208, v8
	;; [unrolled: 1-line block ×15, first 2 shown]
	v_or_b32_e32 v0, s17, v87
	v_pk_add_f32 v[114:115], v[114:115], v[36:37]
	v_dot4c_i32_i8_e32 v38, v201, v10
	v_dot4c_i32_i8_e32 v63, v218, v2
	;; [unrolled: 1-line block ×8, first 2 shown]
	v_lshlrev_b32_e32 v1, 2, v0
	v_lshrrev_b32_e32 v36, 1, v0
	v_dot4c_i32_i8_e32 v38, v202, v11
	v_dot4c_i32_i8_e32 v63, v219, v3
	;; [unrolled: 1-line block ×8, first 2 shown]
	ds_read_b128 v[12:15], v1 offset:16896
	ds_read_b128 v[8:11], v1 offset:16912
	;; [unrolled: 1-line block ×4, first 2 shown]
	ds_read_b64 v[36:37], v36 offset:27200
	v_mov_b32_e32 v39, 0
	s_waitcnt lgkmcnt(4)
	v_dot4c_i32_i8_e32 v39, v193, v12
	v_mov_b32_e32 v96, 0
	v_dot4c_i32_i8_e32 v39, v195, v13
	s_waitcnt lgkmcnt(2)
	v_dot4c_i32_i8_e32 v96, v194, v4
	v_dot4c_i32_i8_e32 v39, v197, v14
	;; [unrolled: 1-line block ×8, first 2 shown]
	s_waitcnt lgkmcnt(1)
	v_dot4c_i32_i8_e32 v96, v216, v0
	v_dot4c_i32_i8_e32 v39, v201, v10
	;; [unrolled: 1-line block ×6, first 2 shown]
	s_waitcnt lgkmcnt(0)
	v_cvt_f32_f16_e32 v169, v36
	v_cvt_f32_f16_sdwa v167, v36 dst_sel:DWORD dst_unused:UNUSED_PAD src0_sel:WORD_1
	v_cvt_f32_f16_sdwa v166, v170 dst_sel:DWORD dst_unused:UNUSED_PAD src0_sel:WORD_1
	v_cvt_f32_f16_e32 v165, v37
	v_cvt_f32_f16_sdwa v163, v37 dst_sel:DWORD dst_unused:UNUSED_PAD src0_sel:WORD_1
	v_mul_lo_u32 v36, v38, v192
	v_mul_lo_u32 v37, v39, v192
	v_cvt_f32_f16_e32 v168, v170
	v_cvt_f32_f16_sdwa v162, v171 dst_sel:DWORD dst_unused:UNUSED_PAD src0_sel:WORD_1
	v_cvt_f32_i32_e32 v37, v37
	v_cvt_f32_i32_e32 v36, v36
	v_mul_lo_u32 v63, v63, v211
	v_mul_lo_u32 v96, v96, v211
	v_cvt_f32_f16_e32 v164, v171
	v_cvt_f32_i32_e32 v171, v96
	v_cvt_f32_i32_e32 v170, v63
	v_pk_fma_f32 v[38:39], v[150:151], v[166:167], 0 op_sel_hi:[0,1,0]
	v_pk_fma_f32 v[36:37], v[36:37], v[168:169], 0 op_sel_hi:[1,1,0]
	;; [unrolled: 1-line block ×3, first 2 shown]
	v_pk_fma_f32 v[36:37], v[170:171], v[164:165], v[36:37]
	v_pk_mul_f32 v[38:39], v[38:39], v[132:133]
	v_mov_b32_e32 v63, 0
	v_pk_fma_f32 v[36:37], v[36:37], v[130:131], v[38:39] neg_lo:[0,0,1] neg_hi:[0,0,1]
	v_dot4c_i32_i8_e32 v63, v204, v4
	v_pk_add_f32 v[92:93], v[92:93], v[36:37]
	v_mov_b32_e32 v36, 0
	v_dot4c_i32_i8_e32 v36, v191, v12
	v_dot4c_i32_i8_e32 v36, v205, v13
	;; [unrolled: 1-line block ×11, first 2 shown]
	v_mul_lo_u32 v22, v22, v203
	v_mul_lo_u32 v36, v36, v203
	v_dot4c_i32_i8_e32 v63, v224, v0
	v_cvt_f32_i32_e32 v37, v36
	v_cvt_f32_i32_e32 v36, v22
	v_mul_lo_u32 v22, v24, v225
	v_dot4c_i32_i8_e32 v63, v226, v1
	v_cvt_f32_i32_e32 v170, v22
	v_mov_b32_e32 v22, 0
	v_mov_b32_e32 v150, 0
	v_dot4c_i32_i8_e32 v63, v227, v2
	v_dot4c_i32_i8_e32 v22, v196, v12
	;; [unrolled: 1-line block ×7, first 2 shown]
	v_mul_lo_u32 v24, v63, v225
	v_dot4c_i32_i8_e32 v150, v247, v14
	v_cvt_f32_i32_e32 v171, v24
	v_dot4c_i32_i8_e32 v22, v233, v15
	v_mov_b32_e32 v24, 0
	v_dot4c_i32_i8_e32 v150, v248, v15
	v_dot4c_i32_i8_e32 v22, v234, v8
	;; [unrolled: 1-line block ×4, first 2 shown]
	v_mov_b32_e32 v8, 0
	v_dot4c_i32_i8_e32 v24, v238, v5
	v_dot4c_i32_i8_e32 v8, v189, v4
	;; [unrolled: 1-line block ×6, first 2 shown]
	v_pk_fma_f32 v[38:39], v[152:153], v[166:167], 0 op_sel_hi:[0,1,0]
	v_dot4c_i32_i8_e32 v22, v235, v9
	v_dot4c_i32_i8_e32 v24, v241, v0
	;; [unrolled: 1-line block ×3, first 2 shown]
	v_pk_fma_f32 v[36:37], v[36:37], v[168:169], 0 op_sel_hi:[1,1,0]
	v_pk_fma_f32 v[38:39], v[156:157], v[162:163], v[38:39] op_sel_hi:[0,1,1]
	v_dot4c_i32_i8_e32 v22, v236, v10
	v_dot4c_i32_i8_e32 v24, v243, v1
	v_dot4c_i32_i8_e32 v150, v250, v9
	v_dot4c_i32_i8_e32 v8, v184, v0
	v_pk_fma_f32 v[36:37], v[170:171], v[164:165], v[36:37]
	v_pk_mul_f32 v[38:39], v[38:39], v[136:137]
	v_dot4c_i32_i8_e32 v22, v237, v11
	v_dot4c_i32_i8_e32 v24, v244, v2
	v_dot4c_i32_i8_e32 v150, v251, v10
	v_dot4c_i32_i8_e32 v8, v185, v1
	v_pk_fma_f32 v[36:37], v[36:37], v[134:135], v[38:39] neg_lo:[0,0,1] neg_hi:[0,0,1]
	v_dot4c_i32_i8_e32 v24, v245, v3
	v_mul_lo_u32 v20, v20, v229
	v_mul_lo_u32 v22, v22, v229
	v_dot4c_i32_i8_e32 v150, v252, v11
	v_dot4c_i32_i8_e32 v8, v186, v2
	v_pk_add_f32 v[102:103], v[102:103], v[36:37]
	v_cvt_f32_i32_e32 v37, v22
	v_cvt_f32_i32_e32 v36, v20
	v_mul_lo_u32 v20, v21, v242
	v_mul_lo_u32 v21, v24, v242
	v_dot4c_i32_i8_e32 v8, v187, v3
	v_mul_lo_u32 v0, v254, v182
	v_mul_lo_u32 v1, v150, v182
	v_cvt_f32_i32_e32 v21, v21
	v_cvt_f32_i32_e32 v20, v20
	;; [unrolled: 1-line block ×4, first 2 shown]
	v_mul_lo_u32 v4, v253, v181
	v_mul_lo_u32 v5, v8, v181
	v_cvt_f32_i32_e32 v5, v5
	v_cvt_f32_i32_e32 v4, v4
	v_pk_fma_f32 v[36:37], v[36:37], v[168:169], 0 op_sel_hi:[1,1,0]
	v_pk_fma_f32 v[38:39], v[158:159], v[166:167], 0 op_sel_hi:[0,1,0]
	;; [unrolled: 1-line block ×3, first 2 shown]
	v_pk_fma_f32 v[20:21], v[20:21], v[164:165], v[36:37]
	v_pk_fma_f32 v[36:37], v[160:161], v[162:163], v[38:39] op_sel_hi:[0,1,1]
	v_pk_fma_f32 v[0:1], v[0:1], v[168:169], 0 op_sel_hi:[1,1,0]
	v_pk_fma_f32 v[2:3], v[146:147], v[162:163], v[2:3] op_sel_hi:[0,1,1]
	v_pk_mul_f32 v[36:37], v[36:37], v[140:141]
	v_pk_fma_f32 v[0:1], v[4:5], v[164:165], v[0:1]
	v_pk_mul_f32 v[2:3], v[2:3], v[144:145]
	v_pk_fma_f32 v[20:21], v[20:21], v[138:139], v[36:37] neg_lo:[0,0,1] neg_hi:[0,0,1]
	v_pk_fma_f32 v[0:1], v[0:1], v[142:143], v[2:3] neg_lo:[0,0,1] neg_hi:[0,0,1]
	v_pk_add_f32 v[110:111], v[110:111], v[20:21]
	v_pk_add_f32 v[116:117], v[116:117], v[0:1]
	s_mov_b32 s18, 8
	s_and_b64 vcc, exec, s[0:1]
	s_mov_b64 s[0:1], 0
	s_cbranch_vccnz .LBB152_6
; %bb.7:                                ;   in Loop: Header=BB152_5 Depth=1
	v_add_u32_e32 v14, s16, v31
	v_add_u32_e32 v0, v14, v49
	;; [unrolled: 1-line block ×6, first 2 shown]
	v_mad_i64_i32 v[0:1], s[0:1], v0, 36, v[54:55]
	v_mad_i64_i32 v[2:3], s[0:1], v2, 36, v[54:55]
	;; [unrolled: 1-line block ×4, first 2 shown]
	v_add_u32_e32 v8, v14, v67
	v_add_u32_e32 v10, v14, v69
	;; [unrolled: 1-line block ×4, first 2 shown]
	v_mad_u64_u32 v[20:21], s[0:1], v20, 36, s[2:3]
	s_barrier
	v_mad_i64_i32 v[8:9], s[0:1], v8, 36, v[54:55]
	v_mad_i64_i32 v[10:11], s[0:1], v10, 36, v[54:55]
	;; [unrolled: 1-line block ×4, first 2 shown]
	global_load_dword v20, v[20:21], off
	s_nop 0
	global_load_dword v0, v[0:1], off offset:4
	s_nop 0
	global_load_dword v1, v[2:3], off offset:4
	;; [unrolled: 2-line block ×3, first 2 shown]
	global_load_dword v3, v[6:7], off offset:4
	s_nop 0
	global_load_dword v4, v[8:9], off offset:4
	global_load_dword v5, v[10:11], off offset:4
	;; [unrolled: 1-line block ×4, first 2 shown]
	s_mov_b32 s0, 16
	s_mov_b32 s1, 0
	v_mov_b32_e32 v170, v159
	v_mov_b32_e32 v171, v30
	;; [unrolled: 1-line block ×3, first 2 shown]
	s_mov_b32 s16, 0
	s_waitcnt vmcnt(8)
	ds_write_b32 v45, v20
	s_waitcnt vmcnt(7)
	ds_write_b32 v157, v0
	;; [unrolled: 2-line block ×9, first 2 shown]
	s_waitcnt lgkmcnt(0)
	s_barrier
	ds_read_b32 v0, v29
	ds_read_b32 v1, v33 offset:128
	ds_read_b32 v2, v35 offset:256
	;; [unrolled: 1-line block ×3, first 2 shown]
	s_waitcnt lgkmcnt(2)
	v_cvt_f32_f16_e32 v134, v1
	v_cvt_f32_f16_e32 v130, v0
	v_cvt_f32_f16_sdwa v132, v0 dst_sel:DWORD dst_unused:UNUSED_PAD src0_sel:WORD_1
	v_cvt_f32_f16_sdwa v136, v1 dst_sel:DWORD dst_unused:UNUSED_PAD src0_sel:WORD_1
	s_waitcnt lgkmcnt(1)
	v_cvt_f32_f16_e32 v138, v2
	v_cvt_f32_f16_sdwa v140, v2 dst_sel:DWORD dst_unused:UNUSED_PAD src0_sel:WORD_1
	s_waitcnt lgkmcnt(0)
	v_cvt_f32_f16_e32 v142, v3
	v_cvt_f32_f16_sdwa v144, v3 dst_sel:DWORD dst_unused:UNUSED_PAD src0_sel:WORD_1
	v_mov_b32_e32 v131, v130
	v_mov_b32_e32 v133, v132
	;; [unrolled: 1-line block ×8, first 2 shown]
.LBB152_8:                              ;   Parent Loop BB152_5 Depth=1
                                        ; =>  This Inner Loop Header: Depth=2
	s_lshr_b32 s17, s0, 2
	ds_read_b128 v[12:15], v170
	ds_read_b128 v[8:11], v170 offset:16
	ds_read_b128 v[4:7], v170 offset:32
	;; [unrolled: 1-line block ×3, first 2 shown]
	v_lshlrev_b32_e32 v20, 4, v17
	ds_read2_b32 v[36:37], v180 offset1:1
	ds_read2_b32 v[38:39], v180 offset0:2 offset1:3
	ds_read2_b32 v[162:163], v180 offset0:4 offset1:5
	;; [unrolled: 1-line block ×3, first 2 shown]
	s_and_b32 s17, s17, 0x3ffffffc
	v_add_u32_e32 v20, s1, v20
	v_add3_u32 v21, v179, s17, v20
	ds_read_u16 v22, v21 offset:25088
	ds_read_u16 v21, v21 offset:25096
	s_waitcnt lgkmcnt(5)
	v_lshrrev_b32_e32 v24, 4, v36
	v_and_b32_e32 v213, 0xf0f0f0f, v24
	v_lshrrev_b32_e32 v24, 4, v37
	s_waitcnt lgkmcnt(1)
	v_and_b32_e32 v208, 0xff, v22
	v_and_b32_e32 v221, 0xf0f0f0f, v24
	v_lshrrev_b32_e32 v24, 4, v38
	v_lshrrev_b16_e32 v220, 8, v22
	v_add_u32_e32 v22, 0x1080, v180
	v_and_b32_e32 v199, 0xf0f0f0f, v36
	v_and_b32_e32 v197, 0xf0f0f0f, v37
	;; [unrolled: 1-line block ×3, first 2 shown]
	v_lshrrev_b32_e32 v24, 4, v39
	ds_read2_b32 v[36:37], v22 offset1:1
	v_and_b32_e32 v223, 0xf0f0f0f, v24
	v_lshrrev_b32_e32 v24, 4, v162
	v_add_u32_e32 v22, 0x1088, v180
	v_and_b32_e32 v201, 0xf0f0f0f, v38
	v_and_b32_e32 v202, 0xf0f0f0f, v39
	;; [unrolled: 1-line block ×3, first 2 shown]
	v_lshrrev_b32_e32 v24, 4, v163
	ds_read2_b32 v[38:39], v22 offset1:1
	v_and_b32_e32 v227, 0xf0f0f0f, v24
	v_lshrrev_b32_e32 v24, 4, v164
	v_add_u32_e32 v22, 0x1090, v180
	v_and_b32_e32 v206, 0xf0f0f0f, v162
	v_and_b32_e32 v207, 0xf0f0f0f, v163
	;; [unrolled: 1-line block ×3, first 2 shown]
	v_lshrrev_b32_e32 v24, 4, v165
	ds_read2_b32 v[162:163], v22 offset1:1
	v_and_b32_e32 v229, 0xf0f0f0f, v24
	v_add_u32_e32 v22, 0x1098, v180
	s_waitcnt lgkmcnt(2)
	v_lshrrev_b32_e32 v24, 4, v36
	v_and_b32_e32 v209, 0xf0f0f0f, v164
	v_and_b32_e32 v210, 0xf0f0f0f, v165
	v_cvt_f32_ubyte0_e32 v150, v21
	v_cvt_f32_ubyte1_e32 v154, v21
	v_add3_u32 v21, v178, s17, v20
	ds_read2_b32 v[164:165], v22 offset1:1
	v_and_b32_e32 v218, 0xf0f0f0f, v24
	v_lshrrev_b32_e32 v24, 4, v37
	ds_read_u16 v22, v21 offset:25600
	ds_read_u16 v21, v21 offset:25608
	v_and_b32_e32 v231, 0xf0f0f0f, v24
	s_waitcnt lgkmcnt(4)
	v_lshrrev_b32_e32 v24, 4, v38
	v_and_b32_e32 v234, 0xf0f0f0f, v24
	v_lshrrev_b32_e32 v24, 4, v39
	v_and_b32_e32 v235, 0xf0f0f0f, v24
	s_waitcnt lgkmcnt(3)
	v_lshrrev_b32_e32 v24, 4, v162
	v_and_b32_e32 v238, 0xf0f0f0f, v24
	v_lshrrev_b32_e32 v24, 4, v163
	v_and_b32_e32 v240, 0xf0f0f0f, v24
	s_waitcnt lgkmcnt(2)
	v_lshrrev_b32_e32 v24, 4, v164
	s_waitcnt lgkmcnt(0)
	v_cvt_f32_ubyte0_e32 v152, v21
	v_and_b32_e32 v241, 0xf0f0f0f, v24
	v_lshrrev_b32_e32 v24, 4, v165
	v_cvt_f32_ubyte1_e32 v158, v21
	v_add_u32_e32 v21, 0x2100, v180
	v_and_b32_e32 v198, 0xf0f0f0f, v36
	v_and_b32_e32 v203, 0xf0f0f0f, v37
	;; [unrolled: 1-line block ×3, first 2 shown]
	ds_read2_b32 v[36:37], v21 offset1:1
	v_add_u32_e32 v24, 0x2108, v180
	v_and_b32_e32 v204, 0xf0f0f0f, v38
	v_and_b32_e32 v205, 0xf0f0f0f, v39
	ds_read2_b32 v[38:39], v24 offset1:1
	v_add_u32_e32 v24, 0x2110, v180
	v_and_b32_e32 v211, 0xf0f0f0f, v162
	v_and_b32_e32 v212, 0xf0f0f0f, v163
	ds_read2_b32 v[162:163], v24 offset1:1
	v_and_b32_e32 v214, 0xff, v22
	v_lshrrev_b16_e32 v239, 8, v22
	v_add3_u32 v22, v172, s17, v20
	v_add_u32_e32 v24, 0x2118, v180
	v_and_b32_e32 v215, 0xf0f0f0f, v164
	v_and_b32_e32 v216, 0xf0f0f0f, v165
	s_waitcnt lgkmcnt(2)
	v_and_b32_e32 v217, 0xf0f0f0f, v36
	ds_read2_b32 v[164:165], v24 offset1:1
	ds_read_u16 v24, v22 offset:26112
	ds_read_u16 v96, v22 offset:26120
	v_lshrrev_b32_e32 v22, 4, v36
	v_lshrrev_b32_e32 v36, 4, v37
	v_and_b32_e32 v245, 0xf0f0f0f, v36
	s_waitcnt lgkmcnt(4)
	v_lshrrev_b32_e32 v36, 4, v38
	v_and_b32_e32 v246, 0xf0f0f0f, v36
	v_lshrrev_b32_e32 v36, 4, v39
	v_and_b32_e32 v247, 0xf0f0f0f, v36
	s_waitcnt lgkmcnt(3)
	v_lshrrev_b32_e32 v36, 4, v162
	v_and_b32_e32 v248, 0xf0f0f0f, v36
	v_lshrrev_b32_e32 v36, 4, v163
	v_and_b32_e32 v250, 0xf0f0f0f, v36
	s_waitcnt lgkmcnt(2)
	v_lshrrev_b32_e32 v36, 4, v164
	s_waitcnt lgkmcnt(1)
	v_and_b32_e32 v230, 0xff, v24
	v_and_b32_e32 v251, 0xf0f0f0f, v36
	v_lshrrev_b32_e32 v36, 4, v165
	v_lshrrev_b16_e32 v249, 8, v24
	v_add3_u32 v24, v161, s17, v20
	v_add_u32_e32 v20, 0x3180, v180
	v_and_b32_e32 v219, 0xf0f0f0f, v37
	v_and_b32_e32 v252, 0xf0f0f0f, v36
	ds_read2_b32 v[36:37], v20 offset1:1
	v_mov_b32_e32 v253, 0
	v_mov_b32_e32 v254, 0
	;; [unrolled: 1-line block ×4, first 2 shown]
	s_waitcnt lgkmcnt(0)
	v_and_b32_e32 v244, 0xf0f0f0f, v36
	v_dot4c_i32_i8_e32 v253, v199, v12
	v_dot4c_i32_i8_e32 v254, v198, v12
	;; [unrolled: 1-line block ×4, first 2 shown]
	v_and_b32_e32 v200, 0xf0f0f0f, v37
	v_add_u32_e32 v12, 0x3188, v180
	v_dot4c_i32_i8_e32 v253, v197, v13
	v_dot4c_i32_i8_e32 v254, v203, v13
	v_dot4c_i32_i8_e32 v21, v219, v13
	v_dot4c_i32_i8_e32 v20, v200, v13
	ds_read2_b32 v[12:13], v12 offset1:1
	v_and_b32_e32 v224, 0xf0f0f0f, v38
	v_dot4c_i32_i8_e32 v253, v201, v14
	v_dot4c_i32_i8_e32 v254, v204, v14
	v_dot4c_i32_i8_e32 v21, v224, v14
	s_waitcnt lgkmcnt(0)
	v_and_b32_e32 v192, 0xf0f0f0f, v12
	v_and_b32_e32 v226, 0xf0f0f0f, v39
	v_dot4c_i32_i8_e32 v20, v192, v14
	v_and_b32_e32 v191, 0xf0f0f0f, v13
	v_add_u32_e32 v14, 0x3190, v180
	v_dot4c_i32_i8_e32 v253, v202, v15
	v_dot4c_i32_i8_e32 v254, v205, v15
	v_dot4c_i32_i8_e32 v21, v226, v15
	v_dot4c_i32_i8_e32 v20, v191, v15
	ds_read2_b32 v[14:15], v14 offset1:1
	v_and_b32_e32 v232, 0xf0f0f0f, v162
	v_dot4c_i32_i8_e32 v253, v206, v8
	v_dot4c_i32_i8_e32 v254, v211, v8
	v_dot4c_i32_i8_e32 v21, v232, v8
	s_waitcnt lgkmcnt(0)
	v_and_b32_e32 v193, 0xf0f0f0f, v14
	v_and_b32_e32 v233, 0xf0f0f0f, v163
	v_dot4c_i32_i8_e32 v20, v193, v8
	v_and_b32_e32 v194, 0xf0f0f0f, v15
	v_add_u32_e32 v8, 0x3198, v180
	v_dot4c_i32_i8_e32 v253, v207, v9
	v_dot4c_i32_i8_e32 v254, v212, v9
	v_dot4c_i32_i8_e32 v21, v233, v9
	v_dot4c_i32_i8_e32 v20, v194, v9
	ds_read2_b32 v[8:9], v8 offset1:1
	v_and_b32_e32 v236, 0xf0f0f0f, v164
	v_dot4c_i32_i8_e32 v253, v209, v10
	v_dot4c_i32_i8_e32 v254, v215, v10
	v_dot4c_i32_i8_e32 v21, v236, v10
	s_waitcnt lgkmcnt(0)
	v_and_b32_e32 v195, 0xf0f0f0f, v8
	v_and_b32_e32 v237, 0xf0f0f0f, v165
	v_dot4c_i32_i8_e32 v20, v195, v10
	v_and_b32_e32 v196, 0xf0f0f0f, v9
	v_dot4c_i32_i8_e32 v253, v210, v11
	v_dot4c_i32_i8_e32 v254, v216, v11
	;; [unrolled: 1-line block ×4, first 2 shown]
	ds_read_u16 v10, v24 offset:26624
	ds_read_u16 v11, v24 offset:26632
	v_lshrrev_b32_e32 v24, 4, v36
	v_mov_b32_e32 v255, 0
	v_mov_b32_e32 v63, 0
	v_and_b32_e32 v242, 0xf0f0f0f, v22
	v_mov_b32_e32 v22, 0
	v_and_b32_e32 v188, 0xf0f0f0f, v24
	v_mov_b32_e32 v24, 0
	v_dot4c_i32_i8_e32 v255, v213, v4
	v_dot4c_i32_i8_e32 v63, v218, v4
	;; [unrolled: 1-line block ×4, first 2 shown]
	v_lshrrev_b32_e32 v4, 4, v37
	v_and_b32_e32 v190, 0xf0f0f0f, v4
	v_lshrrev_b32_e32 v4, 4, v12
	v_dot4c_i32_i8_e32 v255, v221, v5
	v_dot4c_i32_i8_e32 v63, v231, v5
	v_dot4c_i32_i8_e32 v22, v245, v5
	v_dot4c_i32_i8_e32 v24, v190, v5
	v_and_b32_e32 v189, 0xf0f0f0f, v4
	v_lshrrev_b32_e32 v4, 4, v13
	v_dot4c_i32_i8_e32 v255, v222, v6
	v_dot4c_i32_i8_e32 v63, v234, v6
	v_dot4c_i32_i8_e32 v22, v246, v6
	v_dot4c_i32_i8_e32 v24, v189, v6
	;; [unrolled: 6-line block ×3, first 2 shown]
	v_and_b32_e32 v184, 0xf0f0f0f, v4
	v_dot4c_i32_i8_e32 v255, v225, v0
	v_dot4c_i32_i8_e32 v63, v238, v0
	v_dot4c_i32_i8_e32 v22, v248, v0
	v_dot4c_i32_i8_e32 v24, v184, v0
	v_lshrrev_b32_e32 v0, 4, v15
	v_and_b32_e32 v185, 0xf0f0f0f, v0
	v_lshrrev_b32_e32 v0, 4, v8
	v_dot4c_i32_i8_e32 v255, v227, v1
	v_dot4c_i32_i8_e32 v63, v240, v1
	v_dot4c_i32_i8_e32 v22, v250, v1
	v_dot4c_i32_i8_e32 v24, v185, v1
	v_and_b32_e32 v186, 0xf0f0f0f, v0
	v_lshrrev_b32_e32 v0, 4, v9
	v_dot4c_i32_i8_e32 v255, v228, v2
	v_dot4c_i32_i8_e32 v63, v241, v2
	;; [unrolled: 1-line block ×4, first 2 shown]
	v_and_b32_e32 v187, 0xf0f0f0f, v0
	v_dot4c_i32_i8_e32 v255, v229, v3
	v_dot4c_i32_i8_e32 v63, v243, v3
	;; [unrolled: 1-line block ×3, first 2 shown]
	s_waitcnt lgkmcnt(1)
	v_and_b32_e32 v182, 0xff, v10
	s_waitcnt lgkmcnt(0)
	v_cvt_f32_ubyte0_e32 v148, v11
	v_dot4c_i32_i8_e32 v24, v187, v3
	v_lshrrev_b16_e32 v181, 8, v10
	v_cvt_f32_ubyte1_e32 v146, v11
	ds_read_b128 v[12:15], v170 offset:1024
	ds_read_b128 v[8:11], v170 offset:1040
	ds_read_b128 v[4:7], v170 offset:1056
	ds_read_b128 v[0:3], v170 offset:1072
	v_cvt_f32_ubyte0_e32 v156, v96
	v_cvt_f32_ubyte1_e32 v160, v96
	v_mov_b32_e32 v96, 0
	s_waitcnt lgkmcnt(3)
	v_dot4c_i32_i8_e32 v96, v199, v12
	v_mov_b32_e32 v97, 0
	v_dot4c_i32_i8_e32 v96, v197, v13
	s_waitcnt lgkmcnt(1)
	v_dot4c_i32_i8_e32 v97, v213, v4
	v_dot4c_i32_i8_e32 v96, v201, v14
	;; [unrolled: 1-line block ×5, first 2 shown]
	ds_read2_b64 v[36:39], v171 offset1:16
	v_dot4c_i32_i8_e32 v96, v206, v8
	v_dot4c_i32_i8_e32 v97, v223, v7
	;; [unrolled: 1-line block ×3, first 2 shown]
	s_waitcnt lgkmcnt(1)
	v_dot4c_i32_i8_e32 v97, v225, v0
	v_dot4c_i32_i8_e32 v96, v209, v10
	;; [unrolled: 1-line block ×6, first 2 shown]
	s_waitcnt lgkmcnt(0)
	v_cvt_f32_f16_e32 v166, v36
	v_cvt_f32_f16_sdwa v169, v38 dst_sel:DWORD dst_unused:UNUSED_PAD src0_sel:WORD_1
	v_cvt_f32_f16_sdwa v168, v36 dst_sel:DWORD dst_unused:UNUSED_PAD src0_sel:WORD_1
	v_cvt_f32_f16_e32 v162, v37
	v_cvt_f32_f16_sdwa v164, v37 dst_sel:DWORD dst_unused:UNUSED_PAD src0_sel:WORD_1
	v_mul_lo_u32 v36, v253, v208
	v_mul_lo_u32 v37, v96, v208
	v_cvt_f32_f16_e32 v167, v38
	v_cvt_f32_f16_sdwa v165, v39 dst_sel:DWORD dst_unused:UNUSED_PAD src0_sel:WORD_1
	v_cvt_f32_i32_e32 v37, v37
	v_cvt_f32_i32_e32 v36, v36
	v_mul_lo_u32 v96, v255, v220
	v_mul_lo_u32 v97, v97, v220
	v_cvt_f32_f16_e32 v163, v39
	v_cvt_f32_i32_e32 v97, v97
	v_cvt_f32_i32_e32 v96, v96
	v_pk_fma_f32 v[38:39], v[150:151], v[168:169], 0 op_sel_hi:[0,1,0]
	v_pk_fma_f32 v[36:37], v[166:167], v[36:37], 0 op_sel_hi:[1,1,0]
	;; [unrolled: 1-line block ×3, first 2 shown]
	v_pk_fma_f32 v[36:37], v[162:163], v[96:97], v[36:37]
	v_pk_mul_f32 v[38:39], v[38:39], v[132:133]
	v_mov_b32_e32 v96, 0
	v_pk_fma_f32 v[36:37], v[36:37], v[130:131], v[38:39] neg_lo:[0,0,1] neg_hi:[0,0,1]
	v_dot4c_i32_i8_e32 v96, v218, v4
	v_pk_add_f32 v[56:57], v[56:57], v[36:37]
	v_mov_b32_e32 v36, 0
	v_dot4c_i32_i8_e32 v36, v198, v12
	v_dot4c_i32_i8_e32 v36, v203, v13
	v_dot4c_i32_i8_e32 v36, v204, v14
	v_dot4c_i32_i8_e32 v96, v231, v5
	v_dot4c_i32_i8_e32 v36, v205, v15
	v_dot4c_i32_i8_e32 v96, v234, v6
	v_dot4c_i32_i8_e32 v36, v211, v8
	v_dot4c_i32_i8_e32 v96, v235, v7
	v_dot4c_i32_i8_e32 v36, v212, v9
	v_dot4c_i32_i8_e32 v96, v238, v0
	v_dot4c_i32_i8_e32 v36, v215, v10
	v_dot4c_i32_i8_e32 v96, v240, v1
	v_dot4c_i32_i8_e32 v36, v216, v11
	v_dot4c_i32_i8_e32 v96, v241, v2
	v_dot4c_i32_i8_e32 v96, v243, v3
	v_mul_lo_u32 v38, v254, v214
	v_mul_lo_u32 v36, v36, v214
	v_cvt_f32_i32_e32 v37, v36
	v_cvt_f32_i32_e32 v36, v38
	v_mul_lo_u32 v63, v63, v239
	v_mul_lo_u32 v96, v96, v239
	v_cvt_f32_i32_e32 v97, v96
	v_cvt_f32_i32_e32 v96, v63
	v_pk_fma_f32 v[38:39], v[152:153], v[168:169], 0 op_sel_hi:[0,1,0]
	v_pk_fma_f32 v[36:37], v[166:167], v[36:37], 0 op_sel_hi:[1,1,0]
	;; [unrolled: 1-line block ×3, first 2 shown]
	v_pk_fma_f32 v[36:37], v[162:163], v[96:97], v[36:37]
	v_pk_mul_f32 v[38:39], v[38:39], v[136:137]
	v_mul_lo_u32 v21, v21, v230
	v_pk_fma_f32 v[36:37], v[36:37], v[134:135], v[38:39] neg_lo:[0,0,1] neg_hi:[0,0,1]
	v_mov_b32_e32 v63, 0
	v_pk_add_f32 v[118:119], v[118:119], v[36:37]
	v_mov_b32_e32 v36, 0
	v_dot4c_i32_i8_e32 v36, v217, v12
	v_dot4c_i32_i8_e32 v36, v219, v13
	;; [unrolled: 1-line block ×11, first 2 shown]
	v_mul_lo_u32 v36, v36, v230
	v_cvt_f32_i32_e32 v37, v36
	v_cvt_f32_i32_e32 v36, v21
	v_mul_lo_u32 v21, v22, v249
	v_cvt_f32_i32_e32 v96, v21
	v_mov_b32_e32 v21, 0
	v_dot4c_i32_i8_e32 v21, v244, v12
	v_dot4c_i32_i8_e32 v21, v200, v13
	;; [unrolled: 1-line block ×5, first 2 shown]
	v_mov_b32_e32 v8, 0
	v_dot4c_i32_i8_e32 v8, v188, v4
	v_dot4c_i32_i8_e32 v8, v190, v5
	;; [unrolled: 1-line block ×14, first 2 shown]
	v_mul_lo_u32 v0, v20, v182
	v_mul_lo_u32 v1, v21, v182
	v_cvt_f32_i32_e32 v1, v1
	v_cvt_f32_i32_e32 v0, v0
	v_mul_lo_u32 v4, v24, v181
	v_mul_lo_u32 v5, v8, v181
	v_cvt_f32_i32_e32 v5, v5
	v_cvt_f32_i32_e32 v4, v4
	v_dot4c_i32_i8_e32 v63, v251, v2
	v_dot4c_i32_i8_e32 v63, v252, v3
	v_pk_fma_f32 v[2:3], v[148:149], v[168:169], 0 op_sel_hi:[0,1,0]
	v_pk_fma_f32 v[0:1], v[166:167], v[0:1], 0 op_sel_hi:[1,1,0]
	;; [unrolled: 1-line block ×3, first 2 shown]
	v_mul_lo_u32 v22, v63, v249
	v_pk_fma_f32 v[0:1], v[162:163], v[4:5], v[0:1]
	v_pk_mul_f32 v[2:3], v[2:3], v[144:145]
	v_cvt_f32_i32_e32 v97, v22
	v_pk_fma_f32 v[0:1], v[0:1], v[142:143], v[2:3] neg_lo:[0,0,1] neg_hi:[0,0,1]
	v_pk_fma_f32 v[36:37], v[166:167], v[36:37], 0 op_sel_hi:[1,1,0]
	v_pk_add_f32 v[128:129], v[128:129], v[0:1]
	ds_read_b128 v[12:15], v170 offset:2048
	ds_read_b128 v[8:11], v170 offset:2064
	;; [unrolled: 1-line block ×4, first 2 shown]
	v_pk_fma_f32 v[36:37], v[162:163], v[96:97], v[36:37]
	v_mov_b32_e32 v96, 0
	v_mov_b32_e32 v97, 0
	;; [unrolled: 1-line block ×8, first 2 shown]
	s_waitcnt lgkmcnt(3)
	v_dot4c_i32_i8_e32 v96, v199, v12
	s_waitcnt lgkmcnt(1)
	v_dot4c_i32_i8_e32 v97, v213, v4
	v_dot4c_i32_i8_e32 v63, v198, v12
	v_dot4c_i32_i8_e32 v253, v218, v4
	v_dot4c_i32_i8_e32 v22, v217, v12
	v_dot4c_i32_i8_e32 v24, v242, v4
	v_dot4c_i32_i8_e32 v20, v244, v12
	v_dot4c_i32_i8_e32 v21, v188, v4
	v_dot4c_i32_i8_e32 v96, v197, v13
	v_dot4c_i32_i8_e32 v97, v221, v5
	v_dot4c_i32_i8_e32 v63, v203, v13
	v_dot4c_i32_i8_e32 v253, v231, v5
	v_dot4c_i32_i8_e32 v22, v219, v13
	v_dot4c_i32_i8_e32 v24, v245, v5
	v_dot4c_i32_i8_e32 v20, v200, v13
	v_dot4c_i32_i8_e32 v21, v190, v5
	v_dot4c_i32_i8_e32 v96, v201, v14
	v_dot4c_i32_i8_e32 v97, v222, v6
	v_dot4c_i32_i8_e32 v63, v204, v14
	v_dot4c_i32_i8_e32 v253, v234, v6
	v_dot4c_i32_i8_e32 v22, v224, v14
	v_dot4c_i32_i8_e32 v24, v246, v6
	v_dot4c_i32_i8_e32 v20, v192, v14
	v_dot4c_i32_i8_e32 v21, v189, v6
	v_dot4c_i32_i8_e32 v96, v202, v15
	v_dot4c_i32_i8_e32 v97, v223, v7
	v_dot4c_i32_i8_e32 v63, v205, v15
	v_dot4c_i32_i8_e32 v253, v235, v7
	v_dot4c_i32_i8_e32 v22, v226, v15
	v_dot4c_i32_i8_e32 v24, v247, v7
	v_dot4c_i32_i8_e32 v20, v191, v15
	v_dot4c_i32_i8_e32 v21, v183, v7
	v_dot4c_i32_i8_e32 v96, v206, v8
	s_waitcnt lgkmcnt(0)
	v_dot4c_i32_i8_e32 v97, v225, v0
	v_dot4c_i32_i8_e32 v63, v211, v8
	;; [unrolled: 1-line block ×31, first 2 shown]
	ds_read_b128 v[12:15], v170 offset:3072
	ds_read_b128 v[8:11], v170 offset:3088
	;; [unrolled: 1-line block ×4, first 2 shown]
	v_pk_fma_f32 v[38:39], v[156:157], v[168:169], 0 op_sel_hi:[0,1,0]
	v_mov_b32_e32 v254, 0
	v_pk_fma_f32 v[38:39], v[160:161], v[164:165], v[38:39] op_sel_hi:[0,1,1]
	s_waitcnt lgkmcnt(3)
	v_dot4c_i32_i8_e32 v254, v199, v12
	v_mov_b32_e32 v255, 0
	v_pk_mul_f32 v[38:39], v[38:39], v[140:141]
	v_dot4c_i32_i8_e32 v254, v197, v13
	s_waitcnt lgkmcnt(1)
	v_dot4c_i32_i8_e32 v255, v213, v4
	v_pk_fma_f32 v[36:37], v[36:37], v[138:139], v[38:39] neg_lo:[0,0,1] neg_hi:[0,0,1]
	v_dot4c_i32_i8_e32 v254, v201, v14
	v_dot4c_i32_i8_e32 v255, v221, v5
	v_pk_add_f32 v[124:125], v[124:125], v[36:37]
	v_dot4c_i32_i8_e32 v254, v202, v15
	v_dot4c_i32_i8_e32 v255, v222, v6
	ds_read2_b64 v[36:39], v171 offset0:32 offset1:48
	v_dot4c_i32_i8_e32 v254, v206, v8
	v_dot4c_i32_i8_e32 v255, v223, v7
	;; [unrolled: 1-line block ×3, first 2 shown]
	s_waitcnt lgkmcnt(1)
	v_dot4c_i32_i8_e32 v255, v225, v0
	v_dot4c_i32_i8_e32 v254, v209, v10
	;; [unrolled: 1-line block ×6, first 2 shown]
	s_waitcnt lgkmcnt(0)
	v_cvt_f32_f16_e32 v166, v36
	v_cvt_f32_f16_sdwa v169, v38 dst_sel:DWORD dst_unused:UNUSED_PAD src0_sel:WORD_1
	v_cvt_f32_f16_sdwa v168, v36 dst_sel:DWORD dst_unused:UNUSED_PAD src0_sel:WORD_1
	v_cvt_f32_f16_e32 v162, v37
	v_cvt_f32_f16_sdwa v164, v37 dst_sel:DWORD dst_unused:UNUSED_PAD src0_sel:WORD_1
	v_mul_lo_u32 v36, v96, v208
	v_mul_lo_u32 v37, v254, v208
	v_cvt_f32_f16_e32 v167, v38
	v_cvt_f32_f16_sdwa v165, v39 dst_sel:DWORD dst_unused:UNUSED_PAD src0_sel:WORD_1
	v_cvt_f32_i32_e32 v37, v37
	v_cvt_f32_i32_e32 v36, v36
	v_mul_lo_u32 v96, v97, v220
	v_mul_lo_u32 v97, v255, v220
	v_cvt_f32_f16_e32 v163, v39
	v_cvt_f32_i32_e32 v97, v97
	v_cvt_f32_i32_e32 v96, v96
	v_pk_fma_f32 v[38:39], v[150:151], v[168:169], 0 op_sel_hi:[0,1,0]
	v_pk_fma_f32 v[36:37], v[36:37], v[166:167], 0 op_sel_hi:[1,1,0]
	;; [unrolled: 1-line block ×3, first 2 shown]
	v_pk_fma_f32 v[36:37], v[96:97], v[162:163], v[36:37]
	v_pk_mul_f32 v[38:39], v[38:39], v[132:133]
	v_mov_b32_e32 v96, 0
	v_pk_fma_f32 v[36:37], v[36:37], v[130:131], v[38:39] neg_lo:[0,0,1] neg_hi:[0,0,1]
	v_dot4c_i32_i8_e32 v96, v218, v4
	v_pk_add_f32 v[106:107], v[106:107], v[36:37]
	v_mov_b32_e32 v36, 0
	v_dot4c_i32_i8_e32 v36, v198, v12
	v_dot4c_i32_i8_e32 v36, v203, v13
	;; [unrolled: 1-line block ×15, first 2 shown]
	v_mul_lo_u32 v38, v63, v214
	v_mul_lo_u32 v36, v36, v214
	v_cvt_f32_i32_e32 v37, v36
	v_cvt_f32_i32_e32 v36, v38
	v_mul_lo_u32 v63, v253, v239
	v_mul_lo_u32 v96, v96, v239
	v_cvt_f32_i32_e32 v97, v96
	v_cvt_f32_i32_e32 v96, v63
	v_pk_fma_f32 v[38:39], v[152:153], v[168:169], 0 op_sel_hi:[0,1,0]
	v_pk_fma_f32 v[36:37], v[36:37], v[166:167], 0 op_sel_hi:[1,1,0]
	;; [unrolled: 1-line block ×3, first 2 shown]
	v_pk_fma_f32 v[36:37], v[96:97], v[162:163], v[36:37]
	v_pk_mul_f32 v[38:39], v[38:39], v[136:137]
	v_mul_lo_u32 v22, v22, v230
	v_pk_fma_f32 v[36:37], v[36:37], v[134:135], v[38:39] neg_lo:[0,0,1] neg_hi:[0,0,1]
	v_mov_b32_e32 v63, 0
	v_pk_add_f32 v[112:113], v[112:113], v[36:37]
	v_mov_b32_e32 v36, 0
	v_dot4c_i32_i8_e32 v36, v217, v12
	v_dot4c_i32_i8_e32 v36, v219, v13
	;; [unrolled: 1-line block ×11, first 2 shown]
	v_mul_lo_u32 v36, v36, v230
	v_cvt_f32_i32_e32 v37, v36
	v_cvt_f32_i32_e32 v36, v22
	v_mul_lo_u32 v22, v24, v249
	v_cvt_f32_i32_e32 v96, v22
	v_mov_b32_e32 v22, 0
	v_dot4c_i32_i8_e32 v22, v244, v12
	v_dot4c_i32_i8_e32 v22, v200, v13
	;; [unrolled: 1-line block ×5, first 2 shown]
	v_mov_b32_e32 v8, 0
	v_dot4c_i32_i8_e32 v8, v188, v4
	v_dot4c_i32_i8_e32 v8, v190, v5
	;; [unrolled: 1-line block ×14, first 2 shown]
	v_mul_lo_u32 v0, v20, v182
	v_mul_lo_u32 v1, v22, v182
	v_cvt_f32_i32_e32 v1, v1
	v_cvt_f32_i32_e32 v0, v0
	v_mul_lo_u32 v4, v21, v181
	v_mul_lo_u32 v5, v8, v181
	v_cvt_f32_i32_e32 v5, v5
	v_cvt_f32_i32_e32 v4, v4
	v_dot4c_i32_i8_e32 v63, v251, v2
	v_dot4c_i32_i8_e32 v63, v252, v3
	v_pk_fma_f32 v[2:3], v[148:149], v[168:169], 0 op_sel_hi:[0,1,0]
	v_pk_fma_f32 v[0:1], v[0:1], v[166:167], 0 op_sel_hi:[1,1,0]
	;; [unrolled: 1-line block ×3, first 2 shown]
	v_pk_fma_f32 v[0:1], v[4:5], v[162:163], v[0:1]
	v_pk_mul_f32 v[2:3], v[2:3], v[144:145]
	v_mul_lo_u32 v24, v63, v249
	v_pk_fma_f32 v[0:1], v[0:1], v[142:143], v[2:3] neg_lo:[0,0,1] neg_hi:[0,0,1]
	v_cvt_f32_i32_e32 v97, v24
	v_pk_add_f32 v[126:127], v[126:127], v[0:1]
	ds_read_b128 v[12:15], v170 offset:4096
	ds_read_b128 v[8:11], v170 offset:4112
	;; [unrolled: 1-line block ×4, first 2 shown]
	v_mov_b32_e32 v254, 0
	v_mov_b32_e32 v255, 0
	;; [unrolled: 1-line block ×8, first 2 shown]
	s_waitcnt lgkmcnt(3)
	v_dot4c_i32_i8_e32 v254, v199, v12
	s_waitcnt lgkmcnt(1)
	v_dot4c_i32_i8_e32 v255, v213, v4
	v_dot4c_i32_i8_e32 v63, v198, v12
	;; [unrolled: 1-line block ×32, first 2 shown]
	s_waitcnt lgkmcnt(0)
	v_dot4c_i32_i8_e32 v255, v225, v0
	v_dot4c_i32_i8_e32 v63, v211, v8
	;; [unrolled: 1-line block ×31, first 2 shown]
	ds_read_b128 v[12:15], v170 offset:5120
	ds_read_b128 v[8:11], v170 offset:5136
	;; [unrolled: 1-line block ×4, first 2 shown]
	v_pk_fma_f32 v[36:37], v[36:37], v[166:167], 0 op_sel_hi:[1,1,0]
	v_pk_fma_f32 v[38:39], v[156:157], v[168:169], 0 op_sel_hi:[0,1,0]
	v_pk_fma_f32 v[36:37], v[96:97], v[162:163], v[36:37]
	v_mov_b32_e32 v96, 0
	v_pk_fma_f32 v[38:39], v[160:161], v[164:165], v[38:39] op_sel_hi:[0,1,1]
	s_waitcnt lgkmcnt(3)
	v_dot4c_i32_i8_e32 v96, v199, v12
	v_mov_b32_e32 v97, 0
	v_pk_mul_f32 v[38:39], v[38:39], v[140:141]
	v_dot4c_i32_i8_e32 v96, v197, v13
	s_waitcnt lgkmcnt(1)
	v_dot4c_i32_i8_e32 v97, v213, v4
	v_pk_fma_f32 v[36:37], v[36:37], v[138:139], v[38:39] neg_lo:[0,0,1] neg_hi:[0,0,1]
	v_dot4c_i32_i8_e32 v96, v201, v14
	v_dot4c_i32_i8_e32 v97, v221, v5
	v_pk_add_f32 v[120:121], v[120:121], v[36:37]
	v_dot4c_i32_i8_e32 v96, v202, v15
	v_dot4c_i32_i8_e32 v97, v222, v6
	ds_read2_b64 v[36:39], v171 offset0:64 offset1:80
	v_dot4c_i32_i8_e32 v96, v206, v8
	v_dot4c_i32_i8_e32 v97, v223, v7
	;; [unrolled: 1-line block ×3, first 2 shown]
	s_waitcnt lgkmcnt(1)
	v_dot4c_i32_i8_e32 v97, v225, v0
	v_dot4c_i32_i8_e32 v96, v209, v10
	;; [unrolled: 1-line block ×6, first 2 shown]
	s_waitcnt lgkmcnt(0)
	v_cvt_f32_f16_e32 v166, v36
	v_cvt_f32_f16_sdwa v169, v38 dst_sel:DWORD dst_unused:UNUSED_PAD src0_sel:WORD_1
	v_cvt_f32_f16_sdwa v168, v36 dst_sel:DWORD dst_unused:UNUSED_PAD src0_sel:WORD_1
	v_cvt_f32_f16_e32 v162, v37
	v_cvt_f32_f16_sdwa v164, v37 dst_sel:DWORD dst_unused:UNUSED_PAD src0_sel:WORD_1
	v_mul_lo_u32 v36, v254, v208
	v_mul_lo_u32 v37, v96, v208
	v_cvt_f32_f16_e32 v167, v38
	v_cvt_f32_f16_sdwa v165, v39 dst_sel:DWORD dst_unused:UNUSED_PAD src0_sel:WORD_1
	v_cvt_f32_i32_e32 v37, v37
	v_cvt_f32_i32_e32 v36, v36
	v_mul_lo_u32 v96, v255, v220
	v_mul_lo_u32 v97, v97, v220
	v_cvt_f32_f16_e32 v163, v39
	v_cvt_f32_i32_e32 v97, v97
	v_cvt_f32_i32_e32 v96, v96
	v_pk_fma_f32 v[38:39], v[150:151], v[168:169], 0 op_sel_hi:[0,1,0]
	v_pk_fma_f32 v[36:37], v[36:37], v[166:167], 0 op_sel_hi:[1,1,0]
	;; [unrolled: 1-line block ×3, first 2 shown]
	v_pk_fma_f32 v[36:37], v[96:97], v[162:163], v[36:37]
	v_pk_mul_f32 v[38:39], v[38:39], v[132:133]
	v_mov_b32_e32 v96, 0
	v_pk_fma_f32 v[36:37], v[36:37], v[130:131], v[38:39] neg_lo:[0,0,1] neg_hi:[0,0,1]
	v_dot4c_i32_i8_e32 v96, v218, v4
	v_pk_add_f32 v[100:101], v[100:101], v[36:37]
	v_mov_b32_e32 v36, 0
	v_dot4c_i32_i8_e32 v36, v198, v12
	v_dot4c_i32_i8_e32 v36, v203, v13
	;; [unrolled: 1-line block ×15, first 2 shown]
	v_mul_lo_u32 v38, v63, v214
	v_mul_lo_u32 v36, v36, v214
	v_cvt_f32_i32_e32 v37, v36
	v_cvt_f32_i32_e32 v36, v38
	v_mul_lo_u32 v63, v253, v239
	v_mul_lo_u32 v96, v96, v239
	v_cvt_f32_i32_e32 v97, v96
	v_cvt_f32_i32_e32 v96, v63
	v_pk_fma_f32 v[38:39], v[152:153], v[168:169], 0 op_sel_hi:[0,1,0]
	v_pk_fma_f32 v[36:37], v[36:37], v[166:167], 0 op_sel_hi:[1,1,0]
	;; [unrolled: 1-line block ×3, first 2 shown]
	v_pk_fma_f32 v[36:37], v[96:97], v[162:163], v[36:37]
	v_pk_mul_f32 v[38:39], v[38:39], v[136:137]
	v_mul_lo_u32 v22, v22, v230
	v_pk_fma_f32 v[36:37], v[36:37], v[134:135], v[38:39] neg_lo:[0,0,1] neg_hi:[0,0,1]
	v_mov_b32_e32 v63, 0
	v_pk_add_f32 v[108:109], v[108:109], v[36:37]
	v_mov_b32_e32 v36, 0
	v_dot4c_i32_i8_e32 v36, v217, v12
	v_dot4c_i32_i8_e32 v36, v219, v13
	;; [unrolled: 1-line block ×11, first 2 shown]
	v_mul_lo_u32 v36, v36, v230
	v_cvt_f32_i32_e32 v37, v36
	v_cvt_f32_i32_e32 v36, v22
	v_mul_lo_u32 v22, v24, v249
	v_cvt_f32_i32_e32 v96, v22
	v_mov_b32_e32 v22, 0
	v_dot4c_i32_i8_e32 v22, v244, v12
	v_dot4c_i32_i8_e32 v22, v200, v13
	v_dot4c_i32_i8_e32 v22, v192, v14
	v_dot4c_i32_i8_e32 v22, v191, v15
	v_dot4c_i32_i8_e32 v22, v193, v8
	v_mov_b32_e32 v8, 0
	v_dot4c_i32_i8_e32 v8, v188, v4
	v_dot4c_i32_i8_e32 v8, v190, v5
	;; [unrolled: 1-line block ×14, first 2 shown]
	v_mul_lo_u32 v0, v20, v182
	v_mul_lo_u32 v1, v22, v182
	v_cvt_f32_i32_e32 v1, v1
	v_cvt_f32_i32_e32 v0, v0
	v_mul_lo_u32 v4, v21, v181
	v_mul_lo_u32 v5, v8, v181
	v_cvt_f32_i32_e32 v5, v5
	v_cvt_f32_i32_e32 v4, v4
	v_dot4c_i32_i8_e32 v63, v251, v2
	v_dot4c_i32_i8_e32 v63, v252, v3
	v_pk_fma_f32 v[2:3], v[148:149], v[168:169], 0 op_sel_hi:[0,1,0]
	v_pk_fma_f32 v[0:1], v[0:1], v[166:167], 0 op_sel_hi:[1,1,0]
	;; [unrolled: 1-line block ×3, first 2 shown]
	v_pk_fma_f32 v[0:1], v[4:5], v[162:163], v[0:1]
	v_pk_mul_f32 v[2:3], v[2:3], v[144:145]
	v_mul_lo_u32 v24, v63, v249
	v_pk_fma_f32 v[0:1], v[0:1], v[142:143], v[2:3] neg_lo:[0,0,1] neg_hi:[0,0,1]
	v_cvt_f32_i32_e32 v97, v24
	v_pk_add_f32 v[122:123], v[122:123], v[0:1]
	ds_read_b128 v[8:11], v170 offset:6144
	ds_read_b128 v[12:15], v170 offset:6160
	;; [unrolled: 1-line block ×4, first 2 shown]
	v_mov_b32_e32 v24, 0
	v_mov_b32_e32 v255, 0
	v_mov_b32_e32 v20, 0
	v_mov_b32_e32 v22, 0
	v_mov_b32_e32 v21, 0
	v_mov_b32_e32 v63, 0
	v_mov_b32_e32 v254, 0
	v_mov_b32_e32 v253, 0
	s_waitcnt lgkmcnt(3)
	v_dot4c_i32_i8_e32 v24, v199, v8
	s_waitcnt lgkmcnt(1)
	v_dot4c_i32_i8_e32 v255, v213, v4
	v_dot4c_i32_i8_e32 v20, v198, v8
	;; [unrolled: 1-line block ×32, first 2 shown]
	s_waitcnt lgkmcnt(0)
	v_dot4c_i32_i8_e32 v255, v225, v0
	v_dot4c_i32_i8_e32 v20, v211, v12
	;; [unrolled: 1-line block ×31, first 2 shown]
	ds_read_b128 v[8:11], v170 offset:7168
	ds_read_b128 v[12:15], v170 offset:7184
	;; [unrolled: 1-line block ×4, first 2 shown]
	v_pk_fma_f32 v[36:37], v[36:37], v[166:167], 0 op_sel_hi:[1,1,0]
	v_pk_fma_f32 v[38:39], v[156:157], v[168:169], 0 op_sel_hi:[0,1,0]
	v_pk_fma_f32 v[36:37], v[96:97], v[162:163], v[36:37]
	v_mov_b32_e32 v96, 0
	v_pk_fma_f32 v[38:39], v[160:161], v[164:165], v[38:39] op_sel_hi:[0,1,1]
	s_waitcnt lgkmcnt(3)
	v_dot4c_i32_i8_e32 v96, v199, v8
	v_mov_b32_e32 v97, 0
	v_pk_mul_f32 v[38:39], v[38:39], v[140:141]
	v_dot4c_i32_i8_e32 v96, v197, v9
	s_waitcnt lgkmcnt(1)
	v_dot4c_i32_i8_e32 v97, v213, v4
	v_pk_fma_f32 v[36:37], v[36:37], v[138:139], v[38:39] neg_lo:[0,0,1] neg_hi:[0,0,1]
	v_dot4c_i32_i8_e32 v96, v201, v10
	v_dot4c_i32_i8_e32 v97, v221, v5
	v_pk_add_f32 v[114:115], v[114:115], v[36:37]
	v_dot4c_i32_i8_e32 v96, v202, v11
	v_dot4c_i32_i8_e32 v97, v222, v6
	ds_read2_b64 v[36:39], v171 offset0:96 offset1:112
	v_dot4c_i32_i8_e32 v96, v206, v12
	v_dot4c_i32_i8_e32 v97, v223, v7
	;; [unrolled: 1-line block ×3, first 2 shown]
	s_waitcnt lgkmcnt(1)
	v_dot4c_i32_i8_e32 v97, v225, v0
	v_dot4c_i32_i8_e32 v96, v209, v14
	;; [unrolled: 1-line block ×6, first 2 shown]
	s_waitcnt lgkmcnt(0)
	v_cvt_f32_f16_e32 v168, v36
	v_cvt_f32_f16_sdwa v166, v36 dst_sel:DWORD dst_unused:UNUSED_PAD src0_sel:WORD_1
	v_mul_lo_u32 v24, v24, v208
	v_mul_lo_u32 v36, v96, v208
	v_cvt_f32_f16_e32 v169, v38
	v_cvt_f32_f16_e32 v164, v37
	v_cvt_f32_f16_sdwa v162, v37 dst_sel:DWORD dst_unused:UNUSED_PAD src0_sel:WORD_1
	v_cvt_f32_i32_e32 v37, v36
	v_cvt_f32_i32_e32 v36, v24
	v_mul_lo_u32 v24, v255, v220
	v_mul_lo_u32 v96, v97, v220
	v_cvt_f32_f16_e32 v165, v39
	v_cvt_f32_i32_e32 v97, v96
	v_cvt_f32_i32_e32 v96, v24
	v_pk_fma_f32 v[36:37], v[36:37], v[168:169], 0 op_sel_hi:[1,1,0]
	v_cvt_f32_f16_sdwa v167, v38 dst_sel:DWORD dst_unused:UNUSED_PAD src0_sel:WORD_1
	v_cvt_f32_f16_sdwa v163, v39 dst_sel:DWORD dst_unused:UNUSED_PAD src0_sel:WORD_1
	v_pk_fma_f32 v[36:37], v[96:97], v[164:165], v[36:37]
	v_mov_b32_e32 v96, 0
	v_dot4c_i32_i8_e32 v96, v218, v4
	v_dot4c_i32_i8_e32 v96, v231, v5
	;; [unrolled: 1-line block ×3, first 2 shown]
	v_pk_fma_f32 v[38:39], v[150:151], v[166:167], 0 op_sel_hi:[0,1,0]
	v_mov_b32_e32 v24, 0
	v_dot4c_i32_i8_e32 v96, v235, v7
	v_pk_fma_f32 v[38:39], v[154:155], v[162:163], v[38:39] op_sel_hi:[0,1,1]
	v_dot4c_i32_i8_e32 v24, v198, v8
	v_dot4c_i32_i8_e32 v96, v238, v0
	v_pk_mul_f32 v[38:39], v[38:39], v[132:133]
	v_dot4c_i32_i8_e32 v24, v203, v9
	v_dot4c_i32_i8_e32 v96, v240, v1
	v_pk_fma_f32 v[36:37], v[36:37], v[130:131], v[38:39] neg_lo:[0,0,1] neg_hi:[0,0,1]
	v_dot4c_i32_i8_e32 v24, v204, v10
	v_dot4c_i32_i8_e32 v96, v241, v2
	v_mul_lo_u32 v20, v20, v214
	v_pk_add_f32 v[92:93], v[92:93], v[36:37]
	v_dot4c_i32_i8_e32 v24, v205, v11
	v_dot4c_i32_i8_e32 v96, v243, v3
	v_cvt_f32_i32_e32 v36, v20
	v_mul_lo_u32 v20, v22, v239
	v_dot4c_i32_i8_e32 v24, v211, v12
	v_mul_lo_u32 v22, v96, v239
	v_cvt_f32_i32_e32 v96, v20
	v_mov_b32_e32 v20, 0
	v_mov_b32_e32 v150, 0
	v_dot4c_i32_i8_e32 v24, v212, v13
	v_cvt_f32_i32_e32 v97, v22
	v_dot4c_i32_i8_e32 v20, v217, v8
	v_mov_b32_e32 v22, 0
	v_dot4c_i32_i8_e32 v150, v244, v8
	v_mov_b32_e32 v8, 0
	v_dot4c_i32_i8_e32 v24, v215, v14
	v_dot4c_i32_i8_e32 v20, v219, v9
	;; [unrolled: 1-line block ×10, first 2 shown]
	v_mul_lo_u32 v24, v24, v214
	v_dot4c_i32_i8_e32 v20, v226, v11
	v_dot4c_i32_i8_e32 v22, v246, v6
	;; [unrolled: 1-line block ×4, first 2 shown]
	v_cvt_f32_i32_e32 v37, v24
	v_dot4c_i32_i8_e32 v20, v232, v12
	v_dot4c_i32_i8_e32 v22, v247, v7
	;; [unrolled: 1-line block ×12, first 2 shown]
	v_pk_fma_f32 v[38:39], v[152:153], v[166:167], 0 op_sel_hi:[0,1,0]
	v_dot4c_i32_i8_e32 v20, v237, v15
	v_dot4c_i32_i8_e32 v22, v251, v2
	;; [unrolled: 1-line block ×4, first 2 shown]
	v_pk_fma_f32 v[36:37], v[36:37], v[168:169], 0 op_sel_hi:[1,1,0]
	v_pk_fma_f32 v[38:39], v[158:159], v[162:163], v[38:39] op_sel_hi:[0,1,1]
	v_dot4c_i32_i8_e32 v22, v252, v3
	v_mul_lo_u32 v24, v21, v230
	v_mul_lo_u32 v20, v20, v230
	v_dot4c_i32_i8_e32 v8, v187, v3
	v_mul_lo_u32 v0, v254, v182
	v_mul_lo_u32 v1, v150, v182
	v_pk_fma_f32 v[36:37], v[96:97], v[164:165], v[36:37]
	v_pk_mul_f32 v[38:39], v[38:39], v[136:137]
	v_cvt_f32_i32_e32 v21, v20
	v_cvt_f32_i32_e32 v20, v24
	v_mul_lo_u32 v24, v63, v249
	v_mul_lo_u32 v22, v22, v249
	v_cvt_f32_i32_e32 v1, v1
	v_cvt_f32_i32_e32 v0, v0
	v_mul_lo_u32 v4, v253, v181
	v_mul_lo_u32 v5, v8, v181
	v_pk_fma_f32 v[36:37], v[36:37], v[134:135], v[38:39] neg_lo:[0,0,1] neg_hi:[0,0,1]
	v_cvt_f32_i32_e32 v39, v22
	v_cvt_f32_i32_e32 v38, v24
	;; [unrolled: 1-line block ×4, first 2 shown]
	v_pk_add_f32 v[102:103], v[102:103], v[36:37]
	v_pk_fma_f32 v[36:37], v[156:157], v[166:167], 0 op_sel_hi:[0,1,0]
	v_pk_fma_f32 v[2:3], v[148:149], v[166:167], 0 op_sel_hi:[0,1,0]
	;; [unrolled: 1-line block ×6, first 2 shown]
	v_pk_fma_f32 v[20:21], v[38:39], v[164:165], v[20:21]
	v_pk_mul_f32 v[36:37], v[36:37], v[140:141]
	v_pk_fma_f32 v[0:1], v[4:5], v[164:165], v[0:1]
	v_pk_mul_f32 v[2:3], v[2:3], v[144:145]
	v_pk_fma_f32 v[20:21], v[20:21], v[138:139], v[36:37] neg_lo:[0,0,1] neg_hi:[0,0,1]
	v_pk_fma_f32 v[0:1], v[0:1], v[142:143], v[2:3] neg_lo:[0,0,1] neg_hi:[0,0,1]
	s_add_i32 s0, s0, 8
	s_add_i32 s17, s16, 8
	;; [unrolled: 1-line block ×4, first 2 shown]
	v_pk_add_f32 v[110:111], v[110:111], v[20:21]
	v_pk_add_f32 v[116:117], v[116:117], v[0:1]
	v_add_u32_e32 v180, 32, v180
	v_add_u32_e32 v171, 8, v171
	;; [unrolled: 1-line block ×3, first 2 shown]
	s_cmp_lt_u32 s16, 24
	s_mov_b32 s16, s17
	s_cbranch_scc1 .LBB152_8
; %bb.9:                                ;   in Loop: Header=BB152_5 Depth=1
	s_add_i32 s7, s7, 1
	s_cmp_eq_u32 s7, s4
	s_barrier
	s_cbranch_scc0 .LBB152_5
; %bb.10:
	scratch_load_dword v5, off, off offset:72 ; 4-byte Folded Reload
	scratch_load_dword v6, off, off offset:76 ; 4-byte Folded Reload
	v_cvt_pk_f16_f32 v21, v56, v57
	v_cvt_pk_f16_f32 v20, v118, v119
	;; [unrolled: 1-line block ×16, first 2 shown]
.LBB152_11:
	s_waitcnt vmcnt(0)
	v_cmp_gt_u32_e32 vcc, s10, v6
	s_and_saveexec_b64 s[0:1], vcc
	s_cbranch_execz .LBB152_62
; %bb.12:
	v_add_u32_e32 v0, s6, v17
	v_mul_lo_u32 v17, v6, s14
	v_cmp_gt_u32_e32 vcc, s14, v0
	s_and_saveexec_b64 s[0:1], vcc
	s_cbranch_execz .LBB152_14
; %bb.13:
	v_add_u32_e32 v6, v0, v17
	v_mov_b32_e32 v7, 0
	s_waitcnt lgkmcnt(0)
	v_lshl_add_u64 v[6:7], v[6:7], 1, s[12:13]
	global_store_short v[6:7], v21, off
.LBB152_14:
	s_or_b64 exec, exec, s[0:1]
	v_add_u32_e32 v6, 32, v0
	v_cmp_gt_u32_e64 s[0:1], s14, v6
	s_and_saveexec_b64 s[2:3], s[0:1]
	s_cbranch_execz .LBB152_16
; %bb.15:
	v_add_u32_e32 v22, v6, v17
	v_mov_b32_e32 v23, 0
	s_waitcnt lgkmcnt(0)
	v_lshl_add_u64 v[22:23], v[22:23], 1, s[12:13]
	global_store_short v[22:23], v20, off
.LBB152_16:
	s_or_b64 exec, exec, s[2:3]
	v_add_u32_e32 v7, 64, v0
	v_cmp_gt_u32_e64 s[2:3], s14, v7
	s_and_saveexec_b64 s[4:5], s[2:3]
	;; [unrolled: 12-line block ×3, first 2 shown]
	s_cbranch_execz .LBB152_20
; %bb.19:
	v_add_u32_e32 v22, v8, v17
	v_mov_b32_e32 v23, 0
	s_waitcnt lgkmcnt(0)
	v_lshl_add_u64 v[22:23], v[22:23], 1, s[12:13]
	global_store_short v[22:23], v18, off
.LBB152_20:
	s_or_b64 exec, exec, s[6:7]
	v_add3_u32 v17, v5, s15, 8
	v_cmp_gt_u32_e64 s[6:7], s10, v17
	s_and_b64 exec, exec, s[6:7]
	s_cbranch_execz .LBB152_62
; %bb.21:
	v_mul_lo_u32 v17, v17, s14
	s_and_saveexec_b64 s[6:7], vcc
	s_cbranch_execnz .LBB152_63
; %bb.22:
	s_or_b64 exec, exec, s[6:7]
	s_and_saveexec_b64 s[6:7], s[0:1]
	s_cbranch_execnz .LBB152_64
.LBB152_23:
	s_or_b64 exec, exec, s[6:7]
	s_and_saveexec_b64 s[6:7], s[2:3]
	s_cbranch_execnz .LBB152_65
.LBB152_24:
	s_or_b64 exec, exec, s[6:7]
	s_and_saveexec_b64 s[6:7], s[4:5]
	s_cbranch_execz .LBB152_26
.LBB152_25:
	v_add_u32_e32 v20, v17, v8
	v_mov_b32_e32 v21, 0
	s_waitcnt lgkmcnt(0)
	v_lshl_add_u64 v[20:21], v[20:21], 1, s[12:13]
	global_store_short_d16_hi v[20:21], v18, off
.LBB152_26:
	s_or_b64 exec, exec, s[6:7]
	v_add3_u32 v17, v5, s15, 16
	v_cmp_gt_u32_e64 s[6:7], s10, v17
	s_and_b64 exec, exec, s[6:7]
	s_cbranch_execz .LBB152_62
; %bb.27:
	v_mul_lo_u32 v17, v17, s14
	s_and_saveexec_b64 s[6:7], vcc
	s_cbranch_execnz .LBB152_66
; %bb.28:
	s_or_b64 exec, exec, s[6:7]
	s_and_saveexec_b64 s[6:7], s[0:1]
	s_cbranch_execnz .LBB152_67
.LBB152_29:
	s_or_b64 exec, exec, s[6:7]
	s_and_saveexec_b64 s[6:7], s[2:3]
	s_cbranch_execnz .LBB152_68
.LBB152_30:
	s_or_b64 exec, exec, s[6:7]
	s_and_saveexec_b64 s[6:7], s[4:5]
	s_cbranch_execz .LBB152_32
.LBB152_31:
	v_add_u32_e32 v18, v17, v8
	v_mov_b32_e32 v19, 0
	s_waitcnt lgkmcnt(0)
	v_lshl_add_u64 v[18:19], v[18:19], 1, s[12:13]
	global_store_short v[18:19], v13, off
.LBB152_32:
	s_or_b64 exec, exec, s[6:7]
	v_add3_u32 v17, v5, s15, 24
	v_cmp_gt_u32_e64 s[6:7], s10, v17
	s_and_b64 exec, exec, s[6:7]
	s_cbranch_execz .LBB152_62
; %bb.33:
	v_mul_lo_u32 v17, v17, s14
	s_and_saveexec_b64 s[6:7], vcc
	s_cbranch_execnz .LBB152_69
; %bb.34:
	s_or_b64 exec, exec, s[6:7]
	s_and_saveexec_b64 s[6:7], s[0:1]
	s_cbranch_execnz .LBB152_70
.LBB152_35:
	s_or_b64 exec, exec, s[6:7]
	s_and_saveexec_b64 s[6:7], s[2:3]
	s_cbranch_execnz .LBB152_71
.LBB152_36:
	s_or_b64 exec, exec, s[6:7]
	s_and_saveexec_b64 s[6:7], s[4:5]
	s_cbranch_execz .LBB152_38
.LBB152_37:
	v_add_u32_e32 v14, v17, v8
	v_mov_b32_e32 v15, 0
	s_waitcnt lgkmcnt(0)
	v_lshl_add_u64 v[14:15], v[14:15], 1, s[12:13]
	global_store_short_d16_hi v[14:15], v13, off
.LBB152_38:
	s_or_b64 exec, exec, s[6:7]
	v_add3_u32 v13, v5, s15, 32
	v_cmp_gt_u32_e64 s[6:7], s10, v13
	s_and_b64 exec, exec, s[6:7]
	s_cbranch_execz .LBB152_62
; %bb.39:
	v_mul_lo_u32 v13, v13, s14
	s_and_saveexec_b64 s[6:7], vcc
	s_cbranch_execnz .LBB152_72
; %bb.40:
	s_or_b64 exec, exec, s[6:7]
	s_and_saveexec_b64 s[6:7], s[0:1]
	s_cbranch_execnz .LBB152_73
.LBB152_41:
	s_or_b64 exec, exec, s[6:7]
	s_and_saveexec_b64 s[6:7], s[2:3]
	s_cbranch_execnz .LBB152_74
.LBB152_42:
	s_or_b64 exec, exec, s[6:7]
	s_and_saveexec_b64 s[6:7], s[4:5]
	s_cbranch_execz .LBB152_44
.LBB152_43:
	v_add_u32_e32 v14, v13, v8
	v_mov_b32_e32 v15, 0
	s_waitcnt lgkmcnt(0)
	v_lshl_add_u64 v[14:15], v[14:15], 1, s[12:13]
	global_store_short v[14:15], v9, off
.LBB152_44:
	s_or_b64 exec, exec, s[6:7]
	v_add3_u32 v13, v5, s15, 40
	v_cmp_gt_u32_e64 s[6:7], s10, v13
	s_and_b64 exec, exec, s[6:7]
	s_cbranch_execz .LBB152_62
; %bb.45:
	v_mul_lo_u32 v13, v13, s14
	s_and_saveexec_b64 s[6:7], vcc
	s_cbranch_execnz .LBB152_75
; %bb.46:
	s_or_b64 exec, exec, s[6:7]
	s_and_saveexec_b64 s[6:7], s[0:1]
	s_cbranch_execnz .LBB152_76
.LBB152_47:
	s_or_b64 exec, exec, s[6:7]
	s_and_saveexec_b64 s[6:7], s[2:3]
	s_cbranch_execnz .LBB152_77
.LBB152_48:
	s_or_b64 exec, exec, s[6:7]
	s_and_saveexec_b64 s[6:7], s[4:5]
	s_cbranch_execz .LBB152_50
.LBB152_49:
	v_add_u32_e32 v10, v13, v8
	v_mov_b32_e32 v11, 0
	s_waitcnt lgkmcnt(0)
	v_lshl_add_u64 v[10:11], v[10:11], 1, s[12:13]
	global_store_short_d16_hi v[10:11], v9, off
.LBB152_50:
	s_or_b64 exec, exec, s[6:7]
	v_add3_u32 v9, v5, s15, 48
	v_cmp_gt_u32_e64 s[6:7], s10, v9
	s_and_b64 exec, exec, s[6:7]
	s_cbranch_execz .LBB152_62
; %bb.51:
	v_mul_lo_u32 v9, v9, s14
	s_and_saveexec_b64 s[6:7], vcc
	s_cbranch_execnz .LBB152_78
; %bb.52:
	s_or_b64 exec, exec, s[6:7]
	s_and_saveexec_b64 s[6:7], s[0:1]
	s_cbranch_execnz .LBB152_79
.LBB152_53:
	s_or_b64 exec, exec, s[6:7]
	s_and_saveexec_b64 s[6:7], s[2:3]
	s_cbranch_execnz .LBB152_80
.LBB152_54:
	s_or_b64 exec, exec, s[6:7]
	s_and_saveexec_b64 s[6:7], s[4:5]
	s_cbranch_execz .LBB152_56
.LBB152_55:
	v_add_u32_e32 v10, v9, v8
	v_mov_b32_e32 v11, 0
	s_waitcnt lgkmcnt(0)
	v_lshl_add_u64 v[10:11], v[10:11], 1, s[12:13]
	global_store_short v[10:11], v1, off
.LBB152_56:
	s_or_b64 exec, exec, s[6:7]
	v_add3_u32 v5, v5, s15, 56
	v_cmp_gt_u32_e64 s[6:7], s10, v5
	s_and_b64 exec, exec, s[6:7]
	s_cbranch_execz .LBB152_62
; %bb.57:
	v_mul_lo_u32 v5, v5, s14
	s_and_saveexec_b64 s[6:7], vcc
	s_cbranch_execnz .LBB152_81
; %bb.58:
	s_or_b64 exec, exec, s[6:7]
	s_and_saveexec_b64 s[6:7], s[0:1]
	s_cbranch_execnz .LBB152_82
.LBB152_59:
	s_or_b64 exec, exec, s[6:7]
	s_and_saveexec_b64 s[0:1], s[2:3]
	s_cbranch_execnz .LBB152_83
.LBB152_60:
	s_or_b64 exec, exec, s[0:1]
	s_and_b64 exec, exec, s[4:5]
	s_cbranch_execz .LBB152_62
.LBB152_61:
	v_add_u32_e32 v2, v5, v8
	v_mov_b32_e32 v3, 0
	s_waitcnt lgkmcnt(0)
	v_lshl_add_u64 v[2:3], v[2:3], 1, s[12:13]
	global_store_short_d16_hi v[2:3], v1, off
.LBB152_62:
	s_endpgm
.LBB152_63:
	v_add_u32_e32 v22, v17, v0
	v_mov_b32_e32 v23, 0
	s_waitcnt lgkmcnt(0)
	v_lshl_add_u64 v[22:23], v[22:23], 1, s[12:13]
	global_store_short_d16_hi v[22:23], v21, off
	s_or_b64 exec, exec, s[6:7]
	s_and_saveexec_b64 s[6:7], s[0:1]
	s_cbranch_execz .LBB152_23
.LBB152_64:
	v_add_u32_e32 v22, v17, v6
	v_mov_b32_e32 v23, 0
	s_waitcnt lgkmcnt(0)
	v_lshl_add_u64 v[22:23], v[22:23], 1, s[12:13]
	global_store_short_d16_hi v[22:23], v20, off
	s_or_b64 exec, exec, s[6:7]
	s_and_saveexec_b64 s[6:7], s[2:3]
	s_cbranch_execz .LBB152_24
.LBB152_65:
	v_add_u32_e32 v20, v17, v7
	v_mov_b32_e32 v21, 0
	s_waitcnt lgkmcnt(0)
	v_lshl_add_u64 v[20:21], v[20:21], 1, s[12:13]
	global_store_short_d16_hi v[20:21], v19, off
	s_or_b64 exec, exec, s[6:7]
	s_and_saveexec_b64 s[6:7], s[4:5]
	s_cbranch_execnz .LBB152_25
	s_branch .LBB152_26
.LBB152_66:
	v_add_u32_e32 v18, v17, v0
	v_mov_b32_e32 v19, 0
	s_waitcnt lgkmcnt(0)
	v_lshl_add_u64 v[18:19], v[18:19], 1, s[12:13]
	global_store_short v[18:19], v16, off
	s_or_b64 exec, exec, s[6:7]
	s_and_saveexec_b64 s[6:7], s[0:1]
	s_cbranch_execz .LBB152_29
.LBB152_67:
	v_add_u32_e32 v18, v17, v6
	v_mov_b32_e32 v19, 0
	s_waitcnt lgkmcnt(0)
	v_lshl_add_u64 v[18:19], v[18:19], 1, s[12:13]
	global_store_short v[18:19], v15, off
	s_or_b64 exec, exec, s[6:7]
	s_and_saveexec_b64 s[6:7], s[2:3]
	s_cbranch_execz .LBB152_30
.LBB152_68:
	v_add_u32_e32 v18, v17, v7
	v_mov_b32_e32 v19, 0
	s_waitcnt lgkmcnt(0)
	v_lshl_add_u64 v[18:19], v[18:19], 1, s[12:13]
	global_store_short v[18:19], v14, off
	s_or_b64 exec, exec, s[6:7]
	s_and_saveexec_b64 s[6:7], s[4:5]
	s_cbranch_execnz .LBB152_31
	s_branch .LBB152_32
.LBB152_69:
	v_add_u32_e32 v18, v17, v0
	v_mov_b32_e32 v19, 0
	s_waitcnt lgkmcnt(0)
	v_lshl_add_u64 v[18:19], v[18:19], 1, s[12:13]
	global_store_short_d16_hi v[18:19], v16, off
	s_or_b64 exec, exec, s[6:7]
	s_and_saveexec_b64 s[6:7], s[0:1]
	s_cbranch_execz .LBB152_35
.LBB152_70:
	v_add_u32_e32 v18, v17, v6
	v_mov_b32_e32 v19, 0
	s_waitcnt lgkmcnt(0)
	v_lshl_add_u64 v[18:19], v[18:19], 1, s[12:13]
	global_store_short_d16_hi v[18:19], v15, off
	s_or_b64 exec, exec, s[6:7]
	s_and_saveexec_b64 s[6:7], s[2:3]
	s_cbranch_execz .LBB152_36
.LBB152_71:
	v_add_u32_e32 v18, v17, v7
	v_mov_b32_e32 v19, 0
	s_waitcnt lgkmcnt(0)
	v_lshl_add_u64 v[18:19], v[18:19], 1, s[12:13]
	global_store_short_d16_hi v[18:19], v14, off
	s_or_b64 exec, exec, s[6:7]
	s_and_saveexec_b64 s[6:7], s[4:5]
	s_cbranch_execnz .LBB152_37
	s_branch .LBB152_38
.LBB152_72:
	v_add_u32_e32 v14, v13, v0
	v_mov_b32_e32 v15, 0
	s_waitcnt lgkmcnt(0)
	v_lshl_add_u64 v[14:15], v[14:15], 1, s[12:13]
	global_store_short v[14:15], v12, off
	s_or_b64 exec, exec, s[6:7]
	s_and_saveexec_b64 s[6:7], s[0:1]
	s_cbranch_execz .LBB152_41
.LBB152_73:
	v_add_u32_e32 v14, v13, v6
	v_mov_b32_e32 v15, 0
	s_waitcnt lgkmcnt(0)
	v_lshl_add_u64 v[14:15], v[14:15], 1, s[12:13]
	global_store_short v[14:15], v11, off
	s_or_b64 exec, exec, s[6:7]
	s_and_saveexec_b64 s[6:7], s[2:3]
	s_cbranch_execz .LBB152_42
.LBB152_74:
	v_add_u32_e32 v14, v13, v7
	v_mov_b32_e32 v15, 0
	s_waitcnt lgkmcnt(0)
	v_lshl_add_u64 v[14:15], v[14:15], 1, s[12:13]
	global_store_short v[14:15], v10, off
	s_or_b64 exec, exec, s[6:7]
	s_and_saveexec_b64 s[6:7], s[4:5]
	s_cbranch_execnz .LBB152_43
	s_branch .LBB152_44
.LBB152_75:
	v_add_u32_e32 v14, v13, v0
	v_mov_b32_e32 v15, 0
	s_waitcnt lgkmcnt(0)
	v_lshl_add_u64 v[14:15], v[14:15], 1, s[12:13]
	global_store_short_d16_hi v[14:15], v12, off
	s_or_b64 exec, exec, s[6:7]
	s_and_saveexec_b64 s[6:7], s[0:1]
	s_cbranch_execz .LBB152_47
.LBB152_76:
	v_add_u32_e32 v14, v13, v6
	v_mov_b32_e32 v15, 0
	s_waitcnt lgkmcnt(0)
	v_lshl_add_u64 v[14:15], v[14:15], 1, s[12:13]
	global_store_short_d16_hi v[14:15], v11, off
	s_or_b64 exec, exec, s[6:7]
	s_and_saveexec_b64 s[6:7], s[2:3]
	s_cbranch_execz .LBB152_48
.LBB152_77:
	v_add_u32_e32 v14, v13, v7
	v_mov_b32_e32 v15, 0
	s_waitcnt lgkmcnt(0)
	v_lshl_add_u64 v[14:15], v[14:15], 1, s[12:13]
	global_store_short_d16_hi v[14:15], v10, off
	s_or_b64 exec, exec, s[6:7]
	s_and_saveexec_b64 s[6:7], s[4:5]
	s_cbranch_execnz .LBB152_49
	s_branch .LBB152_50
.LBB152_78:
	v_add_u32_e32 v10, v9, v0
	v_mov_b32_e32 v11, 0
	s_waitcnt lgkmcnt(0)
	v_lshl_add_u64 v[10:11], v[10:11], 1, s[12:13]
	global_store_short v[10:11], v4, off
	s_or_b64 exec, exec, s[6:7]
	s_and_saveexec_b64 s[6:7], s[0:1]
	s_cbranch_execz .LBB152_53
.LBB152_79:
	v_add_u32_e32 v10, v9, v6
	v_mov_b32_e32 v11, 0
	s_waitcnt lgkmcnt(0)
	v_lshl_add_u64 v[10:11], v[10:11], 1, s[12:13]
	global_store_short v[10:11], v3, off
	s_or_b64 exec, exec, s[6:7]
	s_and_saveexec_b64 s[6:7], s[2:3]
	s_cbranch_execz .LBB152_54
.LBB152_80:
	v_add_u32_e32 v10, v9, v7
	v_mov_b32_e32 v11, 0
	s_waitcnt lgkmcnt(0)
	v_lshl_add_u64 v[10:11], v[10:11], 1, s[12:13]
	global_store_short v[10:11], v2, off
	s_or_b64 exec, exec, s[6:7]
	s_and_saveexec_b64 s[6:7], s[4:5]
	s_cbranch_execnz .LBB152_55
	s_branch .LBB152_56
.LBB152_81:
	v_add_u32_e32 v10, v5, v0
	v_mov_b32_e32 v11, 0
	s_waitcnt lgkmcnt(0)
	v_lshl_add_u64 v[10:11], v[10:11], 1, s[12:13]
	global_store_short_d16_hi v[10:11], v4, off
	s_or_b64 exec, exec, s[6:7]
	s_and_saveexec_b64 s[6:7], s[0:1]
	s_cbranch_execz .LBB152_59
.LBB152_82:
	v_add_u32_e32 v10, v5, v6
	v_mov_b32_e32 v11, 0
	s_waitcnt lgkmcnt(0)
	v_lshl_add_u64 v[10:11], v[10:11], 1, s[12:13]
	global_store_short_d16_hi v[10:11], v3, off
	s_or_b64 exec, exec, s[6:7]
	s_and_saveexec_b64 s[0:1], s[2:3]
	s_cbranch_execz .LBB152_60
.LBB152_83:
	v_add_u32_e32 v6, v5, v7
	v_mov_b32_e32 v7, 0
	s_waitcnt lgkmcnt(0)
	v_lshl_add_u64 v[6:7], v[6:7], 1, s[12:13]
	global_store_short_d16_hi v[6:7], v2, off
	s_or_b64 exec, exec, s[0:1]
	s_and_b64 exec, exec, s[4:5]
	s_cbranch_execnz .LBB152_61
	s_branch .LBB152_62
	.section	.rodata,"a",@progbits
	.p2align	6, 0x0
	.amdhsa_kernel _ZL12mul_mat_q4_KIN3c104HalfELb1EEvPKvS3_PT_iiiii
		.amdhsa_group_segment_fixed_size 28752
		.amdhsa_private_segment_fixed_size 84
		.amdhsa_kernarg_size 44
		.amdhsa_user_sgpr_count 2
		.amdhsa_user_sgpr_dispatch_ptr 0
		.amdhsa_user_sgpr_queue_ptr 0
		.amdhsa_user_sgpr_kernarg_segment_ptr 1
		.amdhsa_user_sgpr_dispatch_id 0
		.amdhsa_user_sgpr_kernarg_preload_length 0
		.amdhsa_user_sgpr_kernarg_preload_offset 0
		.amdhsa_user_sgpr_private_segment_size 0
		.amdhsa_uses_dynamic_stack 0
		.amdhsa_enable_private_segment 1
		.amdhsa_system_sgpr_workgroup_id_x 1
		.amdhsa_system_sgpr_workgroup_id_y 1
		.amdhsa_system_sgpr_workgroup_id_z 0
		.amdhsa_system_sgpr_workgroup_info 0
		.amdhsa_system_vgpr_workitem_id 1
		.amdhsa_next_free_vgpr 256
		.amdhsa_next_free_sgpr 96
		.amdhsa_accum_offset 256
		.amdhsa_reserve_vcc 1
		.amdhsa_float_round_mode_32 0
		.amdhsa_float_round_mode_16_64 0
		.amdhsa_float_denorm_mode_32 3
		.amdhsa_float_denorm_mode_16_64 3
		.amdhsa_dx10_clamp 1
		.amdhsa_ieee_mode 1
		.amdhsa_fp16_overflow 0
		.amdhsa_tg_split 0
		.amdhsa_exception_fp_ieee_invalid_op 0
		.amdhsa_exception_fp_denorm_src 0
		.amdhsa_exception_fp_ieee_div_zero 0
		.amdhsa_exception_fp_ieee_overflow 0
		.amdhsa_exception_fp_ieee_underflow 0
		.amdhsa_exception_fp_ieee_inexact 0
		.amdhsa_exception_int_div_zero 0
	.end_amdhsa_kernel
	.section	.text._ZL12mul_mat_q4_KIN3c104HalfELb1EEvPKvS3_PT_iiiii,"axG",@progbits,_ZL12mul_mat_q4_KIN3c104HalfELb1EEvPKvS3_PT_iiiii,comdat
.Lfunc_end152:
	.size	_ZL12mul_mat_q4_KIN3c104HalfELb1EEvPKvS3_PT_iiiii, .Lfunc_end152-_ZL12mul_mat_q4_KIN3c104HalfELb1EEvPKvS3_PT_iiiii
                                        ; -- End function
	.set _ZL12mul_mat_q4_KIN3c104HalfELb1EEvPKvS3_PT_iiiii.num_vgpr, 256
	.set _ZL12mul_mat_q4_KIN3c104HalfELb1EEvPKvS3_PT_iiiii.num_agpr, 0
	.set _ZL12mul_mat_q4_KIN3c104HalfELb1EEvPKvS3_PT_iiiii.numbered_sgpr, 20
	.set _ZL12mul_mat_q4_KIN3c104HalfELb1EEvPKvS3_PT_iiiii.num_named_barrier, 0
	.set _ZL12mul_mat_q4_KIN3c104HalfELb1EEvPKvS3_PT_iiiii.private_seg_size, 84
	.set _ZL12mul_mat_q4_KIN3c104HalfELb1EEvPKvS3_PT_iiiii.uses_vcc, 1
	.set _ZL12mul_mat_q4_KIN3c104HalfELb1EEvPKvS3_PT_iiiii.uses_flat_scratch, 0
	.set _ZL12mul_mat_q4_KIN3c104HalfELb1EEvPKvS3_PT_iiiii.has_dyn_sized_stack, 0
	.set _ZL12mul_mat_q4_KIN3c104HalfELb1EEvPKvS3_PT_iiiii.has_recursion, 0
	.set _ZL12mul_mat_q4_KIN3c104HalfELb1EEvPKvS3_PT_iiiii.has_indirect_call, 0
	.section	.AMDGPU.csdata,"",@progbits
; Kernel info:
; codeLenInByte = 16976
; TotalNumSgprs: 26
; NumVgprs: 256
; NumAgprs: 0
; TotalNumVgprs: 256
; ScratchSize: 84
; MemoryBound: 0
; FloatMode: 240
; IeeeMode: 1
; LDSByteSize: 28752 bytes/workgroup (compile time only)
; SGPRBlocks: 12
; VGPRBlocks: 31
; NumSGPRsForWavesPerEU: 102
; NumVGPRsForWavesPerEU: 256
; AccumOffset: 256
; Occupancy: 2
; WaveLimiterHint : 0
; COMPUTE_PGM_RSRC2:SCRATCH_EN: 1
; COMPUTE_PGM_RSRC2:USER_SGPR: 2
; COMPUTE_PGM_RSRC2:TRAP_HANDLER: 0
; COMPUTE_PGM_RSRC2:TGID_X_EN: 1
; COMPUTE_PGM_RSRC2:TGID_Y_EN: 1
; COMPUTE_PGM_RSRC2:TGID_Z_EN: 0
; COMPUTE_PGM_RSRC2:TIDIG_COMP_CNT: 1
; COMPUTE_PGM_RSRC3_GFX90A:ACCUM_OFFSET: 63
; COMPUTE_PGM_RSRC3_GFX90A:TG_SPLIT: 0
	.section	.text._ZL12mul_mat_q5_KIN3c104HalfELb0EEvPKvS3_PT_iiiii,"axG",@progbits,_ZL12mul_mat_q5_KIN3c104HalfELb0EEvPKvS3_PT_iiiii,comdat
	.globl	_ZL12mul_mat_q5_KIN3c104HalfELb0EEvPKvS3_PT_iiiii ; -- Begin function _ZL12mul_mat_q5_KIN3c104HalfELb0EEvPKvS3_PT_iiiii
	.p2align	8
	.type	_ZL12mul_mat_q5_KIN3c104HalfELb0EEvPKvS3_PT_iiiii,@function
_ZL12mul_mat_q5_KIN3c104HalfELb0EEvPKvS3_PT_iiiii: ; @_ZL12mul_mat_q5_KIN3c104HalfELb0EEvPKvS3_PT_iiiii
; %bb.0:
	s_load_dword s14, s[0:1], 0x18
	s_load_dwordx4 s[8:11], s[0:1], 0x20
	s_waitcnt lgkmcnt(0)
	s_lshl_b32 s11, s3, 6
	v_bfe_u32 v23, v0, 10, 10
	s_cmpk_gt_i32 s14, 0xff
	s_cbranch_scc1 .LBB153_2
; %bb.1:
	v_bfe_u32 v5, v0, 10, 10
	v_and_b32_e32 v17, 0x3ff, v0
	v_add_u32_e32 v25, s11, v5
	s_mov_b64 s[4:5], 0
	s_branch .LBB153_3
.LBB153_2:
	s_mov_b64 s[4:5], -1
                                        ; implicit-def: $vgpr5
                                        ; implicit-def: $vgpr17
                                        ; implicit-def: $vgpr25
.LBB153_3:
	s_load_dwordx2 s[12:13], s[0:1], 0x10
	s_lshl_b32 s6, s2, 7
	s_mov_b32 s7, 0
	v_mov_b32_e32 v1, 0
	s_andn2_b64 vcc, exec, s[4:5]
	v_mov_b32_e32 v9, 0
	v_mov_b32_e32 v13, 0
	;; [unrolled: 1-line block ×15, first 2 shown]
	s_cbranch_vccnz .LBB153_11
; %bb.4:
	s_ashr_i32 s4, s14, 31
	s_load_dwordx4 s[0:3], s[0:1], 0x0
	s_lshr_b32 s4, s4, 24
	s_add_i32 s14, s14, s4
	s_ashr_i32 s5, s9, 31
	s_ashr_i32 s4, s14, 8
	s_lshr_b32 s5, s5, 27
	s_add_i32 s5, s9, s5
	s_mul_i32 s9, s4, s6
	s_ashr_i32 s15, s5, 5
	s_mul_hi_i32 s14, s9, 0xb0
	s_mulk_i32 s9, 0xb0
	v_and_b32_e32 v17, 0x3ff, v0
	v_and_b32_e32 v2, 7, v0
	s_waitcnt lgkmcnt(0)
	s_add_u32 s9, s0, s9
	v_lshlrev_b32_e32 v5, 3, v17
	v_lshlrev_b32_e32 v2, 2, v2
	s_movk_i32 s0, 0xc0
	s_addc_u32 s14, s1, s14
	v_mul_u32_u24_e32 v4, 0x41, v23
	v_and_or_b32 v2, v5, s0, v2
	s_lshl_b32 s0, s4, 3
	v_lshl_add_u32 v31, v4, 2, v2
	v_mov_b32_e32 v2, s0
	v_mad_i32_i24 v22, s4, v23, v2
	v_add_u32_e32 v24, s0, v22
	v_add_u32_e32 v26, s0, v24
	;; [unrolled: 1-line block ×5, first 2 shown]
	v_lshlrev_b32_e32 v33, 5, v23
	v_add_u32_e32 v34, s0, v32
	v_add_u32_e32 v2, v33, v17
	;; [unrolled: 1-line block ×3, first 2 shown]
	v_and_b32_e32 v4, 0x7f, v2
	v_lshrrev_b32_e32 v2, 3, v2
	v_add_u32_e32 v38, s0, v36
	v_mul_i32_i24_e32 v52, s4, v4
	v_and_b32_e32 v2, 12, v2
	v_lshlrev_b32_e32 v4, 2, v4
	s_mov_b32 s16, 0xae40
	v_add_u32_e32 v40, s0, v38
	v_add3_u32 v35, v4, v2, s16
	v_and_b32_e32 v2, 3, v0
	v_add_u32_e32 v42, s0, v40
	v_add_u32_e32 v4, 0xfe, v2
	v_bfe_u32 v1, v0, 2, 8
	v_add_u32_e32 v44, s0, v42
	v_lshlrev_b32_e32 v8, 3, v23
	v_and_b32_e32 v4, 0xff, v4
	v_cmp_gt_u32_e32 vcc, 2, v2
	v_and_b32_e32 v27, 6, v1
	v_add_u32_e32 v46, s0, v44
	v_add_u32_e32 v15, v1, v8
	v_cndmask_b32_e32 v9, v4, v2, vcc
	v_cmp_ne_u32_e32 vcc, 0, v2
	v_add_u16_e32 v1, v1, v8
	v_add_u32_e32 v48, s0, v46
	v_addc_co_u32_e32 v4, vcc, 0, v9, vcc
	v_lshlrev_b32_e32 v39, 1, v9
	v_and_b32_e32 v9, 0x7f, v15
	v_lshlrev_b32_e32 v45, 2, v2
	v_lshrrev_b16_e32 v1, 1, v1
	v_add_u32_e32 v50, s0, v48
	v_mul_i32_i24_e32 v54, s4, v9
	v_lshl_or_b32 v9, v9, 4, v45
	v_and_b32_e32 v1, 60, v1
	s_mov_b32 s0, 0xa200
	v_add3_u32 v41, v9, v1, s0
	v_mov_b32_e32 v1, 0x7f
	v_bitop3_b32 v1, v15, 64, v1 bitop3:0x6c
	v_mul_i32_i24_e32 v56, s4, v1
	v_lshl_or_b32 v8, v1, 4, v45
	v_lshrrev_b32_e32 v1, 1, v1
	v_and_b32_e32 v1, 60, v1
	v_add3_u32 v43, v8, v1, s0
	v_and_b32_e32 v1, 31, v0
	v_mov_b32_e32 v47, 0x8200
	v_lshl_or_b32 v68, v1, 2, v47
	v_and_b32_e32 v1, 63, v15
	v_add_u32_e32 v25, s11, v23
	s_add_i32 s0, s8, -1
	v_or_b32_e32 v15, s11, v1
	v_lshl_or_b32 v1, v1, 4, v45
	v_bfe_u32 v16, v0, 5, 5
	v_cvt_f64_i32_e32 v[8:9], s0
	v_add_u32_e32 v45, 0xaa40, v1
	v_bfe_u32 v47, v0, 3, 7
	v_cvt_f64_u32_e32 v[0:1], v25
	v_min_f64 v[0:1], v[0:1], v[8:9]
	v_cvt_i32_f64_e32 v0, v[0:1]
	v_mul_lo_u32 v49, s15, v0
	v_add_u32_e32 v0, 8, v25
	v_cvt_f64_u32_e32 v[0:1], v0
	v_min_f64 v[0:1], v[0:1], v[8:9]
	v_cvt_i32_f64_e32 v0, v[0:1]
	v_mul_lo_u32 v51, s15, v0
	v_add_u32_e32 v0, 16, v25
	;; [unrolled: 5-line block ×5, first 2 shown]
	v_cvt_f64_u32_e32 v[0:1], v0
	v_lshlrev_b32_e32 v3, 2, v17
	v_min_i32_e32 v15, s0, v15
	v_min_f64 v[0:1], v[0:1], v[8:9]
	v_mad_u64_u32 v[58:59], s[0:1], v15, s15, v[2:3]
	v_cvt_i32_f64_e32 v0, v[0:1]
	v_mul_lo_u32 v59, s15, v0
	v_add_u32_e32 v0, 48, v25
	v_cvt_f64_u32_e32 v[0:1], v0
	v_min_f64 v[0:1], v[0:1], v[8:9]
	v_cvt_i32_f64_e32 v0, v[0:1]
	v_mul_lo_u32 v115, s15, v0
	v_add_u32_e32 v0, 56, v25
	v_cvt_f64_u32_e32 v[0:1], v0
	v_min_f64 v[0:1], v[0:1], v[8:9]
	v_cvt_i32_f64_e32 v0, v[0:1]
	v_lshlrev_b32_e32 v1, 2, v16
	v_add3_u32 v204, v1, v3, s16
	v_add_u32_e32 v1, 32, v17
	v_lshrrev_b32_e32 v205, 3, v1
	v_lshlrev_b32_e32 v8, 2, v1
	v_and_b32_e32 v1, 60, v205
	v_add3_u32 v206, v3, v1, s16
	v_add_u32_e32 v1, 64, v17
	v_lshlrev_b32_e32 v9, 2, v1
	v_lshrrev_b32_e32 v1, 3, v1
	v_and_b32_e32 v60, 60, v1
	v_add_u32_e32 v5, 8, v23
	v_add3_u32 v207, v3, v60, s16
	v_add_u32_e32 v60, 0x60, v17
	v_lshlrev_b32_e32 v15, 7, v5
	v_lshrrev_b32_e32 v75, 3, v60
	v_lshlrev_b32_e32 v209, 5, v5
	s_movk_i32 s0, 0x104
	v_mov_b32_e32 v5, 0x2080
	v_mov_b32_e32 v19, 0
	v_add_u32_e32 v7, 16, v23
	v_add_u32_e32 v10, 24, v23
	;; [unrolled: 1-line block ×6, first 2 shown]
	v_and_b32_e32 v6, 4, v3
	v_cmp_lt_u32_e32 vcc, 1, v2
	v_lshlrev_b32_e32 v74, 2, v60
	v_and_b32_e32 v60, 60, v75
	v_mad_u32_u24 v217, v17, s0, v5
	v_mov_b32_e32 v5, 0x4100
	v_and_b32_e32 v20, 28, v3
	v_mov_b32_e32 v21, v19
	v_cndmask_b32_e32 v37, 0, v6, vcc
	v_cndmask_b32_e64 v6, 0, 1, vcc
	v_lshlrev_b32_e32 v2, 7, v23
	v_lshlrev_b32_e32 v69, 7, v7
	;; [unrolled: 1-line block ×6, first 2 shown]
	v_mul_lo_u32 v117, s15, v0
	v_lshlrev_b32_e32 v0, 7, v14
	v_add3_u32 v208, v3, v60, s16
	v_mad_u32_u24 v218, v17, s0, v5
	v_mov_b32_e32 v5, 0x6180
	v_mov_b32_e32 v60, v19
	;; [unrolled: 1-line block ×3, first 2 shown]
	s_movk_i32 s5, 0xb0
	v_and_b32_e32 v18, 0x7c, v3
	v_or_b32_e32 v29, 1, v27
	v_lshlrev_b32_e32 v210, 5, v7
	v_lshlrev_b32_e32 v211, 5, v10
	;; [unrolled: 1-line block ×6, first 2 shown]
	v_mul_u32_u24_e32 v216, 0x104, v17
	v_mad_u32_u24 v219, v17, s0, v5
	v_lshl_add_u64 v[62:63], s[2:3], 0, v[20:21]
	s_mov_b32 s15, 0x10101010
	v_lshlrev_b32_e32 v64, 2, v4
	v_mov_b32_e32 v65, v19
	v_lshlrev_b32_e32 v66, 2, v6
	v_mov_b32_e32 v67, v19
	s_mov_b32 s16, 0x30303030
	v_add_u32_e32 v220, v68, v2
	v_add_u32_e32 v221, v68, v15
	;; [unrolled: 1-line block ×13, first 2 shown]
	v_lshlrev_b32_e32 v233, 2, v47
	v_lshlrev_b32_e32 v234, 2, v3
	;; [unrolled: 1-line block ×8, first 2 shown]
	v_mov_b64_e32 v[74:75], v[60:61]
	v_mov_b64_e32 v[70:71], v[60:61]
	v_mov_b64_e32 v[68:69], v[60:61]
	v_mov_b64_e32 v[86:87], v[60:61]
	v_mov_b64_e32 v[80:81], v[60:61]
	v_mov_b64_e32 v[76:77], v[60:61]
	v_mov_b64_e32 v[72:73], v[60:61]
	v_mov_b64_e32 v[92:93], v[60:61]
	v_mov_b64_e32 v[88:89], v[60:61]
	v_mov_b64_e32 v[82:83], v[60:61]
	v_mov_b64_e32 v[78:79], v[60:61]
	v_mov_b64_e32 v[96:97], v[60:61]
	v_mov_b64_e32 v[94:95], v[60:61]
	v_mov_b64_e32 v[90:91], v[60:61]
	v_mov_b64_e32 v[84:85], v[60:61]
.LBB153_5:                              ; =>This Loop Header: Depth=1
                                        ;     Child Loop BB153_6 Depth 2
                                        ;     Child Loop BB153_8 Depth 2
	s_mul_i32 s0, s7, 0xb0
	s_mul_hi_u32 s1, s7, 0xb0
	s_add_u32 s0, s9, s0
	s_addc_u32 s1, s14, s1
	v_mov_b64_e32 v[0:1], s[0:1]
	v_mad_u64_u32 v[2:3], s[0:1], v16, s5, v[0:1]
	v_mul_i32_i24_e32 v4, s4, v23
	v_mad_u64_u32 v[4:5], s[0:1], v4, s5, v[2:3]
	v_lshl_add_u64 v[6:7], v[4:5], 0, v[18:19]
	global_load_dword v98, v[6:7], off offset:48
	v_lshl_add_u64 v[4:5], v[4:5], 0, v[20:21]
	v_mad_u64_u32 v[6:7], s[0:1], v22, s5, v[2:3]
	v_lshl_add_u64 v[8:9], v[6:7], 0, v[18:19]
	v_lshl_add_u64 v[6:7], v[6:7], 0, v[20:21]
	global_load_dword v99, v[4:5], off offset:16
	global_load_dword v100, v[8:9], off offset:48
	;; [unrolled: 1-line block ×3, first 2 shown]
	v_mad_u64_u32 v[4:5], s[0:1], v24, s5, v[2:3]
	v_lshl_add_u64 v[6:7], v[4:5], 0, v[18:19]
	v_lshl_add_u64 v[4:5], v[4:5], 0, v[20:21]
	global_load_dword v102, v[6:7], off offset:48
	global_load_dword v103, v[4:5], off offset:16
	v_mad_u64_u32 v[4:5], s[0:1], v26, s5, v[2:3]
	v_lshl_add_u64 v[6:7], v[4:5], 0, v[18:19]
	v_lshl_add_u64 v[4:5], v[4:5], 0, v[20:21]
	global_load_dword v104, v[6:7], off offset:48
	global_load_dword v105, v[4:5], off offset:16
	;; [unrolled: 5-line block ×5, first 2 shown]
	v_mad_u64_u32 v[6:7], s[0:1], v34, s5, v[2:3]
	v_mad_u64_u32 v[8:9], s[0:1], v36, s5, v[2:3]
	v_lshl_add_u64 v[4:5], v[6:7], 0, v[18:19]
	v_lshl_add_u64 v[6:7], v[6:7], 0, v[20:21]
	v_lshl_add_u64 v[12:13], v[8:9], 0, v[18:19]
	v_lshl_add_u64 v[8:9], v[8:9], 0, v[20:21]
	global_load_dword v113, v[4:5], off offset:48
	s_nop 0
	global_load_dword v6, v[6:7], off offset:16
	s_nop 0
	;; [unrolled: 2-line block ×3, first 2 shown]
	global_load_dword v13, v[8:9], off offset:16
	v_mad_u64_u32 v[10:11], s[0:1], v38, s5, v[2:3]
	v_add_u32_e32 v108, 0x800, v31
	v_lshl_add_u64 v[14:15], v[10:11], 0, v[18:19]
	s_lshl_b32 s17, s7, 3
	v_add_u32_e32 v133, s17, v58
	s_mov_b32 s19, 0
	s_waitcnt vmcnt(17)
	v_lshrrev_b32_e32 v5, 4, v98
	v_and_b32_e32 v4, 0xf0f0f0f, v98
	v_and_b32_e32 v5, 0xf0f0f0f, v5
	s_waitcnt vmcnt(16)
	v_ashrrev_i32_e32 v7, v27, v99
	v_ashrrev_i32_e32 v8, v29, v99
	s_waitcnt vmcnt(15)
	v_and_b32_e32 v9, 0xf0f0f0f, v100
	v_lshrrev_b32_e32 v98, 4, v100
	s_waitcnt vmcnt(14)
	v_ashrrev_i32_e32 v99, v27, v101
	v_ashrrev_i32_e32 v100, v29, v101
	v_lshlrev_b32_e32 v7, 4, v7
	v_lshlrev_b32_e32 v8, 4, v8
	v_and_b32_e32 v98, 0xf0f0f0f, v98
	v_lshlrev_b32_e32 v99, 4, v99
	v_lshlrev_b32_e32 v100, 4, v100
	v_and_or_b32 v4, v7, s15, v4
	v_and_or_b32 v5, v8, s15, v5
	;; [unrolled: 1-line block ×4, first 2 shown]
	ds_write2_b32 v31, v4, v5 offset1:8
	ds_write2_b32 v108, v7, v8 offset0:8 offset1:16
	v_lshl_add_u64 v[4:5], v[10:11], 0, v[20:21]
	global_load_dword v14, v[14:15], off offset:48
	s_nop 0
	global_load_dword v15, v[4:5], off offset:16
	s_waitcnt vmcnt(15)
	v_and_b32_e32 v101, 0xf0f0f0f, v102
	v_lshrrev_b32_e32 v102, 4, v102
	s_waitcnt vmcnt(14)
	v_ashrrev_i32_e32 v114, v27, v103
	v_ashrrev_i32_e32 v103, v29, v103
	v_and_b32_e32 v102, 0xf0f0f0f, v102
	v_lshlrev_b32_e32 v114, 4, v114
	v_lshlrev_b32_e32 v4, 4, v103
	v_and_or_b32 v5, v114, s15, v101
	v_and_or_b32 v4, v4, s15, v102
	v_add_u32_e32 v7, 0x1000, v31
	ds_write2_b32 v7, v5, v4 offset0:16 offset1:24
	s_waitcnt vmcnt(13)
	v_lshrrev_b32_e32 v5, 4, v104
	s_waitcnt vmcnt(12)
	v_ashrrev_i32_e32 v7, v27, v105
	v_ashrrev_i32_e32 v8, v29, v105
	v_and_b32_e32 v4, 0xf0f0f0f, v104
	v_and_b32_e32 v5, 0xf0f0f0f, v5
	v_lshlrev_b32_e32 v7, 4, v7
	v_lshlrev_b32_e32 v8, 4, v8
	v_and_or_b32 v4, v7, s15, v4
	v_and_or_b32 v5, v8, s15, v5
	v_add_u32_e32 v7, 0x1800, v31
	ds_write2_b32 v7, v4, v5 offset0:24 offset1:32
	s_waitcnt vmcnt(11)
	v_lshrrev_b32_e32 v5, 4, v106
	s_waitcnt vmcnt(10)
	v_ashrrev_i32_e32 v7, v27, v107
	v_ashrrev_i32_e32 v8, v29, v107
	v_and_b32_e32 v4, 0xf0f0f0f, v106
	;; [unrolled: 13-line block ×5, first 2 shown]
	v_and_b32_e32 v5, 0xf0f0f0f, v5
	v_lshlrev_b32_e32 v7, 4, v7
	v_lshlrev_b32_e32 v6, 4, v6
	v_and_or_b32 v4, v7, s15, v4
	v_and_or_b32 v5, v6, s15, v5
	v_add_u32_e32 v6, 0x3800, v31
	ds_write2_b32 v6, v4, v5 offset0:56 offset1:64
	v_mad_u64_u32 v[4:5], s[0:1], v40, s5, v[2:3]
	v_lshl_add_u64 v[6:7], v[4:5], 0, v[18:19]
	v_mad_u64_u32 v[8:9], s[0:1], v42, s5, v[2:3]
	v_lshl_add_u64 v[4:5], v[4:5], 0, v[20:21]
	v_lshl_add_u64 v[10:11], v[8:9], 0, v[18:19]
	;; [unrolled: 1-line block ×3, first 2 shown]
	global_load_dword v100, v[6:7], off offset:48
	global_load_dword v101, v[4:5], off offset:16
	;; [unrolled: 1-line block ×4, first 2 shown]
	s_waitcnt vmcnt(7)
	v_lshrrev_b32_e32 v5, 4, v12
	s_waitcnt vmcnt(6)
	v_ashrrev_i32_e32 v6, v27, v13
	v_ashrrev_i32_e32 v7, v29, v13
	v_and_b32_e32 v4, 0xf0f0f0f, v12
	v_and_b32_e32 v5, 0xf0f0f0f, v5
	v_lshlrev_b32_e32 v6, 4, v6
	v_lshlrev_b32_e32 v7, 4, v7
	v_and_or_b32 v4, v6, s15, v4
	v_and_or_b32 v5, v7, s15, v5
	v_add_u32_e32 v6, 0x4000, v31
	ds_write2_b32 v6, v4, v5 offset0:64 offset1:72
	s_waitcnt vmcnt(5)
	v_lshrrev_b32_e32 v5, 4, v14
	s_waitcnt vmcnt(4)
	v_ashrrev_i32_e32 v6, v27, v15
	v_ashrrev_i32_e32 v7, v29, v15
	v_and_b32_e32 v4, 0xf0f0f0f, v14
	v_and_b32_e32 v5, 0xf0f0f0f, v5
	v_lshlrev_b32_e32 v6, 4, v6
	v_lshlrev_b32_e32 v7, 4, v7
	v_and_or_b32 v4, v6, s15, v4
	v_and_or_b32 v5, v7, s15, v5
	v_add_u32_e32 v6, 0x4800, v31
	ds_write2_b32 v6, v4, v5 offset0:72 offset1:80
	v_mad_u64_u32 v[4:5], s[0:1], v44, s5, v[2:3]
	v_mad_u64_u32 v[8:9], s[0:1], v46, s5, v[2:3]
	;; [unrolled: 1-line block ×4, first 2 shown]
	v_lshl_add_u64 v[6:7], v[4:5], 0, v[18:19]
	v_lshl_add_u64 v[98:99], v[2:3], 0, v[18:19]
	;; [unrolled: 1-line block ×8, first 2 shown]
	global_load_dword v104, v[6:7], off offset:48
	global_load_dword v105, v[4:5], off offset:16
	;; [unrolled: 1-line block ×6, first 2 shown]
	s_nop 0
	global_load_dword v98, v[98:99], off offset:48
	s_nop 0
	global_load_dword v99, v[2:3], off offset:16
	v_mad_u64_u32 v[2:3], s[0:1], v52, s5, v[0:1]
	v_mad_u64_u32 v[4:5], s[0:1], v54, s5, v[0:1]
	;; [unrolled: 1-line block ×3, first 2 shown]
	v_lshl_add_u64 v[6:7], v[4:5], 0, v[64:65]
	v_lshl_add_u64 v[4:5], v[4:5], 0, v[66:67]
	v_lshl_add_u64 v[8:9], v[0:1], 0, v[64:65]
	v_lshl_add_u64 v[0:1], v[0:1], 0, v[66:67]
	global_load_dword v110, v[2:3], off
	global_load_dword v111, v[6:7], off offset:4
	global_load_dword v112, v[4:5], off offset:4
	;; [unrolled: 1-line block ×4, first 2 shown]
	v_add_u32_e32 v14, s17, v47
	v_add_u32_e32 v0, v14, v49
	;; [unrolled: 1-line block ×6, first 2 shown]
	v_mad_i64_i32 v[0:1], s[0:1], v0, 36, v[62:63]
	v_mad_i64_i32 v[2:3], s[0:1], v2, 36, v[62:63]
	v_mad_i64_i32 v[4:5], s[0:1], v4, 36, v[62:63]
	v_mad_i64_i32 v[6:7], s[0:1], v6, 36, v[62:63]
	v_mad_i64_i32 v[8:9], s[0:1], v8, 36, v[62:63]
	v_add_u32_e32 v10, v14, v59
	v_add_u32_e32 v12, v14, v115
	v_add_u32_e32 v14, v14, v117
	v_mad_i64_i32 v[10:11], s[0:1], v10, 36, v[62:63]
	v_mad_i64_i32 v[12:13], s[0:1], v12, 36, v[62:63]
	;; [unrolled: 1-line block ×3, first 2 shown]
	global_load_dword v116, v[0:1], off offset:4
	s_nop 0
	global_load_dword v2, v[2:3], off offset:4
	s_nop 0
	global_load_dword v3, v[4:5], off offset:4
	s_nop 0
	global_load_dword v4, v[6:7], off offset:4
	global_load_dword v5, v[8:9], off offset:4
	s_nop 0
	global_load_dword v6, v[10:11], off offset:4
	global_load_dword v7, v[12:13], off offset:4
	;; [unrolled: 1-line block ×3, first 2 shown]
	v_mad_u64_u32 v[0:1], s[0:1], v133, 36, s[2:3]
	global_load_dword v0, v[0:1], off
	s_waitcnt vmcnt(25)
	v_lshrrev_b32_e32 v9, 4, v100
	s_waitcnt vmcnt(24)
	v_ashrrev_i32_e32 v10, v27, v101
	v_ashrrev_i32_e32 v11, v29, v101
	v_and_b32_e32 v1, 0xf0f0f0f, v100
	v_and_b32_e32 v9, 0xf0f0f0f, v9
	v_lshlrev_b32_e32 v10, 4, v10
	v_lshlrev_b32_e32 v11, 4, v11
	v_and_or_b32 v1, v10, s15, v1
	v_and_or_b32 v9, v11, s15, v9
	v_add_u32_e32 v10, 0x5000, v31
	ds_write2_b32 v10, v1, v9 offset0:80 offset1:88
	s_waitcnt vmcnt(23)
	v_lshrrev_b32_e32 v9, 4, v102
	s_waitcnt vmcnt(22)
	v_ashrrev_i32_e32 v10, v27, v103
	v_ashrrev_i32_e32 v11, v29, v103
	v_and_b32_e32 v1, 0xf0f0f0f, v102
	v_and_b32_e32 v9, 0xf0f0f0f, v9
	v_lshlrev_b32_e32 v10, 4, v10
	v_lshlrev_b32_e32 v11, 4, v11
	v_and_or_b32 v1, v10, s15, v1
	v_and_or_b32 v9, v11, s15, v9
	ds_write2_b32 v228, v1, v9 offset0:88 offset1:96
	s_mov_b64 s[0:1], -1
	s_waitcnt vmcnt(21)
	v_lshrrev_b32_e32 v9, 4, v104
	s_waitcnt vmcnt(20)
	v_ashrrev_i32_e32 v10, v27, v105
	v_ashrrev_i32_e32 v11, v29, v105
	v_and_b32_e32 v1, 0xf0f0f0f, v104
	v_and_b32_e32 v9, 0xf0f0f0f, v9
	v_lshlrev_b32_e32 v10, 4, v10
	v_lshlrev_b32_e32 v11, 4, v11
	v_and_or_b32 v1, v10, s15, v1
	v_and_or_b32 v9, v11, s15, v9
	ds_write2_b32 v229, v1, v9 offset0:96 offset1:104
	s_waitcnt vmcnt(19)
	v_lshrrev_b32_e32 v9, 4, v106
	s_waitcnt vmcnt(18)
	v_ashrrev_i32_e32 v10, v27, v107
	v_ashrrev_i32_e32 v11, v29, v107
	v_and_b32_e32 v1, 0xf0f0f0f, v106
	v_and_b32_e32 v9, 0xf0f0f0f, v9
	v_lshlrev_b32_e32 v10, 4, v10
	v_lshlrev_b32_e32 v11, 4, v11
	v_and_or_b32 v1, v10, s15, v1
	v_and_or_b32 v9, v11, s15, v9
	ds_write2_b32 v230, v1, v9 offset0:104 offset1:112
	s_waitcnt vmcnt(17)
	v_lshrrev_b32_e32 v9, 4, v108
	s_waitcnt vmcnt(16)
	v_ashrrev_i32_e32 v10, v27, v109
	v_ashrrev_i32_e32 v11, v29, v109
	v_and_b32_e32 v1, 0xf0f0f0f, v108
	v_and_b32_e32 v9, 0xf0f0f0f, v9
	v_lshlrev_b32_e32 v10, 4, v10
	v_lshlrev_b32_e32 v11, 4, v11
	v_and_or_b32 v1, v10, s15, v1
	v_and_or_b32 v9, v11, s15, v9
	ds_write2_b32 v231, v1, v9 offset0:112 offset1:120
	s_waitcnt vmcnt(15)
	v_lshrrev_b32_e32 v9, 4, v98
	s_waitcnt vmcnt(14)
	v_ashrrev_i32_e32 v10, v27, v99
	v_ashrrev_i32_e32 v11, v29, v99
	v_and_b32_e32 v1, 0xf0f0f0f, v98
	v_and_b32_e32 v9, 0xf0f0f0f, v9
	v_lshlrev_b32_e32 v10, 4, v10
	v_lshlrev_b32_e32 v11, 4, v11
	v_and_or_b32 v1, v10, s15, v1
	v_and_or_b32 v9, v11, s15, v9
	ds_write2_b32 v232, v1, v9 offset0:120 offset1:128
	s_waitcnt vmcnt(13)
	ds_write_b32 v35, v110
	s_waitcnt vmcnt(12)
	v_ashrrev_i32_e32 v1, v37, v111
	v_and_b32_e32 v1, 0xf0f0f0f, v1
	s_waitcnt vmcnt(11)
	v_ashrrev_i32_e32 v9, v39, v112
	v_and_or_b32 v1, v9, s16, v1
	ds_write_b32 v41, v1
	s_waitcnt vmcnt(10)
	v_ashrrev_i32_e32 v1, v37, v113
	v_and_b32_e32 v1, 0xf0f0f0f, v1
	s_waitcnt vmcnt(9)
	v_ashrrev_i32_e32 v9, v39, v114
	v_and_or_b32 v1, v9, s16, v1
	ds_write_b32 v43, v1
	s_waitcnt vmcnt(8)
	ds_write_b32 v220, v116
	s_waitcnt vmcnt(7)
	;; [unrolled: 2-line block ×9, first 2 shown]
	ds_write_b32 v45, v0
	s_waitcnt lgkmcnt(0)
	s_barrier
	ds_read_b32 v0, v204
	ds_read_b32 v1, v206 offset:128
	ds_read_b32 v2, v207 offset:256
	;; [unrolled: 1-line block ×3, first 2 shown]
	s_waitcnt lgkmcnt(3)
	v_cvt_f32_f16_e32 v98, v0
	v_cvt_f32_f16_sdwa v100, v0 dst_sel:DWORD dst_unused:UNUSED_PAD src0_sel:WORD_1
	s_waitcnt lgkmcnt(2)
	v_cvt_f32_f16_e32 v102, v1
	v_cvt_f32_f16_sdwa v104, v1 dst_sel:DWORD dst_unused:UNUSED_PAD src0_sel:WORD_1
	;; [unrolled: 3-line block ×4, first 2 shown]
	v_mov_b32_e32 v99, v98
	v_mov_b32_e32 v101, v100
	;; [unrolled: 1-line block ×8, first 2 shown]
.LBB153_6:                              ;   Parent Loop BB153_5 Depth=1
                                        ; =>  This Inner Loop Header: Depth=2
	s_lshl_b32 s18, s19, 1
	s_lshr_b32 s20, s19, 2
	v_or_b32_e32 v0, s18, v33
	s_add_i32 s20, s20, 0xa200
	v_lshlrev_b32_e32 v1, 2, v0
	v_lshrrev_b32_e32 v114, 1, v0
	s_lshl_b32 s19, s19, 3
	ds_read_b128 v[12:15], v1 offset:33280
	ds_read_b128 v[8:11], v1 offset:33296
	;; [unrolled: 1-line block ×4, first 2 shown]
	ds_read_b64 v[194:195], v114 offset:43584
	v_add3_u32 v114, s20, v233, v234
	v_add_u32_e32 v116, s19, v216
	ds_read2_b32 v[176:177], v116 offset1:1
	ds_read2_b32 v[180:181], v116 offset0:2 offset1:3
	ds_read2_b32 v[182:183], v116 offset0:4 offset1:5
	;; [unrolled: 1-line block ×3, first 2 shown]
	ds_read_u16 v118, v114
	ds_read_u16 v114, v114 offset:8
	ds_read2_b32 v[186:187], v116 offset0:8 offset1:9
	ds_read2_b32 v[188:189], v116 offset0:10 offset1:11
	;; [unrolled: 1-line block ×4, first 2 shown]
	s_waitcnt lgkmcnt(4)
	v_cvt_f32_ubyte0_e32 v174, v114
	v_cvt_f32_ubyte1_e32 v178, v114
	v_add3_u32 v114, s20, v235, v236
	v_add_u32_e32 v116, s19, v217
	v_and_b32_e32 v242, 0xff, v118
	v_lshrrev_b16_e32 v243, 8, v118
	ds_read2_b32 v[126:127], v116 offset1:1
	ds_read2_b32 v[136:137], v116 offset0:2 offset1:3
	ds_read2_b32 v[138:139], v116 offset0:4 offset1:5
	;; [unrolled: 1-line block ×3, first 2 shown]
	ds_read_u16 v118, v114
	ds_read_u16 v114, v114 offset:8
	ds_read2_b32 v[150:151], v116 offset0:8 offset1:9
	ds_read2_b32 v[160:161], v116 offset0:10 offset1:11
	;; [unrolled: 1-line block ×4, first 2 shown]
	s_waitcnt lgkmcnt(4)
	v_cvt_f32_ubyte0_e32 v132, v114
	v_cvt_f32_ubyte1_e32 v142, v114
	v_add3_u32 v114, s20, v237, v238
	v_add_u32_e32 v116, s19, v218
	v_and_b32_e32 v159, 0xff, v118
	v_lshrrev_b16_e32 v179, 8, v118
	ds_read2_b32 v[128:129], v116 offset1:1
	ds_read2_b32 v[146:147], v116 offset0:2 offset1:3
	ds_read2_b32 v[152:153], v116 offset0:4 offset1:5
	;; [unrolled: 1-line block ×3, first 2 shown]
	ds_read_u16 v118, v114
	ds_read_u16 v114, v114 offset:8
	v_mov_b32_e32 v250, 0
	v_mov_b32_e32 v246, 0
	;; [unrolled: 1-line block ×3, first 2 shown]
	s_waitcnt lgkmcnt(1)
	v_and_b32_e32 v175, 0xff, v118
	v_lshrrev_b16_e32 v241, 8, v118
	v_add_u32_e32 v118, s19, v219
	ds_read2_b32 v[130:131], v118 offset1:1
	ds_read2_b32 v[144:145], v118 offset0:2 offset1:3
	ds_read2_b32 v[148:149], v118 offset0:4 offset1:5
	;; [unrolled: 1-line block ×3, first 2 shown]
	v_mov_b32_e32 v244, 0
	v_dot4c_i32_i8_e32 v250, v176, v12
	v_dot4c_i32_i8_e32 v246, v126, v12
	;; [unrolled: 1-line block ×3, first 2 shown]
	s_waitcnt lgkmcnt(3)
	v_dot4c_i32_i8_e32 v244, v130, v12
	v_dot4c_i32_i8_e32 v250, v177, v13
	;; [unrolled: 1-line block ×8, first 2 shown]
	s_waitcnt lgkmcnt(2)
	v_dot4c_i32_i8_e32 v244, v144, v14
	v_dot4c_i32_i8_e32 v250, v181, v15
	;; [unrolled: 1-line block ×8, first 2 shown]
	v_cvt_f32_ubyte0_e32 v134, v114
	v_cvt_f32_ubyte1_e32 v158, v114
	v_add3_u32 v114, s20, v239, v240
	s_waitcnt lgkmcnt(1)
	v_dot4c_i32_i8_e32 v244, v148, v8
	v_dot4c_i32_i8_e32 v250, v183, v9
	;; [unrolled: 1-line block ×4, first 2 shown]
	ds_read2_b32 v[166:167], v116 offset0:8 offset1:9
	ds_read2_b32 v[168:169], v116 offset0:10 offset1:11
	;; [unrolled: 1-line block ×4, first 2 shown]
	v_dot4c_i32_i8_e32 v244, v149, v9
	ds_read_u16 v8, v114
	ds_read_u16 v9, v114 offset:8
	ds_read2_b32 v[124:125], v118 offset0:8 offset1:9
	ds_read2_b32 v[122:123], v118 offset0:10 offset1:11
	;; [unrolled: 1-line block ×3, first 2 shown]
	v_mov_b32_e32 v251, 0
	v_mov_b32_e32 v249, 0
	;; [unrolled: 1-line block ×4, first 2 shown]
	v_dot4c_i32_i8_e32 v251, v186, v4
	v_dot4c_i32_i8_e32 v249, v150, v4
	s_waitcnt lgkmcnt(8)
	v_dot4c_i32_i8_e32 v248, v166, v4
	s_waitcnt lgkmcnt(2)
	v_dot4c_i32_i8_e32 v247, v124, v4
	v_dot4c_i32_i8_e32 v251, v187, v5
	;; [unrolled: 1-line block ×5, first 2 shown]
	ds_read2_b32 v[118:119], v118 offset0:14 offset1:15
	v_dot4c_i32_i8_e32 v251, v188, v6
	v_dot4c_i32_i8_e32 v249, v160, v6
	;; [unrolled: 1-line block ×3, first 2 shown]
	s_waitcnt lgkmcnt(2)
	v_dot4c_i32_i8_e32 v247, v122, v6
	v_dot4c_i32_i8_e32 v251, v189, v7
	;; [unrolled: 1-line block ×8, first 2 shown]
	s_waitcnt lgkmcnt(1)
	v_dot4c_i32_i8_e32 v247, v120, v0
	v_dot4c_i32_i8_e32 v251, v191, v1
	;; [unrolled: 1-line block ×5, first 2 shown]
	v_or_b32_e32 v0, s18, v209
	v_dot4c_i32_i8_e32 v250, v184, v10
	v_dot4c_i32_i8_e32 v251, v192, v2
	;; [unrolled: 1-line block ×7, first 2 shown]
	s_waitcnt lgkmcnt(0)
	v_dot4c_i32_i8_e32 v247, v118, v2
	v_lshlrev_b32_e32 v1, 2, v0
	v_dot4c_i32_i8_e32 v250, v185, v11
	v_dot4c_i32_i8_e32 v251, v193, v3
	;; [unrolled: 1-line block ×7, first 2 shown]
	v_and_b32_e32 v143, 0xff, v8
	v_cvt_f32_ubyte0_e32 v116, v9
	v_dot4c_i32_i8_e32 v247, v119, v3
	v_lshrrev_b16_e32 v135, 8, v8
	v_cvt_f32_ubyte1_e32 v114, v9
	v_lshrrev_b32_e32 v196, 1, v0
	ds_read_b128 v[12:15], v1 offset:33280
	ds_read_b128 v[8:11], v1 offset:33296
	;; [unrolled: 1-line block ×4, first 2 shown]
	ds_read_b64 v[198:199], v196 offset:43584
	v_mov_b32_e32 v252, 0
	s_waitcnt lgkmcnt(4)
	v_dot4c_i32_i8_e32 v252, v176, v12
	v_mov_b32_e32 v254, 0
	v_dot4c_i32_i8_e32 v252, v177, v13
	s_waitcnt lgkmcnt(2)
	v_dot4c_i32_i8_e32 v254, v186, v4
	v_dot4c_i32_i8_e32 v252, v180, v14
	;; [unrolled: 1-line block ×8, first 2 shown]
	s_waitcnt lgkmcnt(1)
	v_dot4c_i32_i8_e32 v254, v190, v0
	v_dot4c_i32_i8_e32 v252, v184, v10
	;; [unrolled: 1-line block ×6, first 2 shown]
	s_waitcnt lgkmcnt(0)
	v_cvt_f32_f16_e32 v201, v198
	v_cvt_f32_f16_e32 v200, v194
	v_cvt_f32_f16_sdwa v203, v198 dst_sel:DWORD dst_unused:UNUSED_PAD src0_sel:WORD_1
	v_cvt_f32_f16_sdwa v202, v194 dst_sel:DWORD dst_unused:UNUSED_PAD src0_sel:WORD_1
	v_cvt_f32_f16_e32 v196, v195
	v_cvt_f32_f16_sdwa v198, v195 dst_sel:DWORD dst_unused:UNUSED_PAD src0_sel:WORD_1
	v_mul_lo_u32 v194, v250, v242
	v_mul_lo_u32 v195, v252, v242
	v_cvt_f32_i32_e32 v195, v195
	v_cvt_f32_i32_e32 v194, v194
	v_mul_lo_u32 v250, v251, v243
	v_mul_lo_u32 v251, v254, v243
	v_cvt_f32_f16_e32 v197, v199
	v_cvt_f32_f16_sdwa v199, v199 dst_sel:DWORD dst_unused:UNUSED_PAD src0_sel:WORD_1
	v_cvt_f32_i32_e32 v251, v251
	v_cvt_f32_i32_e32 v250, v250
	v_pk_fma_f32 v[194:195], v[200:201], v[194:195], 0 op_sel_hi:[1,1,0]
	v_pk_fma_f32 v[252:253], v[174:175], v[202:203], 0 op_sel_hi:[0,1,0]
	v_mul_lo_u32 v246, v246, v159
	v_pk_fma_f32 v[194:195], v[196:197], v[250:251], v[194:195]
	v_pk_fma_f32 v[250:251], v[178:179], v[198:199], v[252:253] op_sel_hi:[0,1,1]
	v_pk_mul_f32 v[250:251], v[250:251], v[100:101]
	v_mov_b32_e32 v252, 0
	v_pk_fma_f32 v[194:195], v[194:195], v[98:99], v[250:251] neg_lo:[0,0,1] neg_hi:[0,0,1]
	v_dot4c_i32_i8_e32 v252, v150, v4
	v_pk_add_f32 v[60:61], v[60:61], v[194:195]
	v_mov_b32_e32 v194, 0
	v_dot4c_i32_i8_e32 v194, v126, v12
	v_dot4c_i32_i8_e32 v194, v127, v13
	;; [unrolled: 1-line block ×15, first 2 shown]
	v_pk_fma_f32 v[250:251], v[132:133], v[202:203], 0 op_sel_hi:[0,1,0]
	v_mul_lo_u32 v194, v194, v159
	v_cvt_f32_i32_e32 v195, v194
	v_cvt_f32_i32_e32 v194, v246
	v_mul_lo_u32 v246, v249, v179
	v_mul_lo_u32 v249, v252, v179
	v_cvt_f32_i32_e32 v253, v249
	v_cvt_f32_i32_e32 v252, v246
	v_pk_fma_f32 v[194:195], v[200:201], v[194:195], 0 op_sel_hi:[1,1,0]
	v_pk_fma_f32 v[250:251], v[142:143], v[198:199], v[250:251] op_sel_hi:[0,1,1]
	v_pk_mul_f32 v[250:251], v[250:251], v[104:105]
	v_pk_fma_f32 v[194:195], v[196:197], v[252:253], v[194:195]
	v_mov_b32_e32 v246, 0
	v_pk_fma_f32 v[194:195], v[194:195], v[102:103], v[250:251] neg_lo:[0,0,1] neg_hi:[0,0,1]
	v_dot4c_i32_i8_e32 v246, v166, v4
	v_pk_add_f32 v[86:87], v[86:87], v[194:195]
	v_mov_b32_e32 v194, 0
	v_dot4c_i32_i8_e32 v194, v128, v12
	v_dot4c_i32_i8_e32 v194, v129, v13
	;; [unrolled: 1-line block ×15, first 2 shown]
	v_mul_lo_u32 v245, v245, v175
	v_mul_lo_u32 v194, v194, v175
	v_cvt_f32_i32_e32 v195, v194
	v_cvt_f32_i32_e32 v194, v245
	v_mul_lo_u32 v245, v248, v241
	v_mul_lo_u32 v246, v246, v241
	v_cvt_f32_i32_e32 v249, v246
	v_cvt_f32_i32_e32 v248, v245
	v_pk_fma_f32 v[194:195], v[200:201], v[194:195], 0 op_sel_hi:[1,1,0]
	v_pk_fma_f32 v[250:251], v[134:135], v[202:203], 0 op_sel_hi:[0,1,0]
	v_mov_b32_e32 v252, 0
	v_pk_fma_f32 v[194:195], v[196:197], v[248:249], v[194:195]
	v_pk_fma_f32 v[248:249], v[158:159], v[198:199], v[250:251] op_sel_hi:[0,1,1]
	v_pk_mul_f32 v[248:249], v[248:249], v[108:109]
	v_mov_b32_e32 v250, 0
	v_pk_fma_f32 v[194:195], v[194:195], v[106:107], v[248:249] neg_lo:[0,0,1] neg_hi:[0,0,1]
	v_mov_b32_e32 v248, 0
	v_pk_add_f32 v[92:93], v[92:93], v[194:195]
	v_mov_b32_e32 v194, 0
	v_dot4c_i32_i8_e32 v194, v130, v12
	v_dot4c_i32_i8_e32 v194, v131, v13
	;; [unrolled: 1-line block ×5, first 2 shown]
	v_mov_b32_e32 v8, 0
	v_dot4c_i32_i8_e32 v8, v124, v4
	v_dot4c_i32_i8_e32 v8, v125, v5
	;; [unrolled: 1-line block ×11, first 2 shown]
	v_mul_lo_u32 v0, v244, v143
	v_mul_lo_u32 v1, v194, v143
	v_cvt_f32_i32_e32 v1, v1
	v_cvt_f32_i32_e32 v0, v0
	v_mul_lo_u32 v4, v247, v135
	v_mul_lo_u32 v5, v8, v135
	v_cvt_f32_i32_e32 v5, v5
	v_cvt_f32_i32_e32 v4, v4
	v_pk_fma_f32 v[2:3], v[116:117], v[202:203], 0 op_sel_hi:[0,1,0]
	v_pk_fma_f32 v[0:1], v[200:201], v[0:1], 0 op_sel_hi:[1,1,0]
	;; [unrolled: 1-line block ×3, first 2 shown]
	v_pk_fma_f32 v[0:1], v[196:197], v[4:5], v[0:1]
	v_pk_mul_f32 v[2:3], v[2:3], v[112:113]
	v_mov_b32_e32 v249, 0
	v_pk_fma_f32 v[0:1], v[0:1], v[110:111], v[2:3] neg_lo:[0,0,1] neg_hi:[0,0,1]
	v_mov_b32_e32 v246, 0
	v_pk_add_f32 v[96:97], v[96:97], v[0:1]
	v_or_b32_e32 v0, s18, v210
	v_lshlrev_b32_e32 v1, 2, v0
	v_lshrrev_b32_e32 v194, 1, v0
	ds_read_b128 v[12:15], v1 offset:33280
	ds_read_b128 v[8:11], v1 offset:33296
	;; [unrolled: 1-line block ×4, first 2 shown]
	ds_read_b64 v[194:195], v194 offset:43584
	v_mov_b32_e32 v247, 0
	v_mov_b32_e32 v244, 0
	;; [unrolled: 1-line block ×3, first 2 shown]
	s_waitcnt lgkmcnt(4)
	v_dot4c_i32_i8_e32 v250, v176, v12
	s_waitcnt lgkmcnt(2)
	v_dot4c_i32_i8_e32 v252, v186, v4
	v_dot4c_i32_i8_e32 v248, v126, v12
	v_dot4c_i32_i8_e32 v249, v150, v4
	v_dot4c_i32_i8_e32 v246, v128, v12
	v_dot4c_i32_i8_e32 v247, v166, v4
	v_dot4c_i32_i8_e32 v244, v130, v12
	v_dot4c_i32_i8_e32 v245, v124, v4
	v_dot4c_i32_i8_e32 v250, v177, v13
	v_dot4c_i32_i8_e32 v252, v187, v5
	v_dot4c_i32_i8_e32 v248, v127, v13
	v_dot4c_i32_i8_e32 v249, v151, v5
	v_dot4c_i32_i8_e32 v246, v129, v13
	v_dot4c_i32_i8_e32 v247, v167, v5
	v_dot4c_i32_i8_e32 v244, v131, v13
	v_dot4c_i32_i8_e32 v245, v125, v5
	v_dot4c_i32_i8_e32 v250, v180, v14
	v_dot4c_i32_i8_e32 v252, v188, v6
	v_dot4c_i32_i8_e32 v248, v136, v14
	v_dot4c_i32_i8_e32 v249, v160, v6
	v_dot4c_i32_i8_e32 v246, v146, v14
	v_dot4c_i32_i8_e32 v247, v168, v6
	v_dot4c_i32_i8_e32 v244, v144, v14
	v_dot4c_i32_i8_e32 v245, v122, v6
	v_dot4c_i32_i8_e32 v250, v181, v15
	v_dot4c_i32_i8_e32 v252, v189, v7
	v_dot4c_i32_i8_e32 v248, v137, v15
	v_dot4c_i32_i8_e32 v249, v161, v7
	v_dot4c_i32_i8_e32 v246, v147, v15
	v_dot4c_i32_i8_e32 v247, v169, v7
	v_dot4c_i32_i8_e32 v244, v145, v15
	v_dot4c_i32_i8_e32 v245, v123, v7
	v_dot4c_i32_i8_e32 v250, v182, v8
	s_waitcnt lgkmcnt(1)
	v_dot4c_i32_i8_e32 v252, v190, v0
	v_dot4c_i32_i8_e32 v248, v138, v8
	;; [unrolled: 1-line block ×15, first 2 shown]
	v_or_b32_e32 v0, s18, v211
	v_dot4c_i32_i8_e32 v250, v184, v10
	v_dot4c_i32_i8_e32 v252, v192, v2
	;; [unrolled: 1-line block ×8, first 2 shown]
	v_lshlrev_b32_e32 v1, 2, v0
	v_dot4c_i32_i8_e32 v250, v185, v11
	v_dot4c_i32_i8_e32 v252, v193, v3
	v_dot4c_i32_i8_e32 v248, v141, v11
	v_dot4c_i32_i8_e32 v249, v165, v3
	v_dot4c_i32_i8_e32 v246, v157, v11
	v_dot4c_i32_i8_e32 v247, v173, v3
	v_dot4c_i32_i8_e32 v244, v155, v11
	v_dot4c_i32_i8_e32 v245, v119, v3
	v_lshrrev_b32_e32 v196, 1, v0
	ds_read_b128 v[12:15], v1 offset:33280
	ds_read_b128 v[8:11], v1 offset:33296
	;; [unrolled: 1-line block ×4, first 2 shown]
	ds_read_b64 v[198:199], v196 offset:43584
	v_mov_b32_e32 v251, 0
	s_waitcnt lgkmcnt(4)
	v_dot4c_i32_i8_e32 v251, v176, v12
	v_mov_b32_e32 v253, 0
	v_dot4c_i32_i8_e32 v251, v177, v13
	s_waitcnt lgkmcnt(2)
	v_dot4c_i32_i8_e32 v253, v186, v4
	v_dot4c_i32_i8_e32 v251, v180, v14
	;; [unrolled: 1-line block ×8, first 2 shown]
	s_waitcnt lgkmcnt(1)
	v_dot4c_i32_i8_e32 v253, v190, v0
	v_dot4c_i32_i8_e32 v251, v184, v10
	;; [unrolled: 1-line block ×6, first 2 shown]
	s_waitcnt lgkmcnt(0)
	v_cvt_f32_f16_e32 v201, v198
	v_cvt_f32_f16_e32 v200, v194
	v_cvt_f32_f16_sdwa v203, v198 dst_sel:DWORD dst_unused:UNUSED_PAD src0_sel:WORD_1
	v_cvt_f32_f16_sdwa v202, v194 dst_sel:DWORD dst_unused:UNUSED_PAD src0_sel:WORD_1
	v_cvt_f32_f16_e32 v196, v195
	v_cvt_f32_f16_sdwa v198, v195 dst_sel:DWORD dst_unused:UNUSED_PAD src0_sel:WORD_1
	v_mul_lo_u32 v194, v250, v242
	v_mul_lo_u32 v195, v251, v242
	v_cvt_f32_f16_e32 v197, v199
	v_cvt_f32_f16_sdwa v199, v199 dst_sel:DWORD dst_unused:UNUSED_PAD src0_sel:WORD_1
	v_cvt_f32_i32_e32 v195, v195
	v_cvt_f32_i32_e32 v194, v194
	v_mul_lo_u32 v252, v252, v243
	v_mul_lo_u32 v253, v253, v243
	v_cvt_f32_i32_e32 v253, v253
	v_cvt_f32_i32_e32 v252, v252
	v_pk_fma_f32 v[250:251], v[174:175], v[202:203], 0 op_sel_hi:[0,1,0]
	v_pk_fma_f32 v[194:195], v[194:195], v[200:201], 0 op_sel_hi:[1,1,0]
	v_pk_fma_f32 v[250:251], v[178:179], v[198:199], v[250:251] op_sel_hi:[0,1,1]
	v_pk_fma_f32 v[194:195], v[252:253], v[196:197], v[194:195]
	v_pk_mul_f32 v[250:251], v[250:251], v[100:101]
	v_mov_b32_e32 v252, 0
	v_pk_fma_f32 v[194:195], v[194:195], v[98:99], v[250:251] neg_lo:[0,0,1] neg_hi:[0,0,1]
	v_dot4c_i32_i8_e32 v252, v150, v4
	v_pk_add_f32 v[74:75], v[74:75], v[194:195]
	v_mov_b32_e32 v194, 0
	v_dot4c_i32_i8_e32 v194, v126, v12
	v_dot4c_i32_i8_e32 v194, v127, v13
	;; [unrolled: 1-line block ×15, first 2 shown]
	v_mul_lo_u32 v248, v248, v159
	v_mul_lo_u32 v194, v194, v159
	v_cvt_f32_i32_e32 v195, v194
	v_cvt_f32_i32_e32 v194, v248
	v_mul_lo_u32 v248, v249, v179
	v_mul_lo_u32 v249, v252, v179
	v_cvt_f32_i32_e32 v249, v249
	v_cvt_f32_i32_e32 v248, v248
	v_pk_fma_f32 v[194:195], v[194:195], v[200:201], 0 op_sel_hi:[1,1,0]
	v_pk_fma_f32 v[250:251], v[132:133], v[202:203], 0 op_sel_hi:[0,1,0]
	v_mul_lo_u32 v246, v246, v175
	v_pk_fma_f32 v[194:195], v[248:249], v[196:197], v[194:195]
	v_pk_fma_f32 v[248:249], v[142:143], v[198:199], v[250:251] op_sel_hi:[0,1,1]
	v_pk_mul_f32 v[248:249], v[248:249], v[104:105]
	v_mov_b32_e32 v250, 0
	v_pk_fma_f32 v[194:195], v[194:195], v[102:103], v[248:249] neg_lo:[0,0,1] neg_hi:[0,0,1]
	v_dot4c_i32_i8_e32 v250, v166, v4
	v_pk_add_f32 v[80:81], v[80:81], v[194:195]
	v_mov_b32_e32 v194, 0
	v_dot4c_i32_i8_e32 v194, v128, v12
	v_dot4c_i32_i8_e32 v194, v129, v13
	;; [unrolled: 1-line block ×15, first 2 shown]
	v_pk_fma_f32 v[248:249], v[134:135], v[202:203], 0 op_sel_hi:[0,1,0]
	v_mul_lo_u32 v194, v194, v175
	v_cvt_f32_i32_e32 v195, v194
	v_cvt_f32_i32_e32 v194, v246
	v_mul_lo_u32 v246, v247, v241
	v_mul_lo_u32 v247, v250, v241
	v_cvt_f32_i32_e32 v247, v247
	v_cvt_f32_i32_e32 v246, v246
	v_pk_fma_f32 v[194:195], v[194:195], v[200:201], 0 op_sel_hi:[1,1,0]
	v_mov_b32_e32 v250, 0
	v_mov_b32_e32 v252, 0
	v_pk_fma_f32 v[194:195], v[246:247], v[196:197], v[194:195]
	v_pk_fma_f32 v[246:247], v[158:159], v[198:199], v[248:249] op_sel_hi:[0,1,1]
	v_pk_mul_f32 v[246:247], v[246:247], v[108:109]
	v_mov_b32_e32 v248, 0
	v_pk_fma_f32 v[194:195], v[194:195], v[106:107], v[246:247] neg_lo:[0,0,1] neg_hi:[0,0,1]
	v_mov_b32_e32 v249, 0
	v_pk_add_f32 v[88:89], v[88:89], v[194:195]
	v_mov_b32_e32 v194, 0
	v_dot4c_i32_i8_e32 v194, v130, v12
	v_dot4c_i32_i8_e32 v194, v131, v13
	;; [unrolled: 1-line block ×5, first 2 shown]
	v_mov_b32_e32 v8, 0
	v_dot4c_i32_i8_e32 v8, v124, v4
	v_dot4c_i32_i8_e32 v8, v125, v5
	;; [unrolled: 1-line block ×11, first 2 shown]
	v_mul_lo_u32 v0, v244, v143
	v_mul_lo_u32 v1, v194, v143
	v_cvt_f32_i32_e32 v1, v1
	v_cvt_f32_i32_e32 v0, v0
	v_mul_lo_u32 v4, v245, v135
	v_mul_lo_u32 v5, v8, v135
	v_cvt_f32_i32_e32 v5, v5
	v_cvt_f32_i32_e32 v4, v4
	v_pk_fma_f32 v[2:3], v[116:117], v[202:203], 0 op_sel_hi:[0,1,0]
	v_pk_fma_f32 v[0:1], v[0:1], v[200:201], 0 op_sel_hi:[1,1,0]
	;; [unrolled: 1-line block ×3, first 2 shown]
	v_pk_fma_f32 v[0:1], v[4:5], v[196:197], v[0:1]
	v_pk_mul_f32 v[2:3], v[2:3], v[112:113]
	v_mov_b32_e32 v246, 0
	v_pk_fma_f32 v[0:1], v[0:1], v[110:111], v[2:3] neg_lo:[0,0,1] neg_hi:[0,0,1]
	v_mov_b32_e32 v247, 0
	v_pk_add_f32 v[94:95], v[94:95], v[0:1]
	v_or_b32_e32 v0, s18, v212
	v_lshlrev_b32_e32 v1, 2, v0
	v_lshrrev_b32_e32 v194, 1, v0
	ds_read_b128 v[12:15], v1 offset:33280
	ds_read_b128 v[8:11], v1 offset:33296
	;; [unrolled: 1-line block ×4, first 2 shown]
	ds_read_b64 v[202:203], v194 offset:43584
	v_mov_b32_e32 v244, 0
	v_mov_b32_e32 v245, 0
	s_waitcnt lgkmcnt(4)
	v_dot4c_i32_i8_e32 v250, v176, v12
	s_waitcnt lgkmcnt(2)
	v_dot4c_i32_i8_e32 v252, v186, v4
	v_dot4c_i32_i8_e32 v248, v126, v12
	;; [unrolled: 1-line block ×32, first 2 shown]
	s_waitcnt lgkmcnt(1)
	v_dot4c_i32_i8_e32 v252, v190, v0
	v_dot4c_i32_i8_e32 v248, v138, v8
	;; [unrolled: 1-line block ×15, first 2 shown]
	v_or_b32_e32 v0, s18, v213
	v_dot4c_i32_i8_e32 v250, v184, v10
	v_dot4c_i32_i8_e32 v252, v192, v2
	;; [unrolled: 1-line block ×8, first 2 shown]
	v_lshlrev_b32_e32 v1, 2, v0
	v_dot4c_i32_i8_e32 v250, v185, v11
	v_dot4c_i32_i8_e32 v252, v193, v3
	;; [unrolled: 1-line block ×8, first 2 shown]
	v_lshrrev_b32_e32 v194, 1, v0
	ds_read_b128 v[12:15], v1 offset:33280
	ds_read_b128 v[8:11], v1 offset:33296
	;; [unrolled: 1-line block ×4, first 2 shown]
	ds_read_b64 v[196:197], v194 offset:43584
	v_mov_b32_e32 v251, 0
	s_waitcnt lgkmcnt(4)
	v_dot4c_i32_i8_e32 v251, v176, v12
	v_mov_b32_e32 v253, 0
	v_dot4c_i32_i8_e32 v251, v177, v13
	s_waitcnt lgkmcnt(2)
	v_dot4c_i32_i8_e32 v253, v186, v4
	v_dot4c_i32_i8_e32 v251, v180, v14
	;; [unrolled: 1-line block ×8, first 2 shown]
	s_waitcnt lgkmcnt(1)
	v_dot4c_i32_i8_e32 v253, v190, v0
	v_dot4c_i32_i8_e32 v251, v184, v10
	v_dot4c_i32_i8_e32 v253, v191, v1
	v_dot4c_i32_i8_e32 v251, v185, v11
	v_dot4c_i32_i8_e32 v253, v192, v2
	v_dot4c_i32_i8_e32 v253, v193, v3
	s_waitcnt lgkmcnt(0)
	v_cvt_f32_f16_e32 v199, v196
	v_cvt_f32_f16_e32 v198, v202
	v_cvt_f32_f16_sdwa v201, v196 dst_sel:DWORD dst_unused:UNUSED_PAD src0_sel:WORD_1
	v_cvt_f32_f16_sdwa v200, v202 dst_sel:DWORD dst_unused:UNUSED_PAD src0_sel:WORD_1
	v_cvt_f32_f16_e32 v194, v203
	v_cvt_f32_f16_sdwa v196, v203 dst_sel:DWORD dst_unused:UNUSED_PAD src0_sel:WORD_1
	v_mul_lo_u32 v202, v250, v242
	v_mul_lo_u32 v203, v251, v242
	v_cvt_f32_f16_e32 v195, v197
	v_cvt_f32_f16_sdwa v197, v197 dst_sel:DWORD dst_unused:UNUSED_PAD src0_sel:WORD_1
	v_cvt_f32_i32_e32 v203, v203
	v_cvt_f32_i32_e32 v202, v202
	v_mul_lo_u32 v252, v252, v243
	v_mul_lo_u32 v253, v253, v243
	v_cvt_f32_i32_e32 v253, v253
	v_cvt_f32_i32_e32 v252, v252
	v_pk_fma_f32 v[250:251], v[174:175], v[200:201], 0 op_sel_hi:[0,1,0]
	v_pk_fma_f32 v[202:203], v[202:203], v[198:199], 0 op_sel_hi:[1,1,0]
	;; [unrolled: 1-line block ×3, first 2 shown]
	v_pk_fma_f32 v[202:203], v[252:253], v[194:195], v[202:203]
	v_pk_mul_f32 v[250:251], v[250:251], v[100:101]
	v_mov_b32_e32 v252, 0
	v_pk_fma_f32 v[202:203], v[202:203], v[98:99], v[250:251] neg_lo:[0,0,1] neg_hi:[0,0,1]
	v_dot4c_i32_i8_e32 v252, v150, v4
	v_pk_add_f32 v[70:71], v[70:71], v[202:203]
	v_mov_b32_e32 v202, 0
	v_dot4c_i32_i8_e32 v202, v126, v12
	v_dot4c_i32_i8_e32 v202, v127, v13
	v_dot4c_i32_i8_e32 v202, v136, v14
	v_dot4c_i32_i8_e32 v252, v151, v5
	v_dot4c_i32_i8_e32 v202, v137, v15
	v_dot4c_i32_i8_e32 v252, v160, v6
	v_dot4c_i32_i8_e32 v202, v138, v8
	v_dot4c_i32_i8_e32 v252, v161, v7
	v_dot4c_i32_i8_e32 v202, v139, v9
	v_dot4c_i32_i8_e32 v252, v162, v0
	v_dot4c_i32_i8_e32 v202, v140, v10
	v_dot4c_i32_i8_e32 v252, v163, v1
	v_dot4c_i32_i8_e32 v202, v141, v11
	v_dot4c_i32_i8_e32 v252, v164, v2
	v_dot4c_i32_i8_e32 v252, v165, v3
	v_mul_lo_u32 v248, v248, v159
	v_mul_lo_u32 v202, v202, v159
	v_cvt_f32_i32_e32 v203, v202
	v_cvt_f32_i32_e32 v202, v248
	v_mul_lo_u32 v248, v249, v179
	v_mul_lo_u32 v249, v252, v179
	v_cvt_f32_i32_e32 v249, v249
	v_cvt_f32_i32_e32 v248, v248
	v_pk_fma_f32 v[202:203], v[202:203], v[198:199], 0 op_sel_hi:[1,1,0]
	v_pk_fma_f32 v[250:251], v[132:133], v[200:201], 0 op_sel_hi:[0,1,0]
	v_mul_lo_u32 v246, v246, v175
	v_pk_fma_f32 v[202:203], v[248:249], v[194:195], v[202:203]
	v_pk_fma_f32 v[248:249], v[142:143], v[196:197], v[250:251] op_sel_hi:[0,1,1]
	v_pk_mul_f32 v[248:249], v[248:249], v[104:105]
	v_mov_b32_e32 v250, 0
	v_pk_fma_f32 v[202:203], v[202:203], v[102:103], v[248:249] neg_lo:[0,0,1] neg_hi:[0,0,1]
	v_dot4c_i32_i8_e32 v250, v166, v4
	v_pk_add_f32 v[76:77], v[76:77], v[202:203]
	v_mov_b32_e32 v202, 0
	v_dot4c_i32_i8_e32 v202, v128, v12
	v_dot4c_i32_i8_e32 v202, v129, v13
	;; [unrolled: 1-line block ×15, first 2 shown]
	v_pk_fma_f32 v[248:249], v[134:135], v[200:201], 0 op_sel_hi:[0,1,0]
	v_mul_lo_u32 v202, v202, v175
	v_cvt_f32_i32_e32 v203, v202
	v_cvt_f32_i32_e32 v202, v246
	v_mul_lo_u32 v246, v247, v241
	v_mul_lo_u32 v247, v250, v241
	v_cvt_f32_i32_e32 v247, v247
	v_cvt_f32_i32_e32 v246, v246
	v_pk_fma_f32 v[202:203], v[202:203], v[198:199], 0 op_sel_hi:[1,1,0]
	s_mov_b32 s19, 8
	s_and_b64 vcc, exec, s[0:1]
	v_pk_fma_f32 v[202:203], v[246:247], v[194:195], v[202:203]
	v_pk_fma_f32 v[246:247], v[158:159], v[196:197], v[248:249] op_sel_hi:[0,1,1]
	v_pk_mul_f32 v[246:247], v[246:247], v[108:109]
	s_mov_b64 s[0:1], 0
	v_pk_fma_f32 v[202:203], v[202:203], v[106:107], v[246:247] neg_lo:[0,0,1] neg_hi:[0,0,1]
	v_mov_b32_e32 v246, 0
	v_pk_add_f32 v[82:83], v[82:83], v[202:203]
	v_mov_b32_e32 v202, 0
	v_dot4c_i32_i8_e32 v202, v130, v12
	v_dot4c_i32_i8_e32 v202, v131, v13
	;; [unrolled: 1-line block ×5, first 2 shown]
	v_mov_b32_e32 v8, 0
	v_dot4c_i32_i8_e32 v8, v124, v4
	v_dot4c_i32_i8_e32 v8, v125, v5
	;; [unrolled: 1-line block ×11, first 2 shown]
	v_mul_lo_u32 v0, v244, v143
	v_mul_lo_u32 v1, v202, v143
	v_cvt_f32_i32_e32 v1, v1
	v_cvt_f32_i32_e32 v0, v0
	v_mul_lo_u32 v4, v245, v135
	v_mul_lo_u32 v5, v8, v135
	v_cvt_f32_i32_e32 v5, v5
	v_cvt_f32_i32_e32 v4, v4
	v_pk_fma_f32 v[2:3], v[116:117], v[200:201], 0 op_sel_hi:[0,1,0]
	v_pk_fma_f32 v[0:1], v[0:1], v[198:199], 0 op_sel_hi:[1,1,0]
	;; [unrolled: 1-line block ×3, first 2 shown]
	v_pk_fma_f32 v[0:1], v[4:5], v[194:195], v[0:1]
	v_pk_mul_f32 v[2:3], v[2:3], v[112:113]
	v_mov_b32_e32 v244, 0
	v_pk_fma_f32 v[0:1], v[0:1], v[110:111], v[2:3] neg_lo:[0,0,1] neg_hi:[0,0,1]
	v_mov_b32_e32 v245, 0
	v_pk_add_f32 v[90:91], v[90:91], v[0:1]
	v_or_b32_e32 v0, s18, v214
	v_lshlrev_b32_e32 v1, 2, v0
	v_lshrrev_b32_e32 v194, 1, v0
	ds_read_b128 v[12:15], v1 offset:33280
	ds_read_b128 v[8:11], v1 offset:33296
	ds_read_b128 v[4:7], v1 offset:33312
	ds_read_b128 v[0:3], v1 offset:33328
	ds_read_b64 v[194:195], v194 offset:43584
	v_mov_b32_e32 v200, 0
	v_mov_b32_e32 v201, 0
	;; [unrolled: 1-line block ×6, first 2 shown]
	s_waitcnt lgkmcnt(4)
	v_dot4c_i32_i8_e32 v244, v176, v12
	s_waitcnt lgkmcnt(2)
	v_dot4c_i32_i8_e32 v245, v186, v4
	v_dot4c_i32_i8_e32 v200, v126, v12
	;; [unrolled: 1-line block ×32, first 2 shown]
	s_waitcnt lgkmcnt(1)
	v_dot4c_i32_i8_e32 v245, v190, v0
	v_dot4c_i32_i8_e32 v200, v138, v8
	;; [unrolled: 1-line block ×15, first 2 shown]
	v_or_b32_e32 v0, s18, v215
	v_dot4c_i32_i8_e32 v244, v184, v10
	v_dot4c_i32_i8_e32 v245, v192, v2
	;; [unrolled: 1-line block ×8, first 2 shown]
	v_lshlrev_b32_e32 v1, 2, v0
	v_lshrrev_b32_e32 v202, 1, v0
	v_dot4c_i32_i8_e32 v244, v185, v11
	v_dot4c_i32_i8_e32 v245, v193, v3
	;; [unrolled: 1-line block ×8, first 2 shown]
	ds_read_b128 v[12:15], v1 offset:33280
	ds_read_b128 v[8:11], v1 offset:33296
	;; [unrolled: 1-line block ×4, first 2 shown]
	ds_read_b64 v[202:203], v202 offset:43584
	s_waitcnt lgkmcnt(4)
	v_dot4c_i32_i8_e32 v246, v176, v12
	v_mov_b32_e32 v247, 0
	v_dot4c_i32_i8_e32 v246, v177, v13
	s_waitcnt lgkmcnt(2)
	v_dot4c_i32_i8_e32 v247, v186, v4
	v_dot4c_i32_i8_e32 v246, v180, v14
	;; [unrolled: 1-line block ×8, first 2 shown]
	s_waitcnt lgkmcnt(1)
	v_dot4c_i32_i8_e32 v247, v190, v0
	s_waitcnt lgkmcnt(0)
	v_cvt_f32_f16_sdwa v183, v202 dst_sel:DWORD dst_unused:UNUSED_PAD src0_sel:WORD_1
	v_cvt_f32_f16_sdwa v182, v194 dst_sel:DWORD dst_unused:UNUSED_PAD src0_sel:WORD_1
	v_dot4c_i32_i8_e32 v247, v191, v1
	v_dot4c_i32_i8_e32 v247, v192, v2
	;; [unrolled: 1-line block ×3, first 2 shown]
	v_pk_fma_f32 v[188:189], v[174:175], v[182:183], 0 op_sel_hi:[0,1,0]
	v_mul_lo_u32 v174, v245, v243
	v_dot4c_i32_i8_e32 v246, v184, v10
	v_mul_lo_u32 v190, v247, v243
	v_cvt_f32_i32_e32 v191, v190
	v_cvt_f32_i32_e32 v190, v174
	v_mov_b32_e32 v174, 0
	v_dot4c_i32_i8_e32 v174, v126, v12
	v_dot4c_i32_i8_e32 v174, v127, v13
	;; [unrolled: 1-line block ×5, first 2 shown]
	v_mov_b32_e32 v138, 0
	v_dot4c_i32_i8_e32 v138, v150, v4
	v_dot4c_i32_i8_e32 v138, v151, v5
	;; [unrolled: 1-line block ×11, first 2 shown]
	v_mul_lo_u32 v126, v200, v159
	v_mul_lo_u32 v127, v174, v159
	v_dot4c_i32_i8_e32 v246, v185, v11
	v_cvt_f32_f16_e32 v185, v202
	v_cvt_f32_f16_e32 v184, v194
	v_cvt_f32_f16_sdwa v177, v203 dst_sel:DWORD dst_unused:UNUSED_PAD src0_sel:WORD_1
	v_cvt_f32_f16_sdwa v176, v195 dst_sel:DWORD dst_unused:UNUSED_PAD src0_sel:WORD_1
	v_cvt_f32_i32_e32 v127, v127
	v_cvt_f32_i32_e32 v126, v126
	v_pk_fma_f32 v[136:137], v[132:133], v[182:183], 0 op_sel_hi:[0,1,0]
	v_mul_lo_u32 v132, v201, v179
	v_mul_lo_u32 v138, v138, v179
	v_cvt_f32_f16_e32 v181, v203
	v_cvt_f32_f16_e32 v180, v195
	v_cvt_f32_i32_e32 v139, v138
	v_cvt_f32_i32_e32 v138, v132
	v_pk_fma_f32 v[126:127], v[126:127], v[184:185], 0 op_sel_hi:[1,1,0]
	v_pk_fma_f32 v[136:137], v[142:143], v[176:177], v[136:137] op_sel_hi:[0,1,1]
	v_pk_mul_f32 v[136:137], v[136:137], v[104:105]
	v_pk_fma_f32 v[126:127], v[138:139], v[180:181], v[126:127]
	v_mov_b32_e32 v132, 0
	v_pk_fma_f32 v[126:127], v[126:127], v[102:103], v[136:137] neg_lo:[0,0,1] neg_hi:[0,0,1]
	v_dot4c_i32_i8_e32 v132, v166, v4
	v_pk_add_f32 v[72:73], v[72:73], v[126:127]
	v_mov_b32_e32 v126, 0
	v_dot4c_i32_i8_e32 v126, v128, v12
	v_dot4c_i32_i8_e32 v126, v129, v13
	;; [unrolled: 1-line block ×15, first 2 shown]
	v_mul_lo_u32 v128, v198, v175
	v_mul_lo_u32 v126, v126, v175
	v_cvt_f32_i32_e32 v127, v126
	v_cvt_f32_i32_e32 v126, v128
	v_pk_fma_f32 v[128:129], v[134:135], v[182:183], 0 op_sel_hi:[0,1,0]
	v_mul_lo_u32 v134, v199, v241
	v_mul_lo_u32 v132, v132, v241
	v_cvt_f32_i32_e32 v137, v132
	v_cvt_f32_i32_e32 v136, v134
	v_pk_fma_f32 v[126:127], v[126:127], v[184:185], 0 op_sel_hi:[1,1,0]
	v_pk_fma_f32 v[128:129], v[158:159], v[176:177], v[128:129] op_sel_hi:[0,1,1]
	v_pk_mul_f32 v[128:129], v[128:129], v[108:109]
	v_pk_fma_f32 v[126:127], v[136:137], v[180:181], v[126:127]
	v_mul_lo_u32 v186, v244, v242
	v_pk_fma_f32 v[126:127], v[126:127], v[106:107], v[128:129] neg_lo:[0,0,1] neg_hi:[0,0,1]
	v_mul_lo_u32 v187, v246, v242
	v_pk_add_f32 v[78:79], v[78:79], v[126:127]
	v_mov_b32_e32 v126, 0
	v_dot4c_i32_i8_e32 v126, v130, v12
	v_dot4c_i32_i8_e32 v126, v131, v13
	;; [unrolled: 1-line block ×5, first 2 shown]
	v_mov_b32_e32 v8, 0
	v_dot4c_i32_i8_e32 v8, v124, v4
	v_dot4c_i32_i8_e32 v8, v125, v5
	;; [unrolled: 1-line block ×11, first 2 shown]
	v_mul_lo_u32 v0, v197, v143
	v_mul_lo_u32 v1, v126, v143
	v_cvt_f32_i32_e32 v187, v187
	v_cvt_f32_i32_e32 v186, v186
	;; [unrolled: 1-line block ×4, first 2 shown]
	v_mul_lo_u32 v4, v196, v135
	v_mul_lo_u32 v5, v8, v135
	v_cvt_f32_i32_e32 v5, v5
	v_cvt_f32_i32_e32 v4, v4
	v_pk_fma_f32 v[2:3], v[116:117], v[182:183], 0 op_sel_hi:[0,1,0]
	v_pk_fma_f32 v[186:187], v[186:187], v[184:185], 0 op_sel_hi:[1,1,0]
	;; [unrolled: 1-line block ×5, first 2 shown]
	v_pk_fma_f32 v[186:187], v[190:191], v[180:181], v[186:187]
	v_pk_mul_f32 v[188:189], v[188:189], v[100:101]
	v_pk_fma_f32 v[0:1], v[4:5], v[180:181], v[0:1]
	v_pk_mul_f32 v[2:3], v[2:3], v[112:113]
	v_pk_fma_f32 v[186:187], v[186:187], v[98:99], v[188:189] neg_lo:[0,0,1] neg_hi:[0,0,1]
	v_pk_fma_f32 v[0:1], v[0:1], v[110:111], v[2:3] neg_lo:[0,0,1] neg_hi:[0,0,1]
	v_pk_add_f32 v[68:69], v[68:69], v[186:187]
	v_pk_add_f32 v[84:85], v[84:85], v[0:1]
	s_cbranch_vccnz .LBB153_6
; %bb.7:                                ;   in Loop: Header=BB153_5 Depth=1
	v_add_u32_e32 v14, s17, v205
	v_add_u32_e32 v0, v14, v49
	;; [unrolled: 1-line block ×6, first 2 shown]
	v_mad_i64_i32 v[0:1], s[0:1], v0, 36, v[62:63]
	v_mad_i64_i32 v[2:3], s[0:1], v2, 36, v[62:63]
	;; [unrolled: 1-line block ×4, first 2 shown]
	v_add_u32_e32 v8, v14, v57
	v_add_u32_e32 v10, v14, v59
	;; [unrolled: 1-line block ×4, first 2 shown]
	v_mad_u64_u32 v[98:99], s[0:1], v98, 36, s[2:3]
	s_barrier
	v_mad_i64_i32 v[8:9], s[0:1], v8, 36, v[62:63]
	v_mad_i64_i32 v[10:11], s[0:1], v10, 36, v[62:63]
	;; [unrolled: 1-line block ×4, first 2 shown]
	global_load_dword v98, v[98:99], off
	s_nop 0
	global_load_dword v0, v[0:1], off offset:4
	s_nop 0
	global_load_dword v1, v[2:3], off offset:4
	;; [unrolled: 2-line block ×3, first 2 shown]
	global_load_dword v3, v[6:7], off offset:4
	s_nop 0
	global_load_dword v4, v[8:9], off offset:4
	global_load_dword v5, v[10:11], off offset:4
	;; [unrolled: 1-line block ×4, first 2 shown]
	s_mov_b32 s0, 16
	s_waitcnt vmcnt(8)
	ds_write_b32 v45, v98
	s_waitcnt vmcnt(7)
	ds_write_b32 v220, v0
	;; [unrolled: 2-line block ×9, first 2 shown]
	s_waitcnt lgkmcnt(0)
	s_barrier
	ds_read_b32 v0, v204
	ds_read_b32 v1, v206 offset:128
	ds_read_b32 v2, v207 offset:256
	ds_read_b32 v3, v208 offset:384
	s_waitcnt lgkmcnt(2)
	v_cvt_f32_f16_e32 v102, v1
	v_cvt_f32_f16_e32 v98, v0
	v_cvt_f32_f16_sdwa v100, v0 dst_sel:DWORD dst_unused:UNUSED_PAD src0_sel:WORD_1
	v_cvt_f32_f16_sdwa v104, v1 dst_sel:DWORD dst_unused:UNUSED_PAD src0_sel:WORD_1
	s_waitcnt lgkmcnt(1)
	v_cvt_f32_f16_e32 v106, v2
	v_cvt_f32_f16_sdwa v108, v2 dst_sel:DWORD dst_unused:UNUSED_PAD src0_sel:WORD_1
	s_waitcnt lgkmcnt(0)
	v_cvt_f32_f16_e32 v110, v3
	v_cvt_f32_f16_sdwa v112, v3 dst_sel:DWORD dst_unused:UNUSED_PAD src0_sel:WORD_1
	v_mov_b32_e32 v99, v98
	v_mov_b32_e32 v101, v100
	;; [unrolled: 1-line block ×8, first 2 shown]
.LBB153_8:                              ;   Parent Loop BB153_5 Depth=1
                                        ; =>  This Inner Loop Header: Depth=2
	s_lshr_b32 s1, s0, 2
	s_and_b32 s17, s1, 0x3ffffffe
	s_lshl_b32 s1, s0, 1
	s_and_b32 s1, s1, 16
	v_or_b32_e32 v0, s1, v33
	s_add_i32 s17, s17, 0xa200
	s_lshl_b32 s18, s0, 3
	v_lshlrev_b32_e32 v1, 2, v0
	v_add3_u32 v114, s17, v233, v234
	v_add_u32_e32 v116, s18, v216
	v_lshrrev_b32_e32 v194, 1, v0
	ds_read_b128 v[12:15], v1 offset:33280
	ds_read_b128 v[8:11], v1 offset:33296
	;; [unrolled: 1-line block ×4, first 2 shown]
	ds_read2_b32 v[178:179], v116 offset1:1
	ds_read2_b32 v[180:181], v116 offset0:2 offset1:3
	ds_read2_b32 v[182:183], v116 offset0:4 offset1:5
	;; [unrolled: 1-line block ×3, first 2 shown]
	ds_read_u16 v118, v114
	ds_read_u16 v114, v114 offset:8
	ds_read2_b32 v[160:161], v116 offset0:8 offset1:9
	ds_read2_b32 v[188:189], v116 offset0:10 offset1:11
	ds_read2_b32 v[190:191], v116 offset0:12 offset1:13
	ds_read2_b32 v[192:193], v116 offset0:14 offset1:15
	s_waitcnt lgkmcnt(4)
	v_cvt_f32_ubyte0_e32 v152, v114
	v_cvt_f32_ubyte1_e32 v186, v114
	v_add3_u32 v114, s17, v235, v236
	v_add_u32_e32 v116, s18, v217
	v_and_b32_e32 v165, 0xff, v118
	v_lshrrev_b16_e32 v203, 8, v118
	ds_read2_b32 v[134:135], v116 offset1:1
	ds_read2_b32 v[146:147], v116 offset0:2 offset1:3
	ds_read2_b32 v[148:149], v116 offset0:4 offset1:5
	ds_read2_b32 v[154:155], v116 offset0:6 offset1:7
	ds_read_u16 v118, v114
	ds_read_u16 v114, v114 offset:8
	ds_read2_b32 v[142:143], v116 offset0:8 offset1:9
	ds_read2_b32 v[166:167], v116 offset0:10 offset1:11
	;; [unrolled: 1-line block ×4, first 2 shown]
	s_waitcnt lgkmcnt(4)
	v_cvt_f32_ubyte0_e32 v138, v114
	v_cvt_f32_ubyte1_e32 v162, v114
	v_add3_u32 v114, s17, v237, v238
	v_add_u32_e32 v116, s18, v218
	v_add_u32_e32 v122, s18, v219
	v_and_b32_e32 v153, 0xff, v118
	v_lshrrev_b16_e32 v187, 8, v118
	ds_read2_b32 v[136:137], v116 offset1:1
	ds_read2_b32 v[150:151], v116 offset0:2 offset1:3
	ds_read2_b32 v[156:157], v116 offset0:4 offset1:5
	;; [unrolled: 1-line block ×3, first 2 shown]
	ds_read_u16 v118, v114
	ds_read_u16 v114, v114 offset:8
	ds_read2_b32 v[126:127], v122 offset1:1
	ds_read2_b32 v[128:129], v122 offset0:2 offset1:3
	ds_read2_b32 v[130:131], v122 offset0:4 offset1:5
	;; [unrolled: 1-line block ×3, first 2 shown]
	v_mov_b32_e32 v244, 0
	v_mov_b32_e32 v243, 0
	;; [unrolled: 1-line block ×4, first 2 shown]
	v_dot4c_i32_i8_e32 v244, v178, v12
	v_dot4c_i32_i8_e32 v243, v134, v12
	s_waitcnt lgkmcnt(9)
	v_dot4c_i32_i8_e32 v242, v136, v12
	s_waitcnt lgkmcnt(3)
	v_dot4c_i32_i8_e32 v241, v126, v12
	v_dot4c_i32_i8_e32 v244, v179, v13
	;; [unrolled: 1-line block ×8, first 2 shown]
	s_waitcnt lgkmcnt(2)
	v_dot4c_i32_i8_e32 v241, v128, v14
	v_dot4c_i32_i8_e32 v244, v181, v15
	;; [unrolled: 1-line block ×8, first 2 shown]
	v_cvt_f32_ubyte0_e32 v140, v114
	v_cvt_f32_ubyte1_e32 v164, v114
	v_add3_u32 v114, s17, v239, v240
	s_waitcnt lgkmcnt(1)
	v_dot4c_i32_i8_e32 v241, v130, v8
	v_dot4c_i32_i8_e32 v244, v183, v9
	;; [unrolled: 1-line block ×4, first 2 shown]
	ds_read2_b32 v[144:145], v116 offset0:8 offset1:9
	ds_read2_b32 v[170:171], v116 offset0:10 offset1:11
	;; [unrolled: 1-line block ×4, first 2 shown]
	v_dot4c_i32_i8_e32 v241, v131, v9
	ds_read_u16 v8, v114
	ds_read_u16 v9, v114 offset:8
	ds_read2_b32 v[124:125], v122 offset0:8 offset1:9
	ds_read2_b32 v[120:121], v122 offset0:12 offset1:13
	v_and_b32_e32 v163, 0xff, v118
	v_lshrrev_b16_e32 v202, 8, v118
	ds_read2_b32 v[118:119], v122 offset0:10 offset1:11
	v_mov_b32_e32 v248, 0
	v_mov_b32_e32 v247, 0
	;; [unrolled: 1-line block ×4, first 2 shown]
	v_dot4c_i32_i8_e32 v248, v160, v4
	v_dot4c_i32_i8_e32 v247, v142, v4
	s_waitcnt lgkmcnt(8)
	v_dot4c_i32_i8_e32 v246, v144, v4
	s_waitcnt lgkmcnt(2)
	v_dot4c_i32_i8_e32 v245, v124, v4
	v_dot4c_i32_i8_e32 v248, v161, v5
	;; [unrolled: 1-line block ×5, first 2 shown]
	ds_read2_b32 v[122:123], v122 offset0:14 offset1:15
	v_dot4c_i32_i8_e32 v248, v188, v6
	v_dot4c_i32_i8_e32 v247, v166, v6
	;; [unrolled: 1-line block ×3, first 2 shown]
	s_waitcnt lgkmcnt(1)
	v_dot4c_i32_i8_e32 v245, v118, v6
	v_dot4c_i32_i8_e32 v248, v189, v7
	;; [unrolled: 1-line block ×13, first 2 shown]
	v_or_b32_e32 v0, s1, v209
	v_dot4c_i32_i8_e32 v244, v184, v10
	v_dot4c_i32_i8_e32 v248, v192, v2
	;; [unrolled: 1-line block ×7, first 2 shown]
	s_waitcnt lgkmcnt(0)
	v_dot4c_i32_i8_e32 v245, v122, v2
	v_lshlrev_b32_e32 v1, 2, v0
	v_dot4c_i32_i8_e32 v244, v185, v11
	v_dot4c_i32_i8_e32 v248, v193, v3
	;; [unrolled: 1-line block ×7, first 2 shown]
	v_and_b32_e32 v141, 0xff, v8
	v_cvt_f32_ubyte0_e32 v116, v9
	v_dot4c_i32_i8_e32 v245, v123, v3
	v_lshrrev_b16_e32 v139, 8, v8
	v_cvt_f32_ubyte1_e32 v114, v9
	v_lshrrev_b32_e32 v195, 1, v0
	ds_read_b128 v[12:15], v1 offset:33280
	ds_read_b128 v[8:11], v1 offset:33296
	;; [unrolled: 1-line block ×4, first 2 shown]
	v_mov_b32_e32 v249, 0
	s_waitcnt lgkmcnt(3)
	v_dot4c_i32_i8_e32 v249, v178, v12
	v_mov_b32_e32 v254, 0
	v_dot4c_i32_i8_e32 v249, v179, v13
	s_waitcnt lgkmcnt(1)
	v_dot4c_i32_i8_e32 v254, v160, v4
	v_dot4c_i32_i8_e32 v249, v180, v14
	;; [unrolled: 1-line block ×7, first 2 shown]
	ds_read_b64 v[250:251], v194 offset:43584
	ds_read_b64 v[196:197], v195 offset:43584
	v_dot4c_i32_i8_e32 v249, v183, v9
	s_waitcnt lgkmcnt(2)
	v_dot4c_i32_i8_e32 v254, v190, v0
	v_dot4c_i32_i8_e32 v249, v184, v10
	;; [unrolled: 1-line block ×6, first 2 shown]
	v_mul_lo_u32 v244, v244, v165
	v_mul_lo_u32 v249, v249, v165
	s_waitcnt lgkmcnt(0)
	v_cvt_f32_f16_e32 v199, v196
	v_cvt_f32_f16_e32 v198, v250
	v_cvt_f32_f16_sdwa v201, v196 dst_sel:DWORD dst_unused:UNUSED_PAD src0_sel:WORD_1
	v_cvt_f32_f16_sdwa v200, v250 dst_sel:DWORD dst_unused:UNUSED_PAD src0_sel:WORD_1
	v_cvt_f32_f16_e32 v194, v251
	v_cvt_f32_f16_sdwa v196, v251 dst_sel:DWORD dst_unused:UNUSED_PAD src0_sel:WORD_1
	v_cvt_f32_i32_e32 v251, v249
	v_cvt_f32_i32_e32 v250, v244
	v_mul_lo_u32 v244, v248, v203
	v_mul_lo_u32 v248, v254, v203
	v_cvt_f32_f16_e32 v195, v197
	v_cvt_f32_f16_sdwa v197, v197 dst_sel:DWORD dst_unused:UNUSED_PAD src0_sel:WORD_1
	v_cvt_f32_i32_e32 v249, v248
	v_cvt_f32_i32_e32 v248, v244
	v_pk_fma_f32 v[250:251], v[198:199], v[250:251], 0 op_sel_hi:[1,1,0]
	v_pk_fma_f32 v[252:253], v[152:153], v[200:201], 0 op_sel_hi:[0,1,0]
	v_mov_b32_e32 v244, 0
	v_pk_fma_f32 v[248:249], v[194:195], v[248:249], v[250:251]
	v_pk_fma_f32 v[250:251], v[186:187], v[196:197], v[252:253] op_sel_hi:[0,1,1]
	v_dot4c_i32_i8_e32 v244, v134, v12
	v_mov_b32_e32 v252, 0
	v_dot4c_i32_i8_e32 v244, v135, v13
	v_dot4c_i32_i8_e32 v252, v142, v4
	v_dot4c_i32_i8_e32 v244, v146, v14
	v_dot4c_i32_i8_e32 v252, v143, v5
	v_dot4c_i32_i8_e32 v244, v147, v15
	v_dot4c_i32_i8_e32 v252, v166, v6
	v_dot4c_i32_i8_e32 v244, v148, v8
	v_dot4c_i32_i8_e32 v252, v167, v7
	v_dot4c_i32_i8_e32 v244, v149, v9
	v_dot4c_i32_i8_e32 v252, v168, v0
	v_pk_mul_f32 v[250:251], v[250:251], v[100:101]
	v_dot4c_i32_i8_e32 v244, v154, v10
	v_dot4c_i32_i8_e32 v252, v169, v1
	v_pk_fma_f32 v[248:249], v[248:249], v[98:99], v[250:251] neg_lo:[0,0,1] neg_hi:[0,0,1]
	v_dot4c_i32_i8_e32 v244, v155, v11
	v_dot4c_i32_i8_e32 v252, v172, v2
	v_mul_lo_u32 v243, v243, v153
	v_pk_add_f32 v[60:61], v[60:61], v[248:249]
	v_dot4c_i32_i8_e32 v252, v173, v3
	v_mul_lo_u32 v244, v244, v153
	v_cvt_f32_i32_e32 v248, v243
	v_mul_lo_u32 v243, v247, v187
	v_cvt_f32_i32_e32 v249, v244
	;; [unrolled: 2-line block ×3, first 2 shown]
	v_mov_b32_e32 v243, 0
	v_cvt_f32_i32_e32 v253, v244
	v_dot4c_i32_i8_e32 v243, v136, v12
	v_mov_b32_e32 v244, 0
	v_dot4c_i32_i8_e32 v243, v137, v13
	v_dot4c_i32_i8_e32 v244, v144, v4
	;; [unrolled: 1-line block ×15, first 2 shown]
	v_mul_lo_u32 v242, v242, v163
	v_mul_lo_u32 v243, v243, v163
	v_pk_fma_f32 v[250:251], v[138:139], v[200:201], 0 op_sel_hi:[0,1,0]
	v_cvt_f32_i32_e32 v243, v243
	v_cvt_f32_i32_e32 v242, v242
	v_mul_lo_u32 v246, v246, v202
	v_mul_lo_u32 v244, v244, v202
	v_pk_fma_f32 v[248:249], v[198:199], v[248:249], 0 op_sel_hi:[1,1,0]
	v_pk_fma_f32 v[250:251], v[162:163], v[196:197], v[250:251] op_sel_hi:[0,1,1]
	v_cvt_f32_i32_e32 v247, v244
	v_cvt_f32_i32_e32 v246, v246
	v_pk_fma_f32 v[248:249], v[194:195], v[252:253], v[248:249]
	v_pk_mul_f32 v[250:251], v[250:251], v[104:105]
	v_pk_fma_f32 v[242:243], v[198:199], v[242:243], 0 op_sel_hi:[1,1,0]
	v_pk_fma_f32 v[248:249], v[248:249], v[102:103], v[250:251] neg_lo:[0,0,1] neg_hi:[0,0,1]
	v_pk_fma_f32 v[242:243], v[194:195], v[246:247], v[242:243]
	v_pk_add_f32 v[86:87], v[86:87], v[248:249]
	v_pk_fma_f32 v[248:249], v[140:141], v[200:201], 0 op_sel_hi:[0,1,0]
	v_pk_fma_f32 v[246:247], v[164:165], v[196:197], v[248:249] op_sel_hi:[0,1,1]
	v_pk_mul_f32 v[246:247], v[246:247], v[108:109]
	v_mov_b32_e32 v252, 0
	v_pk_fma_f32 v[242:243], v[242:243], v[106:107], v[246:247] neg_lo:[0,0,1] neg_hi:[0,0,1]
	v_mov_b32_e32 v247, 0
	v_pk_add_f32 v[92:93], v[92:93], v[242:243]
	v_mov_b32_e32 v242, 0
	v_dot4c_i32_i8_e32 v242, v126, v12
	v_dot4c_i32_i8_e32 v242, v127, v13
	;; [unrolled: 1-line block ×5, first 2 shown]
	v_mov_b32_e32 v8, 0
	v_dot4c_i32_i8_e32 v8, v124, v4
	v_dot4c_i32_i8_e32 v8, v125, v5
	;; [unrolled: 1-line block ×11, first 2 shown]
	v_mul_lo_u32 v0, v241, v141
	v_mul_lo_u32 v1, v242, v141
	v_cvt_f32_i32_e32 v1, v1
	v_cvt_f32_i32_e32 v0, v0
	v_mul_lo_u32 v4, v245, v139
	v_mul_lo_u32 v5, v8, v139
	v_cvt_f32_i32_e32 v5, v5
	v_cvt_f32_i32_e32 v4, v4
	v_pk_fma_f32 v[2:3], v[116:117], v[200:201], 0 op_sel_hi:[0,1,0]
	v_pk_fma_f32 v[0:1], v[198:199], v[0:1], 0 op_sel_hi:[1,1,0]
	;; [unrolled: 1-line block ×3, first 2 shown]
	v_pk_fma_f32 v[0:1], v[194:195], v[4:5], v[0:1]
	v_pk_mul_f32 v[2:3], v[2:3], v[112:113]
	v_mov_b32_e32 v245, 0
	v_pk_fma_f32 v[0:1], v[0:1], v[110:111], v[2:3] neg_lo:[0,0,1] neg_hi:[0,0,1]
	v_mov_b32_e32 v246, 0
	v_pk_add_f32 v[96:97], v[96:97], v[0:1]
	v_or_b32_e32 v0, s1, v210
	v_lshlrev_b32_e32 v1, 2, v0
	v_lshrrev_b32_e32 v194, 1, v0
	ds_read_b128 v[12:15], v1 offset:33280
	ds_read_b128 v[8:11], v1 offset:33296
	;; [unrolled: 1-line block ×4, first 2 shown]
	v_mov_b32_e32 v243, 0
	v_mov_b32_e32 v244, 0
	;; [unrolled: 1-line block ×4, first 2 shown]
	s_waitcnt lgkmcnt(3)
	v_dot4c_i32_i8_e32 v247, v178, v12
	s_waitcnt lgkmcnt(1)
	v_dot4c_i32_i8_e32 v252, v160, v4
	v_dot4c_i32_i8_e32 v245, v134, v12
	;; [unrolled: 1-line block ×32, first 2 shown]
	s_waitcnt lgkmcnt(0)
	v_dot4c_i32_i8_e32 v252, v190, v0
	v_dot4c_i32_i8_e32 v245, v148, v8
	;; [unrolled: 1-line block ×15, first 2 shown]
	v_or_b32_e32 v0, s1, v211
	v_dot4c_i32_i8_e32 v247, v184, v10
	v_dot4c_i32_i8_e32 v252, v192, v2
	;; [unrolled: 1-line block ×8, first 2 shown]
	v_lshlrev_b32_e32 v1, 2, v0
	v_dot4c_i32_i8_e32 v247, v185, v11
	v_dot4c_i32_i8_e32 v252, v193, v3
	;; [unrolled: 1-line block ×8, first 2 shown]
	v_lshrrev_b32_e32 v195, 1, v0
	ds_read_b128 v[12:15], v1 offset:33280
	ds_read_b128 v[8:11], v1 offset:33296
	;; [unrolled: 1-line block ×4, first 2 shown]
	v_mov_b32_e32 v250, 0
	s_waitcnt lgkmcnt(3)
	v_dot4c_i32_i8_e32 v250, v178, v12
	v_mov_b32_e32 v253, 0
	v_dot4c_i32_i8_e32 v250, v179, v13
	s_waitcnt lgkmcnt(1)
	v_dot4c_i32_i8_e32 v253, v160, v4
	v_dot4c_i32_i8_e32 v250, v180, v14
	;; [unrolled: 1-line block ×7, first 2 shown]
	ds_read_b64 v[248:249], v194 offset:43584
	ds_read_b64 v[196:197], v195 offset:43584
	v_dot4c_i32_i8_e32 v250, v183, v9
	s_waitcnt lgkmcnt(2)
	v_dot4c_i32_i8_e32 v253, v190, v0
	v_dot4c_i32_i8_e32 v250, v184, v10
	v_dot4c_i32_i8_e32 v253, v191, v1
	v_dot4c_i32_i8_e32 v250, v185, v11
	v_dot4c_i32_i8_e32 v253, v192, v2
	v_dot4c_i32_i8_e32 v253, v193, v3
	s_waitcnt lgkmcnt(1)
	v_cvt_f32_f16_e32 v198, v248
	v_cvt_f32_f16_sdwa v200, v248 dst_sel:DWORD dst_unused:UNUSED_PAD src0_sel:WORD_1
	v_mul_lo_u32 v247, v247, v165
	v_mul_lo_u32 v248, v250, v165
	s_waitcnt lgkmcnt(0)
	v_cvt_f32_f16_e32 v199, v196
	v_cvt_f32_f16_sdwa v201, v196 dst_sel:DWORD dst_unused:UNUSED_PAD src0_sel:WORD_1
	v_cvt_f32_f16_e32 v194, v249
	v_cvt_f32_f16_sdwa v196, v249 dst_sel:DWORD dst_unused:UNUSED_PAD src0_sel:WORD_1
	v_cvt_f32_i32_e32 v249, v248
	v_cvt_f32_i32_e32 v248, v247
	v_mul_lo_u32 v247, v252, v203
	v_mul_lo_u32 v252, v253, v203
	v_cvt_f32_f16_e32 v195, v197
	v_cvt_f32_i32_e32 v253, v252
	v_cvt_f32_i32_e32 v252, v247
	v_pk_fma_f32 v[248:249], v[248:249], v[198:199], 0 op_sel_hi:[1,1,0]
	v_mov_b32_e32 v247, 0
	v_dot4c_i32_i8_e32 v247, v134, v12
	v_pk_fma_f32 v[248:249], v[252:253], v[194:195], v[248:249]
	v_mov_b32_e32 v252, 0
	v_dot4c_i32_i8_e32 v247, v135, v13
	v_dot4c_i32_i8_e32 v252, v142, v4
	v_cvt_f32_f16_sdwa v197, v197 dst_sel:DWORD dst_unused:UNUSED_PAD src0_sel:WORD_1
	v_dot4c_i32_i8_e32 v247, v146, v14
	v_dot4c_i32_i8_e32 v252, v143, v5
	;; [unrolled: 1-line block ×6, first 2 shown]
	v_pk_fma_f32 v[250:251], v[152:153], v[200:201], 0 op_sel_hi:[0,1,0]
	v_dot4c_i32_i8_e32 v247, v149, v9
	v_dot4c_i32_i8_e32 v252, v168, v0
	v_pk_fma_f32 v[250:251], v[186:187], v[196:197], v[250:251] op_sel_hi:[0,1,1]
	v_dot4c_i32_i8_e32 v247, v154, v10
	v_dot4c_i32_i8_e32 v252, v169, v1
	v_pk_mul_f32 v[250:251], v[250:251], v[100:101]
	v_dot4c_i32_i8_e32 v247, v155, v11
	v_dot4c_i32_i8_e32 v252, v172, v2
	v_pk_fma_f32 v[248:249], v[248:249], v[98:99], v[250:251] neg_lo:[0,0,1] neg_hi:[0,0,1]
	v_dot4c_i32_i8_e32 v252, v173, v3
	v_mul_lo_u32 v245, v245, v153
	v_mul_lo_u32 v247, v247, v153
	v_pk_add_f32 v[74:75], v[74:75], v[248:249]
	v_cvt_f32_i32_e32 v249, v247
	v_cvt_f32_i32_e32 v248, v245
	v_mul_lo_u32 v245, v246, v187
	v_mul_lo_u32 v246, v252, v187
	v_cvt_f32_i32_e32 v247, v246
	v_cvt_f32_i32_e32 v246, v245
	v_pk_fma_f32 v[248:249], v[248:249], v[198:199], 0 op_sel_hi:[1,1,0]
	v_pk_fma_f32 v[250:251], v[138:139], v[200:201], 0 op_sel_hi:[0,1,0]
	v_mov_b32_e32 v245, 0
	v_pk_fma_f32 v[246:247], v[246:247], v[194:195], v[248:249]
	v_pk_fma_f32 v[248:249], v[162:163], v[196:197], v[250:251] op_sel_hi:[0,1,1]
	v_mov_b32_e32 v250, 0
	v_dot4c_i32_i8_e32 v245, v136, v12
	v_dot4c_i32_i8_e32 v250, v144, v4
	;; [unrolled: 1-line block ×12, first 2 shown]
	v_pk_mul_f32 v[248:249], v[248:249], v[104:105]
	v_dot4c_i32_i8_e32 v245, v158, v10
	v_dot4c_i32_i8_e32 v250, v176, v2
	v_pk_fma_f32 v[246:247], v[246:247], v[102:103], v[248:249] neg_lo:[0,0,1] neg_hi:[0,0,1]
	v_dot4c_i32_i8_e32 v245, v159, v11
	v_dot4c_i32_i8_e32 v250, v177, v3
	v_mul_lo_u32 v243, v243, v163
	v_pk_add_f32 v[80:81], v[80:81], v[246:247]
	v_mul_lo_u32 v245, v245, v163
	v_cvt_f32_i32_e32 v246, v243
	v_mul_lo_u32 v243, v244, v202
	v_mul_lo_u32 v244, v250, v202
	v_cvt_f32_i32_e32 v247, v245
	v_cvt_f32_i32_e32 v245, v244
	;; [unrolled: 1-line block ×3, first 2 shown]
	v_mov_b32_e32 v243, 0
	v_dot4c_i32_i8_e32 v243, v126, v12
	v_dot4c_i32_i8_e32 v243, v127, v13
	;; [unrolled: 1-line block ×5, first 2 shown]
	v_mov_b32_e32 v8, 0
	v_dot4c_i32_i8_e32 v8, v124, v4
	v_dot4c_i32_i8_e32 v8, v125, v5
	;; [unrolled: 1-line block ×11, first 2 shown]
	v_mul_lo_u32 v0, v241, v141
	v_mul_lo_u32 v1, v243, v141
	v_cvt_f32_i32_e32 v1, v1
	v_cvt_f32_i32_e32 v0, v0
	v_mul_lo_u32 v4, v242, v139
	v_mul_lo_u32 v5, v8, v139
	v_cvt_f32_i32_e32 v5, v5
	v_cvt_f32_i32_e32 v4, v4
	v_pk_fma_f32 v[2:3], v[116:117], v[200:201], 0 op_sel_hi:[0,1,0]
	v_pk_fma_f32 v[0:1], v[0:1], v[198:199], 0 op_sel_hi:[1,1,0]
	;; [unrolled: 1-line block ×3, first 2 shown]
	v_pk_fma_f32 v[0:1], v[4:5], v[194:195], v[0:1]
	v_pk_mul_f32 v[2:3], v[2:3], v[112:113]
	v_pk_fma_f32 v[246:247], v[246:247], v[198:199], 0 op_sel_hi:[1,1,0]
	v_pk_fma_f32 v[0:1], v[0:1], v[110:111], v[2:3] neg_lo:[0,0,1] neg_hi:[0,0,1]
	v_pk_fma_f32 v[248:249], v[140:141], v[200:201], 0 op_sel_hi:[0,1,0]
	v_pk_add_f32 v[94:95], v[94:95], v[0:1]
	v_or_b32_e32 v0, s1, v212
	v_lshlrev_b32_e32 v1, 2, v0
	v_pk_fma_f32 v[244:245], v[244:245], v[194:195], v[246:247]
	v_pk_fma_f32 v[246:247], v[164:165], v[196:197], v[248:249] op_sel_hi:[0,1,1]
	v_lshrrev_b32_e32 v194, 1, v0
	ds_read_b128 v[12:15], v1 offset:33280
	ds_read_b128 v[8:11], v1 offset:33296
	;; [unrolled: 1-line block ×4, first 2 shown]
	v_pk_mul_f32 v[246:247], v[246:247], v[108:109]
	v_mov_b32_e32 v252, 0
	v_pk_fma_f32 v[244:245], v[244:245], v[106:107], v[246:247] neg_lo:[0,0,1] neg_hi:[0,0,1]
	v_mov_b32_e32 v247, 0
	v_pk_add_f32 v[88:89], v[88:89], v[244:245]
	v_mov_b32_e32 v245, 0
	v_mov_b32_e32 v246, 0
	;; [unrolled: 1-line block ×6, first 2 shown]
	s_waitcnt lgkmcnt(3)
	v_dot4c_i32_i8_e32 v247, v178, v12
	s_waitcnt lgkmcnt(1)
	v_dot4c_i32_i8_e32 v252, v160, v4
	v_dot4c_i32_i8_e32 v245, v134, v12
	;; [unrolled: 1-line block ×32, first 2 shown]
	s_waitcnt lgkmcnt(0)
	v_dot4c_i32_i8_e32 v252, v190, v0
	v_dot4c_i32_i8_e32 v245, v148, v8
	;; [unrolled: 1-line block ×15, first 2 shown]
	v_or_b32_e32 v0, s1, v213
	v_dot4c_i32_i8_e32 v247, v184, v10
	v_dot4c_i32_i8_e32 v252, v192, v2
	;; [unrolled: 1-line block ×8, first 2 shown]
	v_lshlrev_b32_e32 v1, 2, v0
	v_dot4c_i32_i8_e32 v247, v185, v11
	v_dot4c_i32_i8_e32 v252, v193, v3
	;; [unrolled: 1-line block ×8, first 2 shown]
	v_lshrrev_b32_e32 v195, 1, v0
	ds_read_b128 v[12:15], v1 offset:33280
	ds_read_b128 v[8:11], v1 offset:33296
	;; [unrolled: 1-line block ×4, first 2 shown]
	v_mov_b32_e32 v250, 0
	s_waitcnt lgkmcnt(3)
	v_dot4c_i32_i8_e32 v250, v178, v12
	v_mov_b32_e32 v253, 0
	v_dot4c_i32_i8_e32 v250, v179, v13
	s_waitcnt lgkmcnt(1)
	v_dot4c_i32_i8_e32 v253, v160, v4
	v_dot4c_i32_i8_e32 v250, v180, v14
	;; [unrolled: 1-line block ×7, first 2 shown]
	ds_read_b64 v[248:249], v194 offset:43584
	ds_read_b64 v[196:197], v195 offset:43584
	v_dot4c_i32_i8_e32 v250, v183, v9
	s_waitcnt lgkmcnt(2)
	v_dot4c_i32_i8_e32 v253, v190, v0
	v_dot4c_i32_i8_e32 v250, v184, v10
	;; [unrolled: 1-line block ×6, first 2 shown]
	s_waitcnt lgkmcnt(1)
	v_cvt_f32_f16_e32 v198, v248
	v_cvt_f32_f16_sdwa v200, v248 dst_sel:DWORD dst_unused:UNUSED_PAD src0_sel:WORD_1
	v_mul_lo_u32 v247, v247, v165
	v_mul_lo_u32 v248, v250, v165
	s_waitcnt lgkmcnt(0)
	v_cvt_f32_f16_e32 v199, v196
	v_cvt_f32_f16_sdwa v201, v196 dst_sel:DWORD dst_unused:UNUSED_PAD src0_sel:WORD_1
	v_cvt_f32_f16_e32 v194, v249
	v_cvt_f32_f16_sdwa v196, v249 dst_sel:DWORD dst_unused:UNUSED_PAD src0_sel:WORD_1
	v_cvt_f32_i32_e32 v249, v248
	v_cvt_f32_i32_e32 v248, v247
	v_mul_lo_u32 v247, v252, v203
	v_mul_lo_u32 v252, v253, v203
	v_cvt_f32_f16_e32 v195, v197
	v_cvt_f32_i32_e32 v253, v252
	v_cvt_f32_i32_e32 v252, v247
	v_pk_fma_f32 v[248:249], v[248:249], v[198:199], 0 op_sel_hi:[1,1,0]
	v_mov_b32_e32 v247, 0
	v_dot4c_i32_i8_e32 v247, v134, v12
	v_pk_fma_f32 v[248:249], v[252:253], v[194:195], v[248:249]
	v_mov_b32_e32 v252, 0
	v_dot4c_i32_i8_e32 v247, v135, v13
	v_dot4c_i32_i8_e32 v252, v142, v4
	v_cvt_f32_f16_sdwa v197, v197 dst_sel:DWORD dst_unused:UNUSED_PAD src0_sel:WORD_1
	v_dot4c_i32_i8_e32 v247, v146, v14
	v_dot4c_i32_i8_e32 v252, v143, v5
	;; [unrolled: 1-line block ×6, first 2 shown]
	v_pk_fma_f32 v[250:251], v[152:153], v[200:201], 0 op_sel_hi:[0,1,0]
	v_dot4c_i32_i8_e32 v247, v149, v9
	v_dot4c_i32_i8_e32 v252, v168, v0
	v_pk_fma_f32 v[250:251], v[186:187], v[196:197], v[250:251] op_sel_hi:[0,1,1]
	v_dot4c_i32_i8_e32 v247, v154, v10
	v_dot4c_i32_i8_e32 v252, v169, v1
	v_pk_mul_f32 v[250:251], v[250:251], v[100:101]
	v_dot4c_i32_i8_e32 v247, v155, v11
	v_dot4c_i32_i8_e32 v252, v172, v2
	v_pk_fma_f32 v[248:249], v[248:249], v[98:99], v[250:251] neg_lo:[0,0,1] neg_hi:[0,0,1]
	v_dot4c_i32_i8_e32 v252, v173, v3
	v_mul_lo_u32 v245, v245, v153
	v_mul_lo_u32 v247, v247, v153
	v_pk_add_f32 v[70:71], v[70:71], v[248:249]
	v_cvt_f32_i32_e32 v249, v247
	v_cvt_f32_i32_e32 v248, v245
	v_mul_lo_u32 v245, v246, v187
	v_mul_lo_u32 v246, v252, v187
	v_cvt_f32_i32_e32 v247, v246
	v_cvt_f32_i32_e32 v246, v245
	v_pk_fma_f32 v[248:249], v[248:249], v[198:199], 0 op_sel_hi:[1,1,0]
	v_pk_fma_f32 v[250:251], v[138:139], v[200:201], 0 op_sel_hi:[0,1,0]
	v_mov_b32_e32 v245, 0
	v_pk_fma_f32 v[246:247], v[246:247], v[194:195], v[248:249]
	v_pk_fma_f32 v[248:249], v[162:163], v[196:197], v[250:251] op_sel_hi:[0,1,1]
	v_mov_b32_e32 v250, 0
	v_dot4c_i32_i8_e32 v245, v136, v12
	v_dot4c_i32_i8_e32 v250, v144, v4
	;; [unrolled: 1-line block ×12, first 2 shown]
	v_pk_mul_f32 v[248:249], v[248:249], v[104:105]
	v_dot4c_i32_i8_e32 v245, v158, v10
	v_dot4c_i32_i8_e32 v250, v176, v2
	v_pk_fma_f32 v[246:247], v[246:247], v[102:103], v[248:249] neg_lo:[0,0,1] neg_hi:[0,0,1]
	v_dot4c_i32_i8_e32 v245, v159, v11
	v_dot4c_i32_i8_e32 v250, v177, v3
	v_mul_lo_u32 v243, v243, v163
	v_pk_add_f32 v[76:77], v[76:77], v[246:247]
	v_mul_lo_u32 v245, v245, v163
	v_cvt_f32_i32_e32 v246, v243
	v_mul_lo_u32 v243, v244, v202
	v_mul_lo_u32 v244, v250, v202
	v_cvt_f32_i32_e32 v247, v245
	v_cvt_f32_i32_e32 v245, v244
	;; [unrolled: 1-line block ×3, first 2 shown]
	v_mov_b32_e32 v243, 0
	v_dot4c_i32_i8_e32 v243, v126, v12
	v_dot4c_i32_i8_e32 v243, v127, v13
	;; [unrolled: 1-line block ×5, first 2 shown]
	v_mov_b32_e32 v8, 0
	v_dot4c_i32_i8_e32 v8, v124, v4
	v_dot4c_i32_i8_e32 v8, v125, v5
	;; [unrolled: 1-line block ×11, first 2 shown]
	v_mul_lo_u32 v0, v241, v141
	v_mul_lo_u32 v1, v243, v141
	v_cvt_f32_i32_e32 v1, v1
	v_cvt_f32_i32_e32 v0, v0
	v_mul_lo_u32 v4, v242, v139
	v_mul_lo_u32 v5, v8, v139
	v_cvt_f32_i32_e32 v5, v5
	v_cvt_f32_i32_e32 v4, v4
	v_pk_fma_f32 v[2:3], v[116:117], v[200:201], 0 op_sel_hi:[0,1,0]
	v_pk_fma_f32 v[0:1], v[0:1], v[198:199], 0 op_sel_hi:[1,1,0]
	;; [unrolled: 1-line block ×3, first 2 shown]
	v_pk_fma_f32 v[0:1], v[4:5], v[194:195], v[0:1]
	v_pk_mul_f32 v[2:3], v[2:3], v[112:113]
	v_pk_fma_f32 v[246:247], v[246:247], v[198:199], 0 op_sel_hi:[1,1,0]
	v_pk_fma_f32 v[0:1], v[0:1], v[110:111], v[2:3] neg_lo:[0,0,1] neg_hi:[0,0,1]
	v_pk_fma_f32 v[248:249], v[140:141], v[200:201], 0 op_sel_hi:[0,1,0]
	v_pk_add_f32 v[90:91], v[90:91], v[0:1]
	v_or_b32_e32 v0, s1, v214
	v_lshlrev_b32_e32 v1, 2, v0
	v_lshrrev_b32_e32 v199, 1, v0
	ds_read_b128 v[12:15], v1 offset:33280
	ds_read_b128 v[8:11], v1 offset:33296
	;; [unrolled: 1-line block ×4, first 2 shown]
	v_pk_fma_f32 v[244:245], v[244:245], v[194:195], v[246:247]
	v_pk_fma_f32 v[246:247], v[164:165], v[196:197], v[248:249] op_sel_hi:[0,1,1]
	v_mov_b32_e32 v201, 0
	v_mov_b32_e32 v241, 0
	;; [unrolled: 1-line block ×8, first 2 shown]
	s_waitcnt lgkmcnt(3)
	v_dot4c_i32_i8_e32 v201, v178, v12
	s_waitcnt lgkmcnt(1)
	v_dot4c_i32_i8_e32 v241, v160, v4
	v_dot4c_i32_i8_e32 v198, v134, v12
	;; [unrolled: 1-line block ×32, first 2 shown]
	s_waitcnt lgkmcnt(0)
	v_dot4c_i32_i8_e32 v241, v190, v0
	v_dot4c_i32_i8_e32 v198, v148, v8
	;; [unrolled: 1-line block ×15, first 2 shown]
	v_or_b32_e32 v0, s1, v215
	v_dot4c_i32_i8_e32 v201, v184, v10
	v_dot4c_i32_i8_e32 v241, v192, v2
	v_dot4c_i32_i8_e32 v198, v154, v10
	v_dot4c_i32_i8_e32 v200, v172, v2
	v_dot4c_i32_i8_e32 v196, v158, v10
	v_dot4c_i32_i8_e32 v197, v176, v2
	v_dot4c_i32_i8_e32 v195, v132, v10
	v_dot4c_i32_i8_e32 v194, v122, v2
	v_lshlrev_b32_e32 v1, 2, v0
	v_dot4c_i32_i8_e32 v201, v185, v11
	v_dot4c_i32_i8_e32 v241, v193, v3
	;; [unrolled: 1-line block ×8, first 2 shown]
	v_lshrrev_b32_e32 v242, 1, v0
	ds_read_b128 v[12:15], v1 offset:33280
	ds_read_b128 v[8:11], v1 offset:33296
	;; [unrolled: 1-line block ×4, first 2 shown]
	v_mov_b32_e32 v243, 0
	s_waitcnt lgkmcnt(3)
	v_dot4c_i32_i8_e32 v243, v178, v12
	v_dot4c_i32_i8_e32 v243, v179, v13
	;; [unrolled: 1-line block ×3, first 2 shown]
	v_pk_mul_f32 v[246:247], v[246:247], v[108:109]
	v_dot4c_i32_i8_e32 v243, v181, v15
	v_pk_fma_f32 v[244:245], v[244:245], v[106:107], v[246:247] neg_lo:[0,0,1] neg_hi:[0,0,1]
	s_waitcnt lgkmcnt(2)
	v_dot4c_i32_i8_e32 v243, v182, v8
	v_pk_add_f32 v[82:83], v[82:83], v[244:245]
	v_dot4c_i32_i8_e32 v243, v183, v9
	v_mov_b32_e32 v244, 0
	v_dot4c_i32_i8_e32 v243, v184, v10
	s_waitcnt lgkmcnt(1)
	v_dot4c_i32_i8_e32 v244, v160, v4
	v_dot4c_i32_i8_e32 v243, v185, v11
	;; [unrolled: 1-line block ×3, first 2 shown]
	ds_read_b64 v[184:185], v199 offset:43584
	ds_read_b64 v[160:161], v242 offset:43584
	v_dot4c_i32_i8_e32 v244, v188, v6
	v_dot4c_i32_i8_e32 v244, v189, v7
	s_waitcnt lgkmcnt(2)
	v_dot4c_i32_i8_e32 v244, v190, v0
	s_waitcnt lgkmcnt(1)
	v_cvt_f32_f16_sdwa v180, v184 dst_sel:DWORD dst_unused:UNUSED_PAD src0_sel:WORD_1
	s_waitcnt lgkmcnt(0)
	v_cvt_f32_f16_sdwa v181, v160 dst_sel:DWORD dst_unused:UNUSED_PAD src0_sel:WORD_1
	v_cvt_f32_f16_e32 v183, v160
	v_cvt_f32_f16_e32 v182, v184
	;; [unrolled: 1-line block ×3, first 2 shown]
	v_pk_fma_f32 v[188:189], v[152:153], v[180:181], 0 op_sel_hi:[0,1,0]
	v_mul_lo_u32 v152, v241, v203
	v_cvt_f32_i32_e32 v190, v152
	v_mov_b32_e32 v152, 0
	v_dot4c_i32_i8_e32 v152, v134, v12
	v_dot4c_i32_i8_e32 v152, v135, v13
	;; [unrolled: 1-line block ×3, first 2 shown]
	v_mov_b32_e32 v146, 0
	v_dot4c_i32_i8_e32 v146, v142, v4
	v_dot4c_i32_i8_e32 v146, v143, v5
	;; [unrolled: 1-line block ×13, first 2 shown]
	v_mul_lo_u32 v134, v198, v153
	v_mul_lo_u32 v135, v152, v153
	v_cvt_f32_f16_sdwa v161, v161 dst_sel:DWORD dst_unused:UNUSED_PAD src0_sel:WORD_1
	v_cvt_f32_f16_sdwa v160, v185 dst_sel:DWORD dst_unused:UNUSED_PAD src0_sel:WORD_1
	v_cvt_f32_i32_e32 v135, v135
	v_cvt_f32_i32_e32 v134, v134
	v_pk_fma_f32 v[142:143], v[138:139], v[180:181], 0 op_sel_hi:[0,1,0]
	v_mul_lo_u32 v138, v200, v187
	v_mul_lo_u32 v146, v146, v187
	v_cvt_f32_f16_e32 v178, v185
	v_cvt_f32_i32_e32 v147, v146
	v_cvt_f32_i32_e32 v146, v138
	v_pk_fma_f32 v[134:135], v[134:135], v[182:183], 0 op_sel_hi:[1,1,0]
	v_pk_fma_f32 v[142:143], v[162:163], v[160:161], v[142:143] op_sel_hi:[0,1,1]
	v_pk_mul_f32 v[142:143], v[142:143], v[104:105]
	v_pk_fma_f32 v[134:135], v[146:147], v[178:179], v[134:135]
	v_mov_b32_e32 v138, 0
	v_pk_fma_f32 v[134:135], v[134:135], v[102:103], v[142:143] neg_lo:[0,0,1] neg_hi:[0,0,1]
	v_dot4c_i32_i8_e32 v138, v144, v4
	v_pk_add_f32 v[72:73], v[72:73], v[134:135]
	v_mov_b32_e32 v134, 0
	v_dot4c_i32_i8_e32 v134, v136, v12
	v_dot4c_i32_i8_e32 v134, v137, v13
	;; [unrolled: 1-line block ×15, first 2 shown]
	v_mul_lo_u32 v136, v196, v163
	v_mul_lo_u32 v134, v134, v163
	v_dot4c_i32_i8_e32 v244, v191, v1
	v_cvt_f32_i32_e32 v135, v134
	v_cvt_f32_i32_e32 v134, v136
	v_pk_fma_f32 v[136:137], v[140:141], v[180:181], 0 op_sel_hi:[0,1,0]
	v_mul_lo_u32 v140, v197, v202
	v_mul_lo_u32 v138, v138, v202
	v_dot4c_i32_i8_e32 v244, v192, v2
	v_cvt_f32_i32_e32 v143, v138
	v_cvt_f32_i32_e32 v142, v140
	v_dot4c_i32_i8_e32 v244, v193, v3
	v_mul_lo_u32 v184, v201, v165
	v_mul_lo_u32 v165, v243, v165
	v_cvt_f32_i32_e32 v185, v165
	v_mul_lo_u32 v165, v244, v203
	v_pk_fma_f32 v[134:135], v[134:135], v[182:183], 0 op_sel_hi:[1,1,0]
	v_pk_fma_f32 v[136:137], v[164:165], v[160:161], v[136:137] op_sel_hi:[0,1,1]
	v_pk_fma_f32 v[134:135], v[142:143], v[178:179], v[134:135]
	v_pk_mul_f32 v[136:137], v[136:137], v[108:109]
	v_cvt_f32_i32_e32 v184, v184
	v_pk_fma_f32 v[134:135], v[134:135], v[106:107], v[136:137] neg_lo:[0,0,1] neg_hi:[0,0,1]
	v_cvt_f32_i32_e32 v191, v165
	v_pk_add_f32 v[78:79], v[78:79], v[134:135]
	v_mov_b32_e32 v134, 0
	v_dot4c_i32_i8_e32 v134, v126, v12
	v_dot4c_i32_i8_e32 v134, v127, v13
	;; [unrolled: 1-line block ×5, first 2 shown]
	v_mov_b32_e32 v8, 0
	v_dot4c_i32_i8_e32 v8, v124, v4
	v_dot4c_i32_i8_e32 v8, v125, v5
	;; [unrolled: 1-line block ×11, first 2 shown]
	v_mul_lo_u32 v0, v195, v141
	v_mul_lo_u32 v1, v134, v141
	v_cvt_f32_i32_e32 v1, v1
	v_cvt_f32_i32_e32 v0, v0
	v_mul_lo_u32 v4, v194, v139
	v_mul_lo_u32 v5, v8, v139
	v_cvt_f32_i32_e32 v5, v5
	v_cvt_f32_i32_e32 v4, v4
	v_pk_fma_f32 v[2:3], v[116:117], v[180:181], 0 op_sel_hi:[0,1,0]
	v_pk_fma_f32 v[184:185], v[184:185], v[182:183], 0 op_sel_hi:[1,1,0]
	;; [unrolled: 1-line block ×5, first 2 shown]
	v_pk_fma_f32 v[184:185], v[190:191], v[178:179], v[184:185]
	v_pk_mul_f32 v[188:189], v[188:189], v[100:101]
	v_pk_fma_f32 v[0:1], v[4:5], v[178:179], v[0:1]
	v_pk_mul_f32 v[2:3], v[2:3], v[112:113]
	v_pk_fma_f32 v[184:185], v[184:185], v[98:99], v[188:189] neg_lo:[0,0,1] neg_hi:[0,0,1]
	v_pk_fma_f32 v[0:1], v[0:1], v[110:111], v[2:3] neg_lo:[0,0,1] neg_hi:[0,0,1]
	s_add_i32 s1, s0, 8
	v_pk_add_f32 v[68:69], v[68:69], v[184:185]
	v_pk_add_f32 v[84:85], v[84:85], v[0:1]
	s_cmp_lt_u32 s0, 24
	s_mov_b32 s0, s1
	s_cbranch_scc1 .LBB153_8
; %bb.9:                                ;   in Loop: Header=BB153_5 Depth=1
	s_add_i32 s7, s7, 1
	s_cmp_eq_u32 s7, s4
	s_barrier
	s_cbranch_scc0 .LBB153_5
; %bb.10:
	v_cvt_pk_f16_f32 v21, v60, v61
	v_cvt_pk_f16_f32 v20, v86, v87
	;; [unrolled: 1-line block ×16, first 2 shown]
	v_mov_b32_e32 v5, v23
.LBB153_11:
	v_cmp_gt_u32_e32 vcc, s8, v25
	s_and_saveexec_b64 s[0:1], vcc
	s_cbranch_execz .LBB153_62
; %bb.12:
	v_add_u32_e32 v0, s6, v17
	v_mul_lo_u32 v17, v25, s10
	v_cmp_gt_u32_e32 vcc, s10, v0
	s_and_saveexec_b64 s[0:1], vcc
	s_cbranch_execz .LBB153_14
; %bb.13:
	v_add_u32_e32 v6, v0, v17
	v_mov_b32_e32 v7, 0
	s_waitcnt lgkmcnt(0)
	v_lshl_add_u64 v[6:7], v[6:7], 1, s[12:13]
	global_store_short v[6:7], v21, off
.LBB153_14:
	s_or_b64 exec, exec, s[0:1]
	v_add_u32_e32 v6, 32, v0
	v_cmp_gt_u32_e64 s[0:1], s10, v6
	s_and_saveexec_b64 s[2:3], s[0:1]
	s_cbranch_execz .LBB153_16
; %bb.15:
	v_add_u32_e32 v22, v6, v17
	v_mov_b32_e32 v23, 0
	s_waitcnt lgkmcnt(0)
	v_lshl_add_u64 v[22:23], v[22:23], 1, s[12:13]
	global_store_short v[22:23], v20, off
.LBB153_16:
	s_or_b64 exec, exec, s[2:3]
	v_add_u32_e32 v7, 64, v0
	v_cmp_gt_u32_e64 s[2:3], s10, v7
	s_and_saveexec_b64 s[4:5], s[2:3]
	;; [unrolled: 12-line block ×3, first 2 shown]
	s_cbranch_execz .LBB153_20
; %bb.19:
	v_add_u32_e32 v22, v8, v17
	v_mov_b32_e32 v23, 0
	s_waitcnt lgkmcnt(0)
	v_lshl_add_u64 v[22:23], v[22:23], 1, s[12:13]
	global_store_short v[22:23], v18, off
.LBB153_20:
	s_or_b64 exec, exec, s[6:7]
	v_add3_u32 v17, v5, s11, 8
	v_cmp_gt_u32_e64 s[6:7], s8, v17
	s_and_b64 exec, exec, s[6:7]
	s_cbranch_execz .LBB153_62
; %bb.21:
	v_mul_lo_u32 v17, v17, s10
	s_and_saveexec_b64 s[6:7], vcc
	s_cbranch_execnz .LBB153_63
; %bb.22:
	s_or_b64 exec, exec, s[6:7]
	s_and_saveexec_b64 s[6:7], s[0:1]
	s_cbranch_execnz .LBB153_64
.LBB153_23:
	s_or_b64 exec, exec, s[6:7]
	s_and_saveexec_b64 s[6:7], s[2:3]
	s_cbranch_execnz .LBB153_65
.LBB153_24:
	s_or_b64 exec, exec, s[6:7]
	s_and_saveexec_b64 s[6:7], s[4:5]
	s_cbranch_execz .LBB153_26
.LBB153_25:
	v_add_u32_e32 v20, v17, v8
	v_mov_b32_e32 v21, 0
	s_waitcnt lgkmcnt(0)
	v_lshl_add_u64 v[20:21], v[20:21], 1, s[12:13]
	global_store_short_d16_hi v[20:21], v18, off
.LBB153_26:
	s_or_b64 exec, exec, s[6:7]
	v_add3_u32 v17, v5, s11, 16
	v_cmp_gt_u32_e64 s[6:7], s8, v17
	s_and_b64 exec, exec, s[6:7]
	s_cbranch_execz .LBB153_62
; %bb.27:
	v_mul_lo_u32 v17, v17, s10
	s_and_saveexec_b64 s[6:7], vcc
	s_cbranch_execnz .LBB153_66
; %bb.28:
	s_or_b64 exec, exec, s[6:7]
	s_and_saveexec_b64 s[6:7], s[0:1]
	s_cbranch_execnz .LBB153_67
.LBB153_29:
	s_or_b64 exec, exec, s[6:7]
	s_and_saveexec_b64 s[6:7], s[2:3]
	s_cbranch_execnz .LBB153_68
.LBB153_30:
	s_or_b64 exec, exec, s[6:7]
	s_and_saveexec_b64 s[6:7], s[4:5]
	s_cbranch_execz .LBB153_32
.LBB153_31:
	v_add_u32_e32 v18, v17, v8
	v_mov_b32_e32 v19, 0
	s_waitcnt lgkmcnt(0)
	v_lshl_add_u64 v[18:19], v[18:19], 1, s[12:13]
	global_store_short v[18:19], v13, off
.LBB153_32:
	s_or_b64 exec, exec, s[6:7]
	v_add3_u32 v17, v5, s11, 24
	v_cmp_gt_u32_e64 s[6:7], s8, v17
	s_and_b64 exec, exec, s[6:7]
	s_cbranch_execz .LBB153_62
; %bb.33:
	v_mul_lo_u32 v17, v17, s10
	s_and_saveexec_b64 s[6:7], vcc
	s_cbranch_execnz .LBB153_69
; %bb.34:
	s_or_b64 exec, exec, s[6:7]
	s_and_saveexec_b64 s[6:7], s[0:1]
	s_cbranch_execnz .LBB153_70
.LBB153_35:
	s_or_b64 exec, exec, s[6:7]
	s_and_saveexec_b64 s[6:7], s[2:3]
	s_cbranch_execnz .LBB153_71
.LBB153_36:
	s_or_b64 exec, exec, s[6:7]
	s_and_saveexec_b64 s[6:7], s[4:5]
	s_cbranch_execz .LBB153_38
.LBB153_37:
	v_add_u32_e32 v14, v17, v8
	v_mov_b32_e32 v15, 0
	s_waitcnt lgkmcnt(0)
	v_lshl_add_u64 v[14:15], v[14:15], 1, s[12:13]
	global_store_short_d16_hi v[14:15], v13, off
.LBB153_38:
	s_or_b64 exec, exec, s[6:7]
	v_add3_u32 v13, v5, s11, 32
	v_cmp_gt_u32_e64 s[6:7], s8, v13
	s_and_b64 exec, exec, s[6:7]
	s_cbranch_execz .LBB153_62
; %bb.39:
	v_mul_lo_u32 v13, v13, s10
	s_and_saveexec_b64 s[6:7], vcc
	s_cbranch_execnz .LBB153_72
; %bb.40:
	s_or_b64 exec, exec, s[6:7]
	s_and_saveexec_b64 s[6:7], s[0:1]
	s_cbranch_execnz .LBB153_73
.LBB153_41:
	s_or_b64 exec, exec, s[6:7]
	s_and_saveexec_b64 s[6:7], s[2:3]
	s_cbranch_execnz .LBB153_74
.LBB153_42:
	s_or_b64 exec, exec, s[6:7]
	s_and_saveexec_b64 s[6:7], s[4:5]
	s_cbranch_execz .LBB153_44
.LBB153_43:
	v_add_u32_e32 v14, v13, v8
	v_mov_b32_e32 v15, 0
	s_waitcnt lgkmcnt(0)
	v_lshl_add_u64 v[14:15], v[14:15], 1, s[12:13]
	global_store_short v[14:15], v9, off
.LBB153_44:
	s_or_b64 exec, exec, s[6:7]
	v_add3_u32 v13, v5, s11, 40
	v_cmp_gt_u32_e64 s[6:7], s8, v13
	s_and_b64 exec, exec, s[6:7]
	s_cbranch_execz .LBB153_62
; %bb.45:
	v_mul_lo_u32 v13, v13, s10
	s_and_saveexec_b64 s[6:7], vcc
	s_cbranch_execnz .LBB153_75
; %bb.46:
	s_or_b64 exec, exec, s[6:7]
	s_and_saveexec_b64 s[6:7], s[0:1]
	s_cbranch_execnz .LBB153_76
.LBB153_47:
	s_or_b64 exec, exec, s[6:7]
	s_and_saveexec_b64 s[6:7], s[2:3]
	s_cbranch_execnz .LBB153_77
.LBB153_48:
	s_or_b64 exec, exec, s[6:7]
	s_and_saveexec_b64 s[6:7], s[4:5]
	s_cbranch_execz .LBB153_50
.LBB153_49:
	v_add_u32_e32 v10, v13, v8
	v_mov_b32_e32 v11, 0
	s_waitcnt lgkmcnt(0)
	v_lshl_add_u64 v[10:11], v[10:11], 1, s[12:13]
	global_store_short_d16_hi v[10:11], v9, off
.LBB153_50:
	s_or_b64 exec, exec, s[6:7]
	v_add3_u32 v9, v5, s11, 48
	v_cmp_gt_u32_e64 s[6:7], s8, v9
	s_and_b64 exec, exec, s[6:7]
	s_cbranch_execz .LBB153_62
; %bb.51:
	v_mul_lo_u32 v9, v9, s10
	s_and_saveexec_b64 s[6:7], vcc
	s_cbranch_execnz .LBB153_78
; %bb.52:
	s_or_b64 exec, exec, s[6:7]
	s_and_saveexec_b64 s[6:7], s[0:1]
	s_cbranch_execnz .LBB153_79
.LBB153_53:
	s_or_b64 exec, exec, s[6:7]
	s_and_saveexec_b64 s[6:7], s[2:3]
	s_cbranch_execnz .LBB153_80
.LBB153_54:
	s_or_b64 exec, exec, s[6:7]
	s_and_saveexec_b64 s[6:7], s[4:5]
	s_cbranch_execz .LBB153_56
.LBB153_55:
	v_add_u32_e32 v10, v9, v8
	v_mov_b32_e32 v11, 0
	s_waitcnt lgkmcnt(0)
	v_lshl_add_u64 v[10:11], v[10:11], 1, s[12:13]
	global_store_short v[10:11], v1, off
.LBB153_56:
	s_or_b64 exec, exec, s[6:7]
	v_add3_u32 v5, v5, s11, 56
	v_cmp_gt_u32_e64 s[6:7], s8, v5
	s_and_b64 exec, exec, s[6:7]
	s_cbranch_execz .LBB153_62
; %bb.57:
	v_mul_lo_u32 v5, v5, s10
	s_and_saveexec_b64 s[6:7], vcc
	s_cbranch_execnz .LBB153_81
; %bb.58:
	s_or_b64 exec, exec, s[6:7]
	s_and_saveexec_b64 s[6:7], s[0:1]
	s_cbranch_execnz .LBB153_82
.LBB153_59:
	s_or_b64 exec, exec, s[6:7]
	s_and_saveexec_b64 s[0:1], s[2:3]
	s_cbranch_execnz .LBB153_83
.LBB153_60:
	s_or_b64 exec, exec, s[0:1]
	s_and_b64 exec, exec, s[4:5]
	s_cbranch_execz .LBB153_62
.LBB153_61:
	v_add_u32_e32 v2, v5, v8
	v_mov_b32_e32 v3, 0
	s_waitcnt lgkmcnt(0)
	v_lshl_add_u64 v[2:3], v[2:3], 1, s[12:13]
	global_store_short_d16_hi v[2:3], v1, off
.LBB153_62:
	s_endpgm
.LBB153_63:
	v_add_u32_e32 v22, v17, v0
	v_mov_b32_e32 v23, 0
	s_waitcnt lgkmcnt(0)
	v_lshl_add_u64 v[22:23], v[22:23], 1, s[12:13]
	global_store_short_d16_hi v[22:23], v21, off
	s_or_b64 exec, exec, s[6:7]
	s_and_saveexec_b64 s[6:7], s[0:1]
	s_cbranch_execz .LBB153_23
.LBB153_64:
	v_add_u32_e32 v22, v17, v6
	v_mov_b32_e32 v23, 0
	s_waitcnt lgkmcnt(0)
	v_lshl_add_u64 v[22:23], v[22:23], 1, s[12:13]
	global_store_short_d16_hi v[22:23], v20, off
	s_or_b64 exec, exec, s[6:7]
	s_and_saveexec_b64 s[6:7], s[2:3]
	s_cbranch_execz .LBB153_24
.LBB153_65:
	v_add_u32_e32 v20, v17, v7
	v_mov_b32_e32 v21, 0
	s_waitcnt lgkmcnt(0)
	v_lshl_add_u64 v[20:21], v[20:21], 1, s[12:13]
	global_store_short_d16_hi v[20:21], v19, off
	s_or_b64 exec, exec, s[6:7]
	s_and_saveexec_b64 s[6:7], s[4:5]
	s_cbranch_execnz .LBB153_25
	s_branch .LBB153_26
.LBB153_66:
	v_add_u32_e32 v18, v17, v0
	v_mov_b32_e32 v19, 0
	s_waitcnt lgkmcnt(0)
	v_lshl_add_u64 v[18:19], v[18:19], 1, s[12:13]
	global_store_short v[18:19], v16, off
	s_or_b64 exec, exec, s[6:7]
	s_and_saveexec_b64 s[6:7], s[0:1]
	s_cbranch_execz .LBB153_29
.LBB153_67:
	v_add_u32_e32 v18, v17, v6
	v_mov_b32_e32 v19, 0
	s_waitcnt lgkmcnt(0)
	v_lshl_add_u64 v[18:19], v[18:19], 1, s[12:13]
	global_store_short v[18:19], v15, off
	s_or_b64 exec, exec, s[6:7]
	s_and_saveexec_b64 s[6:7], s[2:3]
	s_cbranch_execz .LBB153_30
.LBB153_68:
	v_add_u32_e32 v18, v17, v7
	v_mov_b32_e32 v19, 0
	s_waitcnt lgkmcnt(0)
	v_lshl_add_u64 v[18:19], v[18:19], 1, s[12:13]
	global_store_short v[18:19], v14, off
	s_or_b64 exec, exec, s[6:7]
	s_and_saveexec_b64 s[6:7], s[4:5]
	s_cbranch_execnz .LBB153_31
	s_branch .LBB153_32
.LBB153_69:
	v_add_u32_e32 v18, v17, v0
	v_mov_b32_e32 v19, 0
	s_waitcnt lgkmcnt(0)
	v_lshl_add_u64 v[18:19], v[18:19], 1, s[12:13]
	global_store_short_d16_hi v[18:19], v16, off
	s_or_b64 exec, exec, s[6:7]
	s_and_saveexec_b64 s[6:7], s[0:1]
	s_cbranch_execz .LBB153_35
.LBB153_70:
	v_add_u32_e32 v18, v17, v6
	v_mov_b32_e32 v19, 0
	s_waitcnt lgkmcnt(0)
	v_lshl_add_u64 v[18:19], v[18:19], 1, s[12:13]
	global_store_short_d16_hi v[18:19], v15, off
	s_or_b64 exec, exec, s[6:7]
	s_and_saveexec_b64 s[6:7], s[2:3]
	s_cbranch_execz .LBB153_36
.LBB153_71:
	v_add_u32_e32 v18, v17, v7
	v_mov_b32_e32 v19, 0
	s_waitcnt lgkmcnt(0)
	v_lshl_add_u64 v[18:19], v[18:19], 1, s[12:13]
	global_store_short_d16_hi v[18:19], v14, off
	s_or_b64 exec, exec, s[6:7]
	s_and_saveexec_b64 s[6:7], s[4:5]
	s_cbranch_execnz .LBB153_37
	s_branch .LBB153_38
.LBB153_72:
	v_add_u32_e32 v14, v13, v0
	v_mov_b32_e32 v15, 0
	s_waitcnt lgkmcnt(0)
	v_lshl_add_u64 v[14:15], v[14:15], 1, s[12:13]
	global_store_short v[14:15], v12, off
	s_or_b64 exec, exec, s[6:7]
	s_and_saveexec_b64 s[6:7], s[0:1]
	s_cbranch_execz .LBB153_41
.LBB153_73:
	v_add_u32_e32 v14, v13, v6
	v_mov_b32_e32 v15, 0
	s_waitcnt lgkmcnt(0)
	v_lshl_add_u64 v[14:15], v[14:15], 1, s[12:13]
	global_store_short v[14:15], v11, off
	s_or_b64 exec, exec, s[6:7]
	s_and_saveexec_b64 s[6:7], s[2:3]
	s_cbranch_execz .LBB153_42
.LBB153_74:
	v_add_u32_e32 v14, v13, v7
	v_mov_b32_e32 v15, 0
	s_waitcnt lgkmcnt(0)
	v_lshl_add_u64 v[14:15], v[14:15], 1, s[12:13]
	global_store_short v[14:15], v10, off
	s_or_b64 exec, exec, s[6:7]
	s_and_saveexec_b64 s[6:7], s[4:5]
	s_cbranch_execnz .LBB153_43
	s_branch .LBB153_44
.LBB153_75:
	v_add_u32_e32 v14, v13, v0
	v_mov_b32_e32 v15, 0
	s_waitcnt lgkmcnt(0)
	v_lshl_add_u64 v[14:15], v[14:15], 1, s[12:13]
	global_store_short_d16_hi v[14:15], v12, off
	s_or_b64 exec, exec, s[6:7]
	s_and_saveexec_b64 s[6:7], s[0:1]
	s_cbranch_execz .LBB153_47
.LBB153_76:
	v_add_u32_e32 v14, v13, v6
	v_mov_b32_e32 v15, 0
	s_waitcnt lgkmcnt(0)
	v_lshl_add_u64 v[14:15], v[14:15], 1, s[12:13]
	global_store_short_d16_hi v[14:15], v11, off
	s_or_b64 exec, exec, s[6:7]
	s_and_saveexec_b64 s[6:7], s[2:3]
	s_cbranch_execz .LBB153_48
.LBB153_77:
	v_add_u32_e32 v14, v13, v7
	v_mov_b32_e32 v15, 0
	s_waitcnt lgkmcnt(0)
	v_lshl_add_u64 v[14:15], v[14:15], 1, s[12:13]
	global_store_short_d16_hi v[14:15], v10, off
	s_or_b64 exec, exec, s[6:7]
	s_and_saveexec_b64 s[6:7], s[4:5]
	s_cbranch_execnz .LBB153_49
	s_branch .LBB153_50
.LBB153_78:
	v_add_u32_e32 v10, v9, v0
	v_mov_b32_e32 v11, 0
	s_waitcnt lgkmcnt(0)
	v_lshl_add_u64 v[10:11], v[10:11], 1, s[12:13]
	global_store_short v[10:11], v4, off
	s_or_b64 exec, exec, s[6:7]
	s_and_saveexec_b64 s[6:7], s[0:1]
	s_cbranch_execz .LBB153_53
.LBB153_79:
	v_add_u32_e32 v10, v9, v6
	v_mov_b32_e32 v11, 0
	s_waitcnt lgkmcnt(0)
	v_lshl_add_u64 v[10:11], v[10:11], 1, s[12:13]
	global_store_short v[10:11], v3, off
	s_or_b64 exec, exec, s[6:7]
	s_and_saveexec_b64 s[6:7], s[2:3]
	s_cbranch_execz .LBB153_54
.LBB153_80:
	v_add_u32_e32 v10, v9, v7
	v_mov_b32_e32 v11, 0
	s_waitcnt lgkmcnt(0)
	v_lshl_add_u64 v[10:11], v[10:11], 1, s[12:13]
	global_store_short v[10:11], v2, off
	s_or_b64 exec, exec, s[6:7]
	s_and_saveexec_b64 s[6:7], s[4:5]
	s_cbranch_execnz .LBB153_55
	s_branch .LBB153_56
.LBB153_81:
	v_add_u32_e32 v10, v5, v0
	v_mov_b32_e32 v11, 0
	s_waitcnt lgkmcnt(0)
	v_lshl_add_u64 v[10:11], v[10:11], 1, s[12:13]
	global_store_short_d16_hi v[10:11], v4, off
	s_or_b64 exec, exec, s[6:7]
	s_and_saveexec_b64 s[6:7], s[0:1]
	s_cbranch_execz .LBB153_59
.LBB153_82:
	v_add_u32_e32 v10, v5, v6
	v_mov_b32_e32 v11, 0
	s_waitcnt lgkmcnt(0)
	v_lshl_add_u64 v[10:11], v[10:11], 1, s[12:13]
	global_store_short_d16_hi v[10:11], v3, off
	s_or_b64 exec, exec, s[6:7]
	s_and_saveexec_b64 s[0:1], s[2:3]
	s_cbranch_execz .LBB153_60
.LBB153_83:
	v_add_u32_e32 v6, v5, v7
	v_mov_b32_e32 v7, 0
	s_waitcnt lgkmcnt(0)
	v_lshl_add_u64 v[6:7], v[6:7], 1, s[12:13]
	global_store_short_d16_hi v[6:7], v2, off
	s_or_b64 exec, exec, s[0:1]
	s_and_b64 exec, exec, s[4:5]
	s_cbranch_execnz .LBB153_61
	s_branch .LBB153_62
	.section	.rodata,"a",@progbits
	.p2align	6, 0x0
	.amdhsa_kernel _ZL12mul_mat_q5_KIN3c104HalfELb0EEvPKvS3_PT_iiiii
		.amdhsa_group_segment_fixed_size 45136
		.amdhsa_private_segment_fixed_size 0
		.amdhsa_kernarg_size 44
		.amdhsa_user_sgpr_count 2
		.amdhsa_user_sgpr_dispatch_ptr 0
		.amdhsa_user_sgpr_queue_ptr 0
		.amdhsa_user_sgpr_kernarg_segment_ptr 1
		.amdhsa_user_sgpr_dispatch_id 0
		.amdhsa_user_sgpr_kernarg_preload_length 0
		.amdhsa_user_sgpr_kernarg_preload_offset 0
		.amdhsa_user_sgpr_private_segment_size 0
		.amdhsa_uses_dynamic_stack 0
		.amdhsa_enable_private_segment 0
		.amdhsa_system_sgpr_workgroup_id_x 1
		.amdhsa_system_sgpr_workgroup_id_y 1
		.amdhsa_system_sgpr_workgroup_id_z 0
		.amdhsa_system_sgpr_workgroup_info 0
		.amdhsa_system_vgpr_workitem_id 1
		.amdhsa_next_free_vgpr 255
		.amdhsa_next_free_sgpr 96
		.amdhsa_accum_offset 256
		.amdhsa_reserve_vcc 1
		.amdhsa_float_round_mode_32 0
		.amdhsa_float_round_mode_16_64 0
		.amdhsa_float_denorm_mode_32 3
		.amdhsa_float_denorm_mode_16_64 3
		.amdhsa_dx10_clamp 1
		.amdhsa_ieee_mode 1
		.amdhsa_fp16_overflow 0
		.amdhsa_tg_split 0
		.amdhsa_exception_fp_ieee_invalid_op 0
		.amdhsa_exception_fp_denorm_src 0
		.amdhsa_exception_fp_ieee_div_zero 0
		.amdhsa_exception_fp_ieee_overflow 0
		.amdhsa_exception_fp_ieee_underflow 0
		.amdhsa_exception_fp_ieee_inexact 0
		.amdhsa_exception_int_div_zero 0
	.end_amdhsa_kernel
	.section	.text._ZL12mul_mat_q5_KIN3c104HalfELb0EEvPKvS3_PT_iiiii,"axG",@progbits,_ZL12mul_mat_q5_KIN3c104HalfELb0EEvPKvS3_PT_iiiii,comdat
.Lfunc_end153:
	.size	_ZL12mul_mat_q5_KIN3c104HalfELb0EEvPKvS3_PT_iiiii, .Lfunc_end153-_ZL12mul_mat_q5_KIN3c104HalfELb0EEvPKvS3_PT_iiiii
                                        ; -- End function
	.set _ZL12mul_mat_q5_KIN3c104HalfELb0EEvPKvS3_PT_iiiii.num_vgpr, 255
	.set _ZL12mul_mat_q5_KIN3c104HalfELb0EEvPKvS3_PT_iiiii.num_agpr, 0
	.set _ZL12mul_mat_q5_KIN3c104HalfELb0EEvPKvS3_PT_iiiii.numbered_sgpr, 21
	.set _ZL12mul_mat_q5_KIN3c104HalfELb0EEvPKvS3_PT_iiiii.num_named_barrier, 0
	.set _ZL12mul_mat_q5_KIN3c104HalfELb0EEvPKvS3_PT_iiiii.private_seg_size, 0
	.set _ZL12mul_mat_q5_KIN3c104HalfELb0EEvPKvS3_PT_iiiii.uses_vcc, 1
	.set _ZL12mul_mat_q5_KIN3c104HalfELb0EEvPKvS3_PT_iiiii.uses_flat_scratch, 0
	.set _ZL12mul_mat_q5_KIN3c104HalfELb0EEvPKvS3_PT_iiiii.has_dyn_sized_stack, 0
	.set _ZL12mul_mat_q5_KIN3c104HalfELb0EEvPKvS3_PT_iiiii.has_recursion, 0
	.set _ZL12mul_mat_q5_KIN3c104HalfELb0EEvPKvS3_PT_iiiii.has_indirect_call, 0
	.section	.AMDGPU.csdata,"",@progbits
; Kernel info:
; codeLenInByte = 16752
; TotalNumSgprs: 27
; NumVgprs: 255
; NumAgprs: 0
; TotalNumVgprs: 255
; ScratchSize: 0
; MemoryBound: 0
; FloatMode: 240
; IeeeMode: 1
; LDSByteSize: 45136 bytes/workgroup (compile time only)
; SGPRBlocks: 12
; VGPRBlocks: 31
; NumSGPRsForWavesPerEU: 102
; NumVGPRsForWavesPerEU: 255
; AccumOffset: 256
; Occupancy: 2
; WaveLimiterHint : 0
; COMPUTE_PGM_RSRC2:SCRATCH_EN: 0
; COMPUTE_PGM_RSRC2:USER_SGPR: 2
; COMPUTE_PGM_RSRC2:TRAP_HANDLER: 0
; COMPUTE_PGM_RSRC2:TGID_X_EN: 1
; COMPUTE_PGM_RSRC2:TGID_Y_EN: 1
; COMPUTE_PGM_RSRC2:TGID_Z_EN: 0
; COMPUTE_PGM_RSRC2:TIDIG_COMP_CNT: 1
; COMPUTE_PGM_RSRC3_GFX90A:ACCUM_OFFSET: 63
; COMPUTE_PGM_RSRC3_GFX90A:TG_SPLIT: 0
	.section	.text._ZL12mul_mat_q5_KIN3c104HalfELb1EEvPKvS3_PT_iiiii,"axG",@progbits,_ZL12mul_mat_q5_KIN3c104HalfELb1EEvPKvS3_PT_iiiii,comdat
	.globl	_ZL12mul_mat_q5_KIN3c104HalfELb1EEvPKvS3_PT_iiiii ; -- Begin function _ZL12mul_mat_q5_KIN3c104HalfELb1EEvPKvS3_PT_iiiii
	.p2align	8
	.type	_ZL12mul_mat_q5_KIN3c104HalfELb1EEvPKvS3_PT_iiiii,@function
_ZL12mul_mat_q5_KIN3c104HalfELb1EEvPKvS3_PT_iiiii: ; @_ZL12mul_mat_q5_KIN3c104HalfELb1EEvPKvS3_PT_iiiii
; %bb.0:
	s_load_dwordx4 s[8:11], s[0:1], 0x18
	s_load_dword s14, s[0:1], 0x28
	s_lshl_b32 s15, s3, 6
	v_bfe_u32 v28, v0, 10, 10
	s_waitcnt lgkmcnt(0)
	s_cmpk_gt_i32 s8, 0xff
	s_cbranch_scc1 .LBB154_2
; %bb.1:
	v_bfe_u32 v5, v0, 10, 10
	v_and_b32_e32 v6, 0x3ff, v0
	v_add_u32_e32 v7, s15, v5
	s_mov_b64 s[4:5], 0
	s_branch .LBB154_3
.LBB154_2:
	s_mov_b64 s[4:5], -1
                                        ; implicit-def: $vgpr5
                                        ; implicit-def: $vgpr6
                                        ; implicit-def: $vgpr7
.LBB154_3:
	s_load_dwordx2 s[12:13], s[0:1], 0x10
	s_lshl_b32 s6, s2, 7
	s_mov_b32 s7, 0
	v_mov_b32_e32 v1, 0
	s_andn2_b64 vcc, exec, s[4:5]
	v_mov_b32_e32 v9, 0
	v_mov_b32_e32 v13, 0
	;; [unrolled: 1-line block ×15, first 2 shown]
	s_cbranch_vccnz .LBB154_11
; %bb.4:
	s_ashr_i32 s4, s8, 31
	s_load_dwordx4 s[0:3], s[0:1], 0x0
	s_lshr_b32 s4, s4, 24
	s_add_i32 s4, s8, s4
	s_ashr_i32 s5, s11, 31
	s_ashr_i32 s4, s4, 8
	s_lshr_b32 s5, s5, 27
	s_add_i32 s5, s11, s5
	s_mul_i32 s8, s4, s6
	s_ashr_i32 s16, s5, 5
	s_mul_hi_i32 s11, s8, 0xb0
	s_mulk_i32 s8, 0xb0
	s_waitcnt lgkmcnt(0)
	s_add_u32 s8, s0, s8
	s_addc_u32 s11, s1, s11
	s_not_b32 s0, s6
	s_add_i32 s1, s9, s0
	v_lshlrev_b32_e32 v1, 1, v0
	v_and_b32_e32 v2, 7, v0
	v_min_i32_e32 v4, s1, v28
	v_bfe_u32 v3, v0, 2, 8
	v_and_or_b32 v1, v1, 48, v2
	v_mul_lo_u32 v2, v4, s4
	scratch_store_dwordx2 off, v[2:3], off  ; 8-byte Folded Spill
	v_lshlrev_b32_e32 v2, 2, v1
	s_movk_i32 s0, 0x104
	v_mad_u64_u32 v[4:5], s[18:19], v4, s0, v[2:3]
	scratch_store_dwordx2 off, v[4:5], off offset:8 ; 8-byte Folded Spill
	v_add_u32_e32 v5, 8, v28
	v_min_i32_e32 v1, s1, v5
	v_mad_u64_u32 v[6:7], s[18:19], v1, s0, v[2:3]
	scratch_store_dwordx2 off, v[6:7], off offset:24 ; 8-byte Folded Spill
	v_add_u32_e32 v7, 16, v28
	v_mul_lo_u32 v4, v1, s4
	v_min_i32_e32 v1, s1, v7
	v_add_u32_e32 v10, 24, v28
	scratch_store_dwordx2 off, v[4:5], off offset:16 ; 8-byte Folded Spill
	v_mul_lo_u32 v4, v1, s4
	v_mad_u64_u32 v[8:9], s[18:19], v1, s0, v[2:3]
	v_min_i32_e32 v1, s1, v10
	v_add_u32_e32 v11, 32, v28
	scratch_store_dwordx2 off, v[4:5], off offset:32 ; 8-byte Folded Spill
	scratch_store_dwordx2 off, v[8:9], off offset:40 ; 8-byte Folded Spill
	v_mul_lo_u32 v4, v1, s4
	v_mad_u64_u32 v[8:9], s[18:19], v1, s0, v[2:3]
	v_min_i32_e32 v1, s1, v11
	v_add_u32_e32 v12, 40, v28
	scratch_store_dwordx2 off, v[4:5], off offset:48 ; 8-byte Folded Spill
	;; [unrolled: 6-line block ×3, first 2 shown]
	scratch_store_dwordx2 off, v[8:9], off offset:72 ; 8-byte Folded Spill
	v_mul_lo_u32 v4, v1, s4
	v_mad_u64_u32 v[8:9], s[18:19], v1, s0, v[2:3]
	v_min_i32_e32 v1, s1, v13
	v_add_u32_e32 v14, 56, v28
	v_mul_lo_u32 v46, v1, s4
	v_mad_u64_u32 v[48:49], s[18:19], v1, s0, v[2:3]
	v_min_i32_e32 v1, s1, v14
	v_mul_lo_u32 v50, v1, s4
	v_mad_u64_u32 v[52:53], s[18:19], v1, s0, v[2:3]
	v_add_u32_e32 v1, 64, v28
	v_min_i32_e32 v1, s1, v1
	v_mul_lo_u32 v54, v1, s4
	v_mad_u64_u32 v[56:57], s[18:19], v1, s0, v[2:3]
	v_add_u32_e32 v1, 0x48, v28
	;; [unrolled: 4-line block ×8, first 2 shown]
	v_and_b32_e32 v36, 0x3ff, v0
	v_min_i32_e32 v1, s1, v1
	v_lshlrev_b32_e32 v29, 5, v28
	v_mul_lo_u32 v82, v1, s4
	v_mad_u64_u32 v[84:85], s[18:19], v1, s0, v[2:3]
	v_add_u32_e32 v1, v29, v36
	v_and_b32_e32 v1, 0x7f, v1
	v_min_i32_e32 v1, s1, v1
	v_ashrrev_i32_e32 v2, 31, v1
	v_lshrrev_b32_e32 v2, 27, v2
	v_add_u32_e32 v2, v1, v2
	v_ashrrev_i32_e32 v2, 5, v2
	v_mul_lo_u32 v86, v1, s4
	v_lshlrev_b32_e32 v2, 2, v2
	v_lshlrev_b32_e32 v1, 2, v1
	s_mov_b32 s9, 0xae40
	v_add3_u32 v33, v2, v1, s9
	v_and_b32_e32 v2, 3, v0
	v_and_b32_e32 v31, 6, v3
	v_lshl_add_u32 v1, v28, 3, v3
	v_add_u32_e32 v3, 0xfe, v2
	v_and_b32_e32 v3, 0xff, v3
	v_cmp_gt_u32_e32 vcc, 2, v2
	scratch_store_dwordx2 off, v[4:5], off offset:80 ; 8-byte Folded Spill
	scratch_store_dwordx2 off, v[8:9], off offset:88 ; 8-byte Folded Spill
	v_cndmask_b32_e32 v3, v3, v2, vcc
	v_cmp_ne_u32_e32 vcc, 0, v2
	v_lshlrev_b32_e32 v42, 1, v3
	v_lshlrev_b32_e32 v15, 2, v2
	v_addc_co_u32_e32 v4, vcc, 0, v3, vcc
	v_and_b32_e32 v3, 0x7f, v1
	v_min_i32_e32 v3, s1, v3
	v_ashrrev_i32_e32 v8, 31, v3
	v_lshrrev_b32_e32 v8, 29, v8
	v_add_u32_e32 v8, v3, v8
	v_ashrrev_i32_e32 v8, 3, v8
	v_lshlrev_b32_e32 v8, 2, v8
	s_mov_b32 s17, 0xa200
	v_add3_u32 v17, v8, v15, s17
	v_mov_b32_e32 v8, 0x7f
	v_bitop3_b32 v8, v1, 64, v8 bitop3:0x6c
	v_min_i32_e32 v8, s1, v8
	v_ashrrev_i32_e32 v9, 31, v8
	v_lshrrev_b32_e32 v9, 29, v9
	v_add_u32_e32 v9, v8, v9
	v_ashrrev_i32_e32 v9, 3, v9
	v_and_b32_e32 v24, 31, v0
	v_mov_b32_e32 v25, 0x8200
	v_and_b32_e32 v1, 63, v1
	v_lshlrev_b32_e32 v9, 2, v9
	v_add_u32_e32 v34, s15, v28
	s_add_i32 s1, s10, -1
	v_lshl_or_b32 v24, v24, 2, v25
	v_or_b32_e32 v25, s15, v1
	v_lshl_or_b32 v1, v1, 4, v15
	v_bfe_u32 v16, v0, 5, 5
	v_mul_lo_u32 v90, v8, s4
	v_add3_u32 v22, v9, v15, s17
	v_lshlrev_b32_e32 v23, 4, v8
	v_cvt_f64_i32_e32 v[8:9], s1
	v_add_u32_e32 v41, 0xaa40, v1
	v_bfe_u32 v43, v0, 3, 7
	v_cvt_f64_u32_e32 v[0:1], v34
	v_min_f64 v[0:1], v[0:1], v[8:9]
	v_cvt_i32_f64_e32 v0, v[0:1]
	v_mul_lo_u32 v45, s16, v0
	v_add_u32_e32 v0, 8, v34
	v_cvt_f64_u32_e32 v[0:1], v0
	v_min_f64 v[0:1], v[0:1], v[8:9]
	v_cvt_i32_f64_e32 v0, v[0:1]
	v_mul_lo_u32 v47, s16, v0
	v_add_u32_e32 v0, 16, v34
	;; [unrolled: 5-line block ×7, first 2 shown]
	v_cvt_f64_u32_e32 v[0:1], v0
	v_min_f64 v[0:1], v[0:1], v[8:9]
	v_lshlrev_b32_e32 v27, 2, v36
	v_cvt_i32_f64_e32 v0, v[0:1]
	v_lshlrev_b32_e32 v1, 2, v16
	v_add3_u32 v61, v1, v27, s9
	v_add_u32_e32 v1, 32, v36
	v_lshrrev_b32_e32 v63, 3, v1
	v_lshlrev_b32_e32 v8, 2, v1
	v_and_b32_e32 v1, 60, v63
	v_add3_u32 v65, v27, v1, s9
	v_add_u32_e32 v1, 64, v36
	v_lshrrev_b32_e32 v67, 3, v1
	v_lshlrev_b32_e32 v9, 2, v1
	v_and_b32_e32 v1, 60, v67
	v_add3_u32 v69, v27, v1, s9
	v_add_u32_e32 v1, 0x60, v36
	v_lshrrev_b32_e32 v71, 3, v1
	scratch_store_dword off, v34, off offset:104 ; 4-byte Folded Spill
	v_lshlrev_b32_e32 v34, 2, v1
	v_and_b32_e32 v1, 60, v71
	v_mul_lo_u32 v88, v3, s4
	v_lshlrev_b32_e32 v3, 4, v3
	v_min_i32_e32 v25, s1, v25
	v_add3_u32 v73, v27, v1, s9
	v_mov_b32_e32 v1, 0x2080
	v_mov_b32_e32 v19, 0
	v_and_b32_e32 v6, 4, v27
	v_cmp_lt_u32_e32 vcc, 1, v2
	v_mad_u64_u32 v[92:93], s[18:19], v25, s16, v[2:3]
	v_mad_u32_u24 v91, v36, s0, v1
	v_mov_b32_e32 v1, 0x4100
	v_and_b32_e32 v20, 28, v27
	v_mov_b32_e32 v21, v19
	v_cndmask_b32_e32 v40, 0, v6, vcc
	v_cndmask_b32_e64 v6, 0, 1, vcc
	scratch_store_dword off, v28, off offset:100 ; 4-byte Folded Spill
	v_lshlrev_b32_e32 v2, 7, v28
	v_lshlrev_b32_e32 v15, 7, v5
	;; [unrolled: 1-line block ×7, first 2 shown]
	v_mul_lo_u32 v59, s16, v0
	v_lshlrev_b32_e32 v0, 7, v14
	v_mad_u32_u24 v93, v36, s0, v1
	v_mov_b32_e32 v1, 0x6180
	v_mov_b32_e32 v94, v19
	;; [unrolled: 1-line block ×3, first 2 shown]
	s_movk_i32 s5, 0xb0
	v_and_b32_e32 v18, 0x7c, v27
	v_or_b32_e32 v35, 1, v31
	v_lshlrev_b32_e32 v75, 5, v5
	v_lshlrev_b32_e32 v77, 5, v7
	v_lshlrev_b32_e32 v79, 5, v10
	v_lshlrev_b32_e32 v81, 5, v11
	v_lshlrev_b32_e32 v83, 5, v12
	v_lshlrev_b32_e32 v85, 5, v13
	v_lshlrev_b32_e32 v87, 5, v14
	v_mul_u32_u24_e32 v89, 0x104, v36
	v_mad_u32_u24 v149, v36, s0, v1
	v_lshl_add_u64 v[96:97], s[2:3], 0, v[20:21]
	s_mov_b32 s9, 0x10101010
	v_lshlrev_b32_e32 v98, 2, v4
	v_mov_b32_e32 v99, v19
	v_lshlrev_b32_e32 v100, 2, v6
	v_mov_b32_e32 v101, v19
	s_mov_b32 s16, 0x30303030
	v_add_u32_e32 v151, v17, v3
	v_add_u32_e32 v197, v22, v23
	;; [unrolled: 1-line block ×10, first 2 shown]
	v_lshlrev_b32_e32 v245, 2, v8
	v_lshlrev_b32_e32 v246, 2, v9
	v_lshlrev_b32_e32 v247, 2, v34
	v_mov_b64_e32 v[108:109], v[94:95]
	v_mov_b64_e32 v[104:105], v[94:95]
	v_mov_b64_e32 v[102:103], v[94:95]
	v_mov_b64_e32 v[120:121], v[94:95]
	v_mov_b64_e32 v[114:115], v[94:95]
	v_mov_b64_e32 v[110:111], v[94:95]
	v_mov_b64_e32 v[106:107], v[94:95]
	v_mov_b64_e32 v[126:127], v[94:95]
	v_mov_b64_e32 v[122:123], v[94:95]
	v_mov_b64_e32 v[116:117], v[94:95]
	v_mov_b64_e32 v[112:113], v[94:95]
	v_mov_b64_e32 v[130:131], v[94:95]
	v_mov_b64_e32 v[128:129], v[94:95]
	v_mov_b64_e32 v[124:125], v[94:95]
	v_mov_b64_e32 v[118:119], v[94:95]
	scratch_store_dword off, v36, off offset:96 ; 4-byte Folded Spill
.LBB154_5:                              ; =>This Loop Header: Depth=1
                                        ;     Child Loop BB154_6 Depth 2
                                        ;     Child Loop BB154_8 Depth 2
	scratch_load_dwordx2 v[4:5], off, off   ; 8-byte Folded Reload
	s_mul_i32 s0, s7, 0xb0
	s_mul_hi_u32 s1, s7, 0xb0
	s_add_u32 s0, s8, s0
	s_addc_u32 s1, s11, s1
	v_mov_b64_e32 v[0:1], s[0:1]
	v_mad_u64_u32 v[2:3], s[0:1], v16, s5, v[0:1]
	s_lshl_b32 s17, s7, 3
	v_add_u32_e32 v161, s17, v92
	s_mov_b32 s19, 0
	s_waitcnt vmcnt(0)
	v_mad_i64_i32 v[4:5], s[0:1], v4, s5, v[2:3]
	v_lshl_add_u64 v[6:7], v[4:5], 0, v[18:19]
	global_load_dword v12, v[6:7], off offset:48
	v_lshl_add_u64 v[4:5], v[4:5], 0, v[20:21]
	scratch_load_dwordx2 v[6:7], off, off offset:16 ; 8-byte Folded Reload
	s_waitcnt vmcnt(0)
	v_mad_i64_i32 v[6:7], s[0:1], v6, s5, v[2:3]
	v_lshl_add_u64 v[8:9], v[6:7], 0, v[18:19]
	v_lshl_add_u64 v[6:7], v[6:7], 0, v[20:21]
	global_load_dword v13, v[4:5], off offset:16
	global_load_dword v14, v[8:9], off offset:48
	;; [unrolled: 1-line block ×3, first 2 shown]
	s_nop 0
	scratch_load_dwordx2 v[4:5], off, off offset:32 ; 8-byte Folded Reload
	v_mad_i64_i32 v[8:9], s[0:1], v58, s5, v[2:3]
	s_waitcnt vmcnt(0)
	v_mad_i64_i32 v[4:5], s[0:1], v4, s5, v[2:3]
	v_lshl_add_u64 v[6:7], v[4:5], 0, v[18:19]
	v_lshl_add_u64 v[4:5], v[4:5], 0, v[20:21]
	global_load_dword v17, v[6:7], off offset:48
	global_load_dword v22, v[4:5], off offset:16
	s_nop 0
	scratch_load_dwordx2 v[4:5], off, off offset:48 ; 8-byte Folded Reload
	s_waitcnt vmcnt(0)
	v_mad_i64_i32 v[4:5], s[0:1], v4, s5, v[2:3]
	v_lshl_add_u64 v[6:7], v[4:5], 0, v[18:19]
	v_lshl_add_u64 v[4:5], v[4:5], 0, v[20:21]
	global_load_dword v23, v[6:7], off offset:48
	global_load_dword v24, v[4:5], off offset:16
	s_nop 0
	scratch_load_dwordx2 v[4:5], off, off offset:64 ; 8-byte Folded Reload
	;; [unrolled: 8-line block ×3, first 2 shown]
	s_waitcnt vmcnt(0)
	v_mad_i64_i32 v[4:5], s[0:1], v4, s5, v[2:3]
	v_lshl_add_u64 v[6:7], v[4:5], 0, v[18:19]
	v_lshl_add_u64 v[4:5], v[4:5], 0, v[20:21]
	global_load_dword v28, v[6:7], off offset:48
	global_load_dword v30, v[4:5], off offset:16
	v_mad_i64_i32 v[4:5], s[0:1], v46, s5, v[2:3]
	v_lshl_add_u64 v[6:7], v[4:5], 0, v[18:19]
	global_load_dword v32, v[6:7], off offset:48
	v_mad_i64_i32 v[6:7], s[0:1], v50, s5, v[2:3]
	v_lshl_add_u64 v[4:5], v[4:5], 0, v[20:21]
	v_lshl_add_u64 v[10:11], v[6:7], 0, v[18:19]
	;; [unrolled: 1-line block ×3, first 2 shown]
	global_load_dword v34, v[4:5], off offset:16
	global_load_dword v36, v[10:11], off offset:48
	global_load_dword v37, v[6:7], off offset:16
	v_mad_i64_i32 v[4:5], s[0:1], v54, s5, v[2:3]
	v_lshl_add_u64 v[10:11], v[4:5], 0, v[18:19]
	v_lshl_add_u64 v[4:5], v[4:5], 0, v[20:21]
	v_lshl_add_u64 v[6:7], v[8:9], 0, v[18:19]
	global_load_dword v38, v[10:11], off offset:48
	global_load_dword v39, v[4:5], off offset:16
	;; [unrolled: 1-line block ×3, first 2 shown]
	v_and_b32_e32 v4, 0xf0f0f0f, v12
	v_lshrrev_b32_e32 v5, 4, v12
	v_ashrrev_i32_e32 v6, v31, v13
	v_ashrrev_i32_e32 v7, v35, v13
	v_lshrrev_b32_e32 v11, 4, v14
	v_ashrrev_i32_e32 v12, v31, v15
	v_ashrrev_i32_e32 v13, v35, v15
	v_and_b32_e32 v10, 0xf0f0f0f, v14
	v_and_b32_e32 v5, 0xf0f0f0f, v5
	v_lshlrev_b32_e32 v6, 4, v6
	v_lshlrev_b32_e32 v7, 4, v7
	v_and_b32_e32 v11, 0xf0f0f0f, v11
	v_lshlrev_b32_e32 v12, 4, v12
	v_lshlrev_b32_e32 v13, 4, v13
	v_and_or_b32 v4, v6, s9, v4
	v_and_or_b32 v5, v7, s9, v5
	v_and_or_b32 v6, v12, s9, v10
	v_and_or_b32 v7, v13, s9, v11
	scratch_load_dwordx2 v[10:11], off, off offset:8 ; 8-byte Folded Reload
	v_and_b32_e32 v14, 0xf0f0f0f, v17
	v_lshrrev_b32_e32 v15, 4, v17
	v_ashrrev_i32_e32 v17, v31, v22
	v_ashrrev_i32_e32 v22, v35, v22
	v_and_b32_e32 v15, 0xf0f0f0f, v15
	v_lshlrev_b32_e32 v17, 4, v17
	s_waitcnt vmcnt(0)
	ds_write2_b32 v10, v4, v5 offset1:8
	scratch_load_dwordx2 v[4:5], off, off offset:24 ; 8-byte Folded Reload
	s_waitcnt vmcnt(0)
	ds_write2_b32 v4, v6, v7 offset1:8
	scratch_load_dwordx2 v[6:7], off, off offset:40 ; 8-byte Folded Reload
	v_lshl_add_u64 v[4:5], v[8:9], 0, v[20:21]
	global_load_dword v12, v[4:5], off offset:16
	v_lshlrev_b32_e32 v4, 4, v22
	v_and_or_b32 v5, v17, s9, v14
	v_and_or_b32 v4, v4, s9, v15
	s_waitcnt vmcnt(1)
	v_ashrrev_i32_e32 v7, v35, v24
	v_lshlrev_b32_e32 v7, 4, v7
	v_mad_i64_i32 v[8:9], s[0:1], v66, s5, v[2:3]
	v_lshl_add_u64 v[10:11], v[8:9], 0, v[18:19]
	v_lshl_add_u64 v[8:9], v[8:9], 0, v[20:21]
	ds_write2_b32 v6, v5, v4 offset1:8
	v_lshrrev_b32_e32 v5, 4, v23
	v_ashrrev_i32_e32 v6, v31, v24
	v_and_b32_e32 v4, 0xf0f0f0f, v23
	v_and_b32_e32 v5, 0xf0f0f0f, v5
	v_lshlrev_b32_e32 v6, 4, v6
	v_and_or_b32 v4, v6, s9, v4
	v_and_or_b32 v5, v7, s9, v5
	scratch_load_dwordx2 v[6:7], off, off offset:56 ; 8-byte Folded Reload
	s_waitcnt vmcnt(0)
	v_ashrrev_i32_e32 v7, v35, v26
	v_lshlrev_b32_e32 v7, 4, v7
	ds_write2_b32 v6, v4, v5 offset1:8
	v_lshrrev_b32_e32 v5, 4, v25
	v_ashrrev_i32_e32 v6, v31, v26
	v_and_b32_e32 v4, 0xf0f0f0f, v25
	v_and_b32_e32 v5, 0xf0f0f0f, v5
	v_lshlrev_b32_e32 v6, 4, v6
	v_and_or_b32 v4, v6, s9, v4
	v_and_or_b32 v5, v7, s9, v5
	scratch_load_dwordx2 v[6:7], off, off offset:72 ; 8-byte Folded Reload
	s_waitcnt vmcnt(0)
	v_ashrrev_i32_e32 v7, v35, v30
	v_lshlrev_b32_e32 v7, 4, v7
	;; [unrolled: 12-line block ×3, first 2 shown]
	ds_write2_b32 v6, v4, v5 offset1:8
	v_lshrrev_b32_e32 v5, 4, v32
	v_ashrrev_i32_e32 v6, v31, v34
	v_and_b32_e32 v4, 0xf0f0f0f, v32
	v_and_b32_e32 v5, 0xf0f0f0f, v5
	v_lshlrev_b32_e32 v6, 4, v6
	v_and_or_b32 v4, v6, s9, v4
	v_and_or_b32 v5, v7, s9, v5
	ds_write2_b32 v48, v4, v5 offset1:8
	v_lshrrev_b32_e32 v5, 4, v36
	v_ashrrev_i32_e32 v6, v31, v37
	v_ashrrev_i32_e32 v7, v35, v37
	v_and_b32_e32 v4, 0xf0f0f0f, v36
	v_and_b32_e32 v5, 0xf0f0f0f, v5
	v_lshlrev_b32_e32 v6, 4, v6
	v_lshlrev_b32_e32 v7, 4, v7
	v_and_or_b32 v4, v6, s9, v4
	v_and_or_b32 v5, v7, s9, v5
	ds_write2_b32 v52, v4, v5 offset1:8
	v_mad_i64_i32 v[4:5], s[0:1], v62, s5, v[2:3]
	v_lshl_add_u64 v[6:7], v[4:5], 0, v[18:19]
	v_lshl_add_u64 v[4:5], v[4:5], 0, v[20:21]
	global_load_dword v17, v[6:7], off offset:48
	global_load_dword v24, v[4:5], off offset:16
	;; [unrolled: 1-line block ×4, first 2 shown]
	v_lshrrev_b32_e32 v5, 4, v38
	v_ashrrev_i32_e32 v6, v31, v39
	v_ashrrev_i32_e32 v7, v35, v39
	v_and_b32_e32 v4, 0xf0f0f0f, v38
	v_and_b32_e32 v5, 0xf0f0f0f, v5
	v_lshlrev_b32_e32 v6, 4, v6
	v_lshlrev_b32_e32 v7, 4, v7
	v_and_or_b32 v4, v6, s9, v4
	v_and_or_b32 v5, v7, s9, v5
	ds_write2_b32 v56, v4, v5 offset1:8
	v_lshrrev_b32_e32 v5, 4, v132
	v_ashrrev_i32_e32 v6, v31, v12
	v_ashrrev_i32_e32 v7, v35, v12
	v_and_b32_e32 v4, 0xf0f0f0f, v132
	v_and_b32_e32 v5, 0xf0f0f0f, v5
	v_lshlrev_b32_e32 v6, 4, v6
	v_lshlrev_b32_e32 v7, 4, v7
	v_and_or_b32 v4, v6, s9, v4
	v_and_or_b32 v5, v7, s9, v5
	ds_write2_b32 v60, v4, v5 offset1:8
	v_mad_i64_i32 v[4:5], s[0:1], v70, s5, v[2:3]
	v_mad_i64_i32 v[8:9], s[0:1], v74, s5, v[2:3]
	;; [unrolled: 1-line block ×4, first 2 shown]
	v_lshl_add_u64 v[6:7], v[4:5], 0, v[18:19]
	v_lshl_add_u64 v[22:23], v[2:3], 0, v[18:19]
	;; [unrolled: 1-line block ×8, first 2 shown]
	global_load_dword v28, v[6:7], off offset:48
	global_load_dword v30, v[4:5], off offset:16
	;; [unrolled: 1-line block ×6, first 2 shown]
	s_nop 0
	global_load_dword v22, v[22:23], off offset:48
	s_nop 0
	global_load_dword v23, v[2:3], off offset:16
	v_mad_i64_i32 v[2:3], s[0:1], v86, s5, v[0:1]
	v_mad_i64_i32 v[4:5], s[0:1], v88, s5, v[0:1]
	;; [unrolled: 1-line block ×3, first 2 shown]
	v_lshl_add_u64 v[6:7], v[4:5], 0, v[98:99]
	v_lshl_add_u64 v[4:5], v[4:5], 0, v[100:101]
	;; [unrolled: 1-line block ×4, first 2 shown]
	global_load_dword v38, v[2:3], off
	global_load_dword v39, v[6:7], off offset:4
	global_load_dword v132, v[4:5], off offset:4
	;; [unrolled: 1-line block ×4, first 2 shown]
	v_add_u32_e32 v14, s17, v43
	v_add_u32_e32 v0, v14, v45
	;; [unrolled: 1-line block ×6, first 2 shown]
	v_mad_i64_i32 v[0:1], s[0:1], v0, 36, v[96:97]
	v_mad_i64_i32 v[2:3], s[0:1], v2, 36, v[96:97]
	;; [unrolled: 1-line block ×5, first 2 shown]
	v_add_u32_e32 v10, v14, v55
	v_add_u32_e32 v12, v14, v57
	;; [unrolled: 1-line block ×3, first 2 shown]
	v_mad_i64_i32 v[10:11], s[0:1], v10, 36, v[96:97]
	v_mad_i64_i32 v[12:13], s[0:1], v12, 36, v[96:97]
	;; [unrolled: 1-line block ×3, first 2 shown]
	global_load_dword v135, v[0:1], off offset:4
	s_nop 0
	global_load_dword v2, v[2:3], off offset:4
	s_nop 0
	;; [unrolled: 2-line block ×3, first 2 shown]
	global_load_dword v4, v[6:7], off offset:4
	global_load_dword v5, v[8:9], off offset:4
	s_nop 0
	global_load_dword v6, v[10:11], off offset:4
	global_load_dword v7, v[12:13], off offset:4
	;; [unrolled: 1-line block ×3, first 2 shown]
	v_mad_u64_u32 v[0:1], s[0:1], v161, 36, s[2:3]
	global_load_dword v0, v[0:1], off
	s_waitcnt vmcnt(25)
	v_lshrrev_b32_e32 v9, 4, v17
	s_waitcnt vmcnt(24)
	v_ashrrev_i32_e32 v10, v31, v24
	v_ashrrev_i32_e32 v11, v35, v24
	v_and_b32_e32 v1, 0xf0f0f0f, v17
	v_and_b32_e32 v9, 0xf0f0f0f, v9
	v_lshlrev_b32_e32 v10, 4, v10
	v_lshlrev_b32_e32 v11, 4, v11
	v_and_or_b32 v1, v10, s9, v1
	v_and_or_b32 v9, v11, s9, v9
	ds_write2_b32 v64, v1, v9 offset1:8
	s_waitcnt vmcnt(23)
	v_lshrrev_b32_e32 v9, 4, v25
	s_waitcnt vmcnt(22)
	v_ashrrev_i32_e32 v10, v31, v26
	v_ashrrev_i32_e32 v11, v35, v26
	v_and_b32_e32 v1, 0xf0f0f0f, v25
	v_and_b32_e32 v9, 0xf0f0f0f, v9
	v_lshlrev_b32_e32 v10, 4, v10
	v_lshlrev_b32_e32 v11, 4, v11
	v_and_or_b32 v1, v10, s9, v1
	v_and_or_b32 v9, v11, s9, v9
	ds_write2_b32 v68, v1, v9 offset1:8
	s_mov_b64 s[0:1], -1
	s_waitcnt vmcnt(21)
	v_lshrrev_b32_e32 v9, 4, v28
	s_waitcnt vmcnt(20)
	v_ashrrev_i32_e32 v10, v31, v30
	v_ashrrev_i32_e32 v11, v35, v30
	v_and_b32_e32 v1, 0xf0f0f0f, v28
	v_and_b32_e32 v9, 0xf0f0f0f, v9
	v_lshlrev_b32_e32 v10, 4, v10
	v_lshlrev_b32_e32 v11, 4, v11
	v_and_or_b32 v1, v10, s9, v1
	v_and_or_b32 v9, v11, s9, v9
	ds_write2_b32 v72, v1, v9 offset1:8
	s_waitcnt vmcnt(19)
	v_lshrrev_b32_e32 v9, 4, v32
	s_waitcnt vmcnt(18)
	v_ashrrev_i32_e32 v10, v31, v34
	v_ashrrev_i32_e32 v11, v35, v34
	v_and_b32_e32 v1, 0xf0f0f0f, v32
	v_and_b32_e32 v9, 0xf0f0f0f, v9
	v_lshlrev_b32_e32 v10, 4, v10
	v_lshlrev_b32_e32 v11, 4, v11
	v_and_or_b32 v1, v10, s9, v1
	v_and_or_b32 v9, v11, s9, v9
	ds_write2_b32 v76, v1, v9 offset1:8
	;; [unrolled: 12-line block ×4, first 2 shown]
	s_waitcnt vmcnt(13)
	ds_write_b32 v33, v38
	s_waitcnt vmcnt(12)
	v_ashrrev_i32_e32 v1, v40, v39
	v_and_b32_e32 v1, 0xf0f0f0f, v1
	s_waitcnt vmcnt(11)
	v_ashrrev_i32_e32 v9, v42, v132
	v_and_or_b32 v1, v9, s16, v1
	ds_write_b32 v151, v1
	s_waitcnt vmcnt(10)
	v_ashrrev_i32_e32 v1, v40, v133
	v_and_b32_e32 v1, 0xf0f0f0f, v1
	s_waitcnt vmcnt(9)
	v_ashrrev_i32_e32 v9, v42, v134
	v_and_or_b32 v1, v9, s16, v1
	ds_write_b32 v197, v1
	s_waitcnt vmcnt(8)
	ds_write_b32 v221, v135
	s_waitcnt vmcnt(7)
	;; [unrolled: 2-line block ×9, first 2 shown]
	ds_write_b32 v41, v0
	s_waitcnt lgkmcnt(0)
	s_barrier
	ds_read_b32 v0, v61
	ds_read_b32 v1, v65 offset:128
	ds_read_b32 v2, v69 offset:256
	;; [unrolled: 1-line block ×3, first 2 shown]
	s_waitcnt lgkmcnt(3)
	v_cvt_f32_f16_e32 v132, v0
	v_cvt_f32_f16_sdwa v134, v0 dst_sel:DWORD dst_unused:UNUSED_PAD src0_sel:WORD_1
	s_waitcnt lgkmcnt(2)
	v_cvt_f32_f16_e32 v136, v1
	v_cvt_f32_f16_sdwa v138, v1 dst_sel:DWORD dst_unused:UNUSED_PAD src0_sel:WORD_1
	;; [unrolled: 3-line block ×4, first 2 shown]
	v_mov_b32_e32 v133, v132
	v_mov_b32_e32 v135, v134
	;; [unrolled: 1-line block ×8, first 2 shown]
.LBB154_6:                              ;   Parent Loop BB154_5 Depth=1
                                        ; =>  This Inner Loop Header: Depth=2
	s_lshl_b32 s18, s19, 1
	s_lshr_b32 s20, s19, 2
	v_or_b32_e32 v0, s18, v29
	s_add_i32 s20, s20, 0xa200
	v_lshlrev_b32_e32 v1, 2, v0
	v_lshrrev_b32_e32 v17, 1, v0
	v_lshlrev_b32_e32 v248, 2, v43
	v_lshlrev_b32_e32 v249, 2, v27
	s_lshl_b32 s19, s19, 3
	ds_read_b128 v[12:15], v1 offset:33280
	ds_read_b128 v[8:11], v1 offset:33296
	;; [unrolled: 1-line block ×4, first 2 shown]
	ds_read_b64 v[228:229], v17 offset:43584
	v_add3_u32 v17, s20, v248, v249
	v_add_u32_e32 v22, s19, v89
	ds_read2_b32 v[212:213], v22 offset1:1
	ds_read2_b32 v[214:215], v22 offset0:2 offset1:3
	ds_read2_b32 v[216:217], v22 offset0:4 offset1:5
	ds_read2_b32 v[218:219], v22 offset0:6 offset1:7
	ds_read_u16 v23, v17
	ds_read_u16 v17, v17 offset:8
	v_lshlrev_b32_e32 v250, 2, v63
	ds_read2_b32 v[204:205], v22 offset0:8 offset1:9
	ds_read2_b32 v[222:223], v22 offset0:10 offset1:11
	;; [unrolled: 1-line block ×4, first 2 shown]
	s_waitcnt lgkmcnt(4)
	v_cvt_f32_ubyte0_e32 v186, v17
	v_cvt_f32_ubyte1_e32 v220, v17
	v_add3_u32 v17, s20, v250, v245
	v_add_u32_e32 v22, s19, v91
	v_and_b32_e32 v254, 0xff, v23
	v_lshrrev_b16_e32 v25, 8, v23
	ds_read2_b32 v[164:165], v22 offset1:1
	ds_read2_b32 v[174:175], v22 offset0:2 offset1:3
	ds_read2_b32 v[176:177], v22 offset0:4 offset1:5
	;; [unrolled: 1-line block ×3, first 2 shown]
	ds_read_u16 v23, v17
	ds_read_u16 v17, v17 offset:8
	v_lshlrev_b32_e32 v251, 2, v67
	ds_read2_b32 v[166:167], v22 offset0:8 offset1:9
	ds_read2_b32 v[198:199], v22 offset0:10 offset1:11
	ds_read2_b32 v[200:201], v22 offset0:12 offset1:13
	ds_read2_b32 v[202:203], v22 offset0:14 offset1:15
	s_waitcnt lgkmcnt(4)
	v_cvt_f32_ubyte0_e32 v160, v17
	v_cvt_f32_ubyte1_e32 v194, v17
	v_add3_u32 v17, s20, v251, v246
	v_add_u32_e32 v22, s19, v93
	ds_read2_b32 v[168:169], v22 offset1:1
	ds_read2_b32 v[180:181], v22 offset0:2 offset1:3
	ds_read2_b32 v[182:183], v22 offset0:4 offset1:5
	;; [unrolled: 1-line block ×3, first 2 shown]
	ds_read_u16 v28, v17
	ds_read_u16 v36, v17 offset:8
	v_mov_b32_e32 v26, 0
	v_mov_b32_e32 v24, 0
	v_and_b32_e32 v195, 0xff, v23
	v_lshrrev_b16_e32 v255, 8, v23
	s_waitcnt lgkmcnt(0)
	v_cvt_f32_ubyte0_e32 v162, v36
	v_cvt_f32_ubyte1_e32 v196, v36
	v_add_u32_e32 v36, s19, v149
	ds_read2_b32 v[172:173], v36 offset1:1
	ds_read2_b32 v[188:189], v36 offset0:2 offset1:3
	ds_read2_b32 v[190:191], v36 offset0:4 offset1:5
	;; [unrolled: 1-line block ×3, first 2 shown]
	v_mov_b32_e32 v23, 0
	ds_read2_b32 v[170:171], v22 offset0:8 offset1:9
	ds_read2_b32 v[206:207], v22 offset0:10 offset1:11
	;; [unrolled: 1-line block ×4, first 2 shown]
	v_mov_b32_e32 v22, 0
	v_dot4c_i32_i8_e32 v26, v212, v12
	v_dot4c_i32_i8_e32 v24, v164, v12
	;; [unrolled: 1-line block ×3, first 2 shown]
	s_waitcnt lgkmcnt(7)
	v_dot4c_i32_i8_e32 v22, v172, v12
	v_dot4c_i32_i8_e32 v26, v213, v13
	;; [unrolled: 1-line block ×8, first 2 shown]
	s_waitcnt lgkmcnt(6)
	v_dot4c_i32_i8_e32 v22, v188, v14
	v_dot4c_i32_i8_e32 v26, v215, v15
	;; [unrolled: 1-line block ×4, first 2 shown]
	v_lshlrev_b32_e32 v252, 2, v71
	v_dot4c_i32_i8_e32 v22, v189, v15
	v_dot4c_i32_i8_e32 v26, v216, v8
	;; [unrolled: 1-line block ×4, first 2 shown]
	v_and_b32_e32 v253, 0xff, v28
	v_lshrrev_b16_e32 v17, 8, v28
	v_add3_u32 v28, s20, v252, v247
	s_waitcnt lgkmcnt(5)
	v_dot4c_i32_i8_e32 v22, v190, v8
	v_dot4c_i32_i8_e32 v26, v217, v9
	;; [unrolled: 1-line block ×5, first 2 shown]
	ds_read_u16 v8, v28
	ds_read_u16 v9, v28 offset:8
	ds_read2_b32 v[158:159], v36 offset0:8 offset1:9
	ds_read2_b32 v[152:153], v36 offset0:10 offset1:11
	ds_read2_b32 v[154:155], v36 offset0:12 offset1:13
	ds_read2_b32 v[156:157], v36 offset0:14 offset1:15
	v_mov_b32_e32 v34, 0
	v_mov_b32_e32 v32, 0
	;; [unrolled: 1-line block ×4, first 2 shown]
	v_dot4c_i32_i8_e32 v34, v204, v4
	v_dot4c_i32_i8_e32 v32, v166, v4
	s_waitcnt lgkmcnt(9)
	v_dot4c_i32_i8_e32 v30, v170, v4
	s_waitcnt lgkmcnt(3)
	v_dot4c_i32_i8_e32 v28, v158, v4
	v_dot4c_i32_i8_e32 v34, v205, v5
	v_dot4c_i32_i8_e32 v32, v167, v5
	v_dot4c_i32_i8_e32 v30, v171, v5
	v_dot4c_i32_i8_e32 v28, v159, v5
	v_dot4c_i32_i8_e32 v34, v222, v6
	v_dot4c_i32_i8_e32 v32, v198, v6
	v_dot4c_i32_i8_e32 v30, v206, v6
	s_waitcnt lgkmcnt(2)
	v_dot4c_i32_i8_e32 v28, v152, v6
	v_dot4c_i32_i8_e32 v34, v223, v7
	;; [unrolled: 1-line block ×8, first 2 shown]
	s_waitcnt lgkmcnt(1)
	v_dot4c_i32_i8_e32 v28, v154, v0
	v_dot4c_i32_i8_e32 v34, v225, v1
	;; [unrolled: 1-line block ×5, first 2 shown]
	v_or_b32_e32 v0, s18, v75
	v_dot4c_i32_i8_e32 v26, v218, v10
	v_dot4c_i32_i8_e32 v34, v226, v2
	;; [unrolled: 1-line block ×7, first 2 shown]
	s_waitcnt lgkmcnt(0)
	v_dot4c_i32_i8_e32 v28, v156, v2
	v_lshlrev_b32_e32 v1, 2, v0
	v_dot4c_i32_i8_e32 v26, v219, v11
	v_dot4c_i32_i8_e32 v34, v227, v3
	v_dot4c_i32_i8_e32 v24, v179, v11
	v_dot4c_i32_i8_e32 v32, v203, v3
	v_dot4c_i32_i8_e32 v23, v185, v11
	v_dot4c_i32_i8_e32 v30, v211, v3
	v_dot4c_i32_i8_e32 v22, v193, v11
	v_and_b32_e32 v187, 0xff, v8
	v_cvt_f32_ubyte0_e32 v150, v9
	v_dot4c_i32_i8_e32 v28, v157, v3
	v_lshrrev_b16_e32 v163, 8, v8
	v_cvt_f32_ubyte1_e32 v148, v9
	v_lshrrev_b32_e32 v36, 1, v0
	ds_read_b128 v[12:15], v1 offset:33280
	ds_read_b128 v[8:11], v1 offset:33296
	;; [unrolled: 1-line block ×4, first 2 shown]
	ds_read_b64 v[232:233], v36 offset:43584
	v_mov_b32_e32 v38, 0
	v_mov_b32_e32 v36, 0
	s_waitcnt lgkmcnt(2)
	v_dot4c_i32_i8_e32 v38, v204, v4
	v_dot4c_i32_i8_e32 v38, v205, v5
	;; [unrolled: 1-line block ×7, first 2 shown]
	s_waitcnt lgkmcnt(1)
	v_dot4c_i32_i8_e32 v38, v224, v0
	v_dot4c_i32_i8_e32 v36, v215, v15
	;; [unrolled: 1-line block ×5, first 2 shown]
	v_mul_lo_u32 v26, v26, v254
	v_dot4c_i32_i8_e32 v36, v217, v9
	v_dot4c_i32_i8_e32 v38, v227, v3
	v_cvt_f32_f16_e32 v234, v228
	v_cvt_f32_f16_sdwa v236, v228 dst_sel:DWORD dst_unused:UNUSED_PAD src0_sel:WORD_1
	v_cvt_f32_i32_e32 v228, v26
	v_mul_lo_u32 v26, v34, v25
	v_dot4c_i32_i8_e32 v36, v218, v10
	v_mul_lo_u32 v34, v38, v25
	v_cvt_f32_i32_e32 v38, v26
	v_mov_b32_e32 v26, 0
	v_dot4c_i32_i8_e32 v36, v219, v11
	v_cvt_f32_i32_e32 v39, v34
	v_dot4c_i32_i8_e32 v26, v164, v12
	v_mov_b32_e32 v34, 0
	s_waitcnt lgkmcnt(0)
	v_cvt_f32_f16_sdwa v237, v232 dst_sel:DWORD dst_unused:UNUSED_PAD src0_sel:WORD_1
	v_mul_lo_u32 v36, v36, v254
	v_dot4c_i32_i8_e32 v26, v165, v13
	v_dot4c_i32_i8_e32 v34, v166, v4
	v_cvt_f32_f16_e32 v235, v232
	v_cvt_f32_f16_e32 v231, v233
	;; [unrolled: 1-line block ×3, first 2 shown]
	v_cvt_f32_f16_sdwa v233, v233 dst_sel:DWORD dst_unused:UNUSED_PAD src0_sel:WORD_1
	v_cvt_f32_f16_sdwa v232, v229 dst_sel:DWORD dst_unused:UNUSED_PAD src0_sel:WORD_1
	v_cvt_f32_i32_e32 v229, v36
	v_dot4c_i32_i8_e32 v26, v174, v14
	v_dot4c_i32_i8_e32 v34, v167, v5
	;; [unrolled: 1-line block ×6, first 2 shown]
	v_pk_fma_f32 v[36:37], v[186:187], v[236:237], 0 op_sel_hi:[0,1,0]
	v_dot4c_i32_i8_e32 v26, v177, v9
	v_dot4c_i32_i8_e32 v34, v200, v0
	v_pk_fma_f32 v[228:229], v[234:235], v[228:229], 0 op_sel_hi:[1,1,0]
	v_pk_fma_f32 v[36:37], v[220:221], v[232:233], v[36:37] op_sel_hi:[0,1,1]
	v_dot4c_i32_i8_e32 v26, v178, v10
	v_dot4c_i32_i8_e32 v34, v201, v1
	v_pk_fma_f32 v[38:39], v[230:231], v[38:39], v[228:229]
	v_pk_mul_f32 v[36:37], v[36:37], v[134:135]
	v_dot4c_i32_i8_e32 v26, v179, v11
	v_dot4c_i32_i8_e32 v34, v202, v2
	v_pk_fma_f32 v[36:37], v[38:39], v[132:133], v[36:37] neg_lo:[0,0,1] neg_hi:[0,0,1]
	v_dot4c_i32_i8_e32 v34, v203, v3
	v_mul_lo_u32 v24, v24, v195
	v_mul_lo_u32 v26, v26, v195
	v_pk_add_f32 v[94:95], v[94:95], v[36:37]
	v_cvt_f32_i32_e32 v37, v26
	v_cvt_f32_i32_e32 v36, v24
	v_mul_lo_u32 v24, v32, v255
	v_mul_lo_u32 v26, v34, v255
	v_cvt_f32_i32_e32 v229, v26
	v_cvt_f32_i32_e32 v228, v24
	v_pk_fma_f32 v[38:39], v[160:161], v[236:237], 0 op_sel_hi:[0,1,0]
	v_pk_fma_f32 v[36:37], v[234:235], v[36:37], 0 op_sel_hi:[1,1,0]
	v_pk_fma_f32 v[38:39], v[194:195], v[232:233], v[38:39] op_sel_hi:[0,1,1]
	v_pk_fma_f32 v[36:37], v[230:231], v[228:229], v[36:37]
	v_pk_mul_f32 v[38:39], v[38:39], v[138:139]
	v_mul_lo_u32 v23, v23, v253
	v_pk_fma_f32 v[36:37], v[36:37], v[136:137], v[38:39] neg_lo:[0,0,1] neg_hi:[0,0,1]
	v_mov_b32_e32 v24, 0
	v_pk_add_f32 v[120:121], v[120:121], v[36:37]
	v_cvt_f32_i32_e32 v36, v23
	v_mul_lo_u32 v23, v30, v17
	v_cvt_f32_i32_e32 v228, v23
	v_mov_b32_e32 v23, 0
	v_dot4c_i32_i8_e32 v24, v168, v12
	v_dot4c_i32_i8_e32 v23, v172, v12
	v_dot4c_i32_i8_e32 v24, v169, v13
	v_dot4c_i32_i8_e32 v23, v173, v13
	v_dot4c_i32_i8_e32 v24, v180, v14
	v_dot4c_i32_i8_e32 v23, v188, v14
	v_dot4c_i32_i8_e32 v24, v181, v15
	v_dot4c_i32_i8_e32 v23, v189, v15
	v_dot4c_i32_i8_e32 v24, v182, v8
	v_dot4c_i32_i8_e32 v23, v190, v8
	v_mov_b32_e32 v8, 0
	v_dot4c_i32_i8_e32 v8, v158, v4
	v_mov_b32_e32 v26, 0
	v_dot4c_i32_i8_e32 v8, v159, v5
	v_dot4c_i32_i8_e32 v26, v170, v4
	;; [unrolled: 1-line block ×16, first 2 shown]
	v_mul_lo_u32 v0, v22, v187
	v_mul_lo_u32 v1, v23, v187
	v_dot4c_i32_i8_e32 v24, v183, v9
	v_cvt_f32_i32_e32 v1, v1
	v_cvt_f32_i32_e32 v0, v0
	v_mul_lo_u32 v4, v28, v163
	v_mul_lo_u32 v5, v8, v163
	v_dot4c_i32_i8_e32 v24, v184, v10
	v_cvt_f32_i32_e32 v5, v5
	v_cvt_f32_i32_e32 v4, v4
	v_dot4c_i32_i8_e32 v24, v185, v11
	v_dot4c_i32_i8_e32 v26, v210, v2
	v_dot4c_i32_i8_e32 v26, v211, v3
	v_pk_fma_f32 v[2:3], v[150:151], v[236:237], 0 op_sel_hi:[0,1,0]
	v_mul_lo_u32 v24, v24, v253
	v_cvt_f32_i32_e32 v37, v24
	v_mul_lo_u32 v24, v26, v17
	v_pk_fma_f32 v[0:1], v[234:235], v[0:1], 0 op_sel_hi:[1,1,0]
	v_pk_fma_f32 v[2:3], v[148:149], v[232:233], v[2:3] op_sel_hi:[0,1,1]
	v_cvt_f32_i32_e32 v229, v24
	v_pk_fma_f32 v[0:1], v[230:231], v[4:5], v[0:1]
	v_pk_mul_f32 v[2:3], v[2:3], v[146:147]
	v_pk_fma_f32 v[36:37], v[234:235], v[36:37], 0 op_sel_hi:[1,1,0]
	v_pk_fma_f32 v[0:1], v[0:1], v[144:145], v[2:3] neg_lo:[0,0,1] neg_hi:[0,0,1]
	v_pk_fma_f32 v[36:37], v[230:231], v[228:229], v[36:37]
	v_pk_add_f32 v[130:131], v[130:131], v[0:1]
	v_or_b32_e32 v0, s18, v77
	v_lshlrev_b32_e32 v1, 2, v0
	v_lshrrev_b32_e32 v22, 1, v0
	ds_read_b128 v[12:15], v1 offset:33280
	ds_read_b128 v[8:11], v1 offset:33296
	;; [unrolled: 1-line block ×4, first 2 shown]
	ds_read_b64 v[228:229], v22 offset:43584
	v_mov_b32_e32 v28, 0
	v_mov_b32_e32 v30, 0
	v_mov_b32_e32 v32, 0
	v_mov_b32_e32 v34, 0
	v_mov_b32_e32 v24, 0
	v_mov_b32_e32 v26, 0
	v_mov_b32_e32 v22, 0
	v_mov_b32_e32 v23, 0
	s_waitcnt lgkmcnt(4)
	v_dot4c_i32_i8_e32 v28, v212, v12
	s_waitcnt lgkmcnt(2)
	v_dot4c_i32_i8_e32 v30, v204, v4
	v_dot4c_i32_i8_e32 v32, v164, v12
	;; [unrolled: 1-line block ×15, first 2 shown]
	v_pk_fma_f32 v[38:39], v[162:163], v[236:237], 0 op_sel_hi:[0,1,0]
	v_dot4c_i32_i8_e32 v28, v214, v14
	v_dot4c_i32_i8_e32 v30, v222, v6
	;; [unrolled: 1-line block ×8, first 2 shown]
	v_pk_fma_f32 v[38:39], v[196:197], v[232:233], v[38:39] op_sel_hi:[0,1,1]
	v_dot4c_i32_i8_e32 v28, v215, v15
	v_dot4c_i32_i8_e32 v30, v223, v7
	;; [unrolled: 1-line block ×8, first 2 shown]
	v_pk_mul_f32 v[38:39], v[38:39], v[142:143]
	v_dot4c_i32_i8_e32 v28, v216, v8
	s_waitcnt lgkmcnt(1)
	v_dot4c_i32_i8_e32 v30, v224, v0
	v_dot4c_i32_i8_e32 v32, v176, v8
	;; [unrolled: 1-line block ×7, first 2 shown]
	v_pk_fma_f32 v[36:37], v[36:37], v[140:141], v[38:39] neg_lo:[0,0,1] neg_hi:[0,0,1]
	v_dot4c_i32_i8_e32 v28, v217, v9
	v_dot4c_i32_i8_e32 v30, v225, v1
	;; [unrolled: 1-line block ×8, first 2 shown]
	v_or_b32_e32 v0, s18, v79
	v_pk_add_f32 v[126:127], v[126:127], v[36:37]
	v_dot4c_i32_i8_e32 v28, v218, v10
	v_dot4c_i32_i8_e32 v30, v226, v2
	;; [unrolled: 1-line block ×8, first 2 shown]
	v_lshlrev_b32_e32 v1, 2, v0
	v_lshrrev_b32_e32 v36, 1, v0
	v_dot4c_i32_i8_e32 v28, v219, v11
	v_dot4c_i32_i8_e32 v30, v227, v3
	;; [unrolled: 1-line block ×8, first 2 shown]
	ds_read_b128 v[12:15], v1 offset:33280
	ds_read_b128 v[8:11], v1 offset:33296
	;; [unrolled: 1-line block ×4, first 2 shown]
	ds_read_b64 v[36:37], v36 offset:43584
	v_mov_b32_e32 v38, 0
	s_waitcnt lgkmcnt(4)
	v_dot4c_i32_i8_e32 v38, v212, v12
	v_dot4c_i32_i8_e32 v38, v213, v13
	v_mov_b32_e32 v44, 0
	v_dot4c_i32_i8_e32 v38, v214, v14
	s_waitcnt lgkmcnt(2)
	v_dot4c_i32_i8_e32 v44, v204, v4
	v_dot4c_i32_i8_e32 v38, v215, v15
	;; [unrolled: 1-line block ×8, first 2 shown]
	s_waitcnt lgkmcnt(1)
	v_dot4c_i32_i8_e32 v44, v224, v0
	v_dot4c_i32_i8_e32 v38, v219, v11
	;; [unrolled: 1-line block ×4, first 2 shown]
	s_waitcnt lgkmcnt(0)
	v_cvt_f32_f16_e32 v235, v36
	v_cvt_f32_f16_sdwa v237, v36 dst_sel:DWORD dst_unused:UNUSED_PAD src0_sel:WORD_1
	v_mul_lo_u32 v28, v28, v254
	v_mul_lo_u32 v36, v38, v254
	v_dot4c_i32_i8_e32 v44, v227, v3
	v_cvt_f32_f16_e32 v231, v37
	v_cvt_f32_f16_sdwa v233, v37 dst_sel:DWORD dst_unused:UNUSED_PAD src0_sel:WORD_1
	v_cvt_f32_i32_e32 v37, v36
	v_cvt_f32_i32_e32 v36, v28
	v_mul_lo_u32 v28, v30, v25
	v_cvt_f32_f16_e32 v234, v228
	v_cvt_f32_f16_sdwa v236, v228 dst_sel:DWORD dst_unused:UNUSED_PAD src0_sel:WORD_1
	v_mul_lo_u32 v30, v44, v25
	v_cvt_f32_i32_e32 v228, v28
	v_mov_b32_e32 v28, 0
	v_cvt_f32_f16_e32 v230, v229
	v_cvt_f32_f16_sdwa v232, v229 dst_sel:DWORD dst_unused:UNUSED_PAD src0_sel:WORD_1
	v_cvt_f32_i32_e32 v229, v30
	v_dot4c_i32_i8_e32 v28, v164, v12
	v_mov_b32_e32 v30, 0
	v_dot4c_i32_i8_e32 v28, v165, v13
	v_dot4c_i32_i8_e32 v30, v166, v4
	;; [unrolled: 1-line block ×8, first 2 shown]
	v_pk_fma_f32 v[38:39], v[186:187], v[236:237], 0 op_sel_hi:[0,1,0]
	v_dot4c_i32_i8_e32 v28, v177, v9
	v_dot4c_i32_i8_e32 v30, v200, v0
	v_pk_fma_f32 v[36:37], v[36:37], v[234:235], 0 op_sel_hi:[1,1,0]
	v_pk_fma_f32 v[38:39], v[220:221], v[232:233], v[38:39] op_sel_hi:[0,1,1]
	v_dot4c_i32_i8_e32 v28, v178, v10
	v_dot4c_i32_i8_e32 v30, v201, v1
	v_pk_fma_f32 v[36:37], v[228:229], v[230:231], v[36:37]
	v_pk_mul_f32 v[38:39], v[38:39], v[134:135]
	v_dot4c_i32_i8_e32 v28, v179, v11
	v_dot4c_i32_i8_e32 v30, v202, v2
	v_pk_fma_f32 v[36:37], v[36:37], v[132:133], v[38:39] neg_lo:[0,0,1] neg_hi:[0,0,1]
	v_dot4c_i32_i8_e32 v30, v203, v3
	v_mul_lo_u32 v32, v32, v195
	v_mul_lo_u32 v28, v28, v195
	v_pk_add_f32 v[108:109], v[108:109], v[36:37]
	v_cvt_f32_i32_e32 v37, v28
	v_cvt_f32_i32_e32 v36, v32
	v_mul_lo_u32 v28, v34, v255
	v_mul_lo_u32 v30, v30, v255
	v_cvt_f32_i32_e32 v229, v30
	v_cvt_f32_i32_e32 v228, v28
	v_pk_fma_f32 v[38:39], v[160:161], v[236:237], 0 op_sel_hi:[0,1,0]
	v_pk_fma_f32 v[36:37], v[36:37], v[234:235], 0 op_sel_hi:[1,1,0]
	;; [unrolled: 1-line block ×3, first 2 shown]
	v_pk_fma_f32 v[36:37], v[228:229], v[230:231], v[36:37]
	v_pk_mul_f32 v[38:39], v[38:39], v[138:139]
	v_mul_lo_u32 v24, v24, v253
	v_pk_fma_f32 v[36:37], v[36:37], v[136:137], v[38:39] neg_lo:[0,0,1] neg_hi:[0,0,1]
	v_mov_b32_e32 v28, 0
	v_pk_add_f32 v[114:115], v[114:115], v[36:37]
	v_cvt_f32_i32_e32 v36, v24
	v_mul_lo_u32 v24, v26, v17
	v_cvt_f32_i32_e32 v228, v24
	v_mov_b32_e32 v24, 0
	v_dot4c_i32_i8_e32 v28, v168, v12
	v_dot4c_i32_i8_e32 v24, v172, v12
	;; [unrolled: 1-line block ×10, first 2 shown]
	v_mov_b32_e32 v8, 0
	v_dot4c_i32_i8_e32 v8, v158, v4
	v_mov_b32_e32 v30, 0
	v_dot4c_i32_i8_e32 v8, v159, v5
	v_dot4c_i32_i8_e32 v30, v170, v4
	;; [unrolled: 1-line block ×16, first 2 shown]
	v_mul_lo_u32 v0, v22, v187
	v_mul_lo_u32 v1, v24, v187
	v_dot4c_i32_i8_e32 v28, v183, v9
	v_cvt_f32_i32_e32 v1, v1
	v_cvt_f32_i32_e32 v0, v0
	v_mul_lo_u32 v4, v23, v163
	v_mul_lo_u32 v5, v8, v163
	v_dot4c_i32_i8_e32 v28, v184, v10
	v_cvt_f32_i32_e32 v5, v5
	v_cvt_f32_i32_e32 v4, v4
	v_dot4c_i32_i8_e32 v28, v185, v11
	v_dot4c_i32_i8_e32 v30, v210, v2
	;; [unrolled: 1-line block ×3, first 2 shown]
	v_pk_fma_f32 v[2:3], v[150:151], v[236:237], 0 op_sel_hi:[0,1,0]
	v_mul_lo_u32 v28, v28, v253
	v_cvt_f32_i32_e32 v37, v28
	v_mul_lo_u32 v26, v30, v17
	v_pk_fma_f32 v[0:1], v[0:1], v[234:235], 0 op_sel_hi:[1,1,0]
	v_pk_fma_f32 v[2:3], v[148:149], v[232:233], v[2:3] op_sel_hi:[0,1,1]
	v_cvt_f32_i32_e32 v229, v26
	v_pk_fma_f32 v[0:1], v[4:5], v[230:231], v[0:1]
	v_pk_mul_f32 v[2:3], v[2:3], v[146:147]
	v_pk_fma_f32 v[36:37], v[36:37], v[234:235], 0 op_sel_hi:[1,1,0]
	v_pk_fma_f32 v[0:1], v[0:1], v[144:145], v[2:3] neg_lo:[0,0,1] neg_hi:[0,0,1]
	v_pk_fma_f32 v[36:37], v[228:229], v[230:231], v[36:37]
	v_pk_add_f32 v[128:129], v[128:129], v[0:1]
	v_or_b32_e32 v0, s18, v81
	v_lshlrev_b32_e32 v1, 2, v0
	v_lshrrev_b32_e32 v22, 1, v0
	ds_read_b128 v[12:15], v1 offset:33280
	ds_read_b128 v[8:11], v1 offset:33296
	;; [unrolled: 1-line block ×4, first 2 shown]
	ds_read_b64 v[228:229], v22 offset:43584
	v_mov_b32_e32 v32, 0
	v_mov_b32_e32 v34, 0
	;; [unrolled: 1-line block ×8, first 2 shown]
	s_waitcnt lgkmcnt(4)
	v_dot4c_i32_i8_e32 v32, v212, v12
	s_waitcnt lgkmcnt(2)
	v_dot4c_i32_i8_e32 v34, v204, v4
	v_dot4c_i32_i8_e32 v28, v164, v12
	;; [unrolled: 1-line block ×15, first 2 shown]
	v_pk_fma_f32 v[38:39], v[162:163], v[236:237], 0 op_sel_hi:[0,1,0]
	v_dot4c_i32_i8_e32 v32, v214, v14
	v_dot4c_i32_i8_e32 v34, v222, v6
	;; [unrolled: 1-line block ×8, first 2 shown]
	v_pk_fma_f32 v[38:39], v[196:197], v[232:233], v[38:39] op_sel_hi:[0,1,1]
	v_dot4c_i32_i8_e32 v32, v215, v15
	v_dot4c_i32_i8_e32 v34, v223, v7
	;; [unrolled: 1-line block ×8, first 2 shown]
	v_pk_mul_f32 v[38:39], v[38:39], v[142:143]
	v_dot4c_i32_i8_e32 v32, v216, v8
	s_waitcnt lgkmcnt(1)
	v_dot4c_i32_i8_e32 v34, v224, v0
	v_dot4c_i32_i8_e32 v28, v176, v8
	;; [unrolled: 1-line block ×7, first 2 shown]
	v_pk_fma_f32 v[36:37], v[36:37], v[140:141], v[38:39] neg_lo:[0,0,1] neg_hi:[0,0,1]
	v_dot4c_i32_i8_e32 v32, v217, v9
	v_dot4c_i32_i8_e32 v34, v225, v1
	;; [unrolled: 1-line block ×8, first 2 shown]
	v_or_b32_e32 v0, s18, v83
	v_pk_add_f32 v[122:123], v[122:123], v[36:37]
	v_dot4c_i32_i8_e32 v32, v218, v10
	v_dot4c_i32_i8_e32 v34, v226, v2
	;; [unrolled: 1-line block ×8, first 2 shown]
	v_lshlrev_b32_e32 v1, 2, v0
	v_lshrrev_b32_e32 v36, 1, v0
	v_dot4c_i32_i8_e32 v32, v219, v11
	v_dot4c_i32_i8_e32 v34, v227, v3
	;; [unrolled: 1-line block ×8, first 2 shown]
	ds_read_b128 v[12:15], v1 offset:33280
	ds_read_b128 v[8:11], v1 offset:33296
	ds_read_b128 v[4:7], v1 offset:33312
	ds_read_b128 v[0:3], v1 offset:33328
	ds_read_b64 v[36:37], v36 offset:43584
	v_mov_b32_e32 v38, 0
	s_waitcnt lgkmcnt(4)
	v_dot4c_i32_i8_e32 v38, v212, v12
	v_dot4c_i32_i8_e32 v38, v213, v13
	v_mov_b32_e32 v44, 0
	v_dot4c_i32_i8_e32 v38, v214, v14
	s_waitcnt lgkmcnt(2)
	v_dot4c_i32_i8_e32 v44, v204, v4
	v_dot4c_i32_i8_e32 v38, v215, v15
	;; [unrolled: 1-line block ×8, first 2 shown]
	s_waitcnt lgkmcnt(1)
	v_dot4c_i32_i8_e32 v44, v224, v0
	v_dot4c_i32_i8_e32 v38, v219, v11
	;; [unrolled: 1-line block ×4, first 2 shown]
	s_waitcnt lgkmcnt(0)
	v_cvt_f32_f16_e32 v235, v36
	v_cvt_f32_f16_sdwa v237, v36 dst_sel:DWORD dst_unused:UNUSED_PAD src0_sel:WORD_1
	v_mul_lo_u32 v32, v32, v254
	v_mul_lo_u32 v36, v38, v254
	v_dot4c_i32_i8_e32 v44, v227, v3
	v_cvt_f32_f16_e32 v231, v37
	v_cvt_f32_f16_sdwa v233, v37 dst_sel:DWORD dst_unused:UNUSED_PAD src0_sel:WORD_1
	v_cvt_f32_i32_e32 v37, v36
	v_cvt_f32_i32_e32 v36, v32
	v_mul_lo_u32 v32, v34, v25
	v_cvt_f32_f16_e32 v234, v228
	v_cvt_f32_f16_sdwa v236, v228 dst_sel:DWORD dst_unused:UNUSED_PAD src0_sel:WORD_1
	v_mul_lo_u32 v34, v44, v25
	v_cvt_f32_i32_e32 v228, v32
	v_mov_b32_e32 v32, 0
	v_cvt_f32_f16_e32 v230, v229
	v_cvt_f32_f16_sdwa v232, v229 dst_sel:DWORD dst_unused:UNUSED_PAD src0_sel:WORD_1
	v_cvt_f32_i32_e32 v229, v34
	v_dot4c_i32_i8_e32 v32, v164, v12
	v_mov_b32_e32 v34, 0
	v_dot4c_i32_i8_e32 v32, v165, v13
	v_dot4c_i32_i8_e32 v34, v166, v4
	;; [unrolled: 1-line block ×8, first 2 shown]
	v_pk_fma_f32 v[38:39], v[186:187], v[236:237], 0 op_sel_hi:[0,1,0]
	v_dot4c_i32_i8_e32 v32, v177, v9
	v_dot4c_i32_i8_e32 v34, v200, v0
	v_pk_fma_f32 v[36:37], v[36:37], v[234:235], 0 op_sel_hi:[1,1,0]
	v_pk_fma_f32 v[38:39], v[220:221], v[232:233], v[38:39] op_sel_hi:[0,1,1]
	v_dot4c_i32_i8_e32 v32, v178, v10
	v_dot4c_i32_i8_e32 v34, v201, v1
	v_pk_fma_f32 v[36:37], v[228:229], v[230:231], v[36:37]
	v_pk_mul_f32 v[38:39], v[38:39], v[134:135]
	v_dot4c_i32_i8_e32 v32, v179, v11
	v_dot4c_i32_i8_e32 v34, v202, v2
	v_pk_fma_f32 v[36:37], v[36:37], v[132:133], v[38:39] neg_lo:[0,0,1] neg_hi:[0,0,1]
	v_dot4c_i32_i8_e32 v34, v203, v3
	v_mul_lo_u32 v28, v28, v195
	v_mul_lo_u32 v32, v32, v195
	v_pk_add_f32 v[104:105], v[104:105], v[36:37]
	v_cvt_f32_i32_e32 v37, v32
	v_cvt_f32_i32_e32 v36, v28
	v_mul_lo_u32 v28, v30, v255
	v_mul_lo_u32 v30, v34, v255
	v_cvt_f32_i32_e32 v229, v30
	v_cvt_f32_i32_e32 v228, v28
	v_pk_fma_f32 v[38:39], v[160:161], v[236:237], 0 op_sel_hi:[0,1,0]
	v_pk_fma_f32 v[36:37], v[36:37], v[234:235], 0 op_sel_hi:[1,1,0]
	;; [unrolled: 1-line block ×3, first 2 shown]
	v_pk_fma_f32 v[36:37], v[228:229], v[230:231], v[36:37]
	v_pk_mul_f32 v[38:39], v[38:39], v[138:139]
	v_mul_lo_u32 v24, v24, v253
	v_pk_fma_f32 v[36:37], v[36:37], v[136:137], v[38:39] neg_lo:[0,0,1] neg_hi:[0,0,1]
	v_mov_b32_e32 v28, 0
	v_pk_add_f32 v[110:111], v[110:111], v[36:37]
	v_cvt_f32_i32_e32 v36, v24
	v_mul_lo_u32 v24, v26, v17
	v_cvt_f32_i32_e32 v228, v24
	v_mov_b32_e32 v24, 0
	v_dot4c_i32_i8_e32 v28, v168, v12
	v_dot4c_i32_i8_e32 v24, v172, v12
	;; [unrolled: 1-line block ×10, first 2 shown]
	v_mov_b32_e32 v8, 0
	v_dot4c_i32_i8_e32 v8, v158, v4
	v_mov_b32_e32 v30, 0
	v_dot4c_i32_i8_e32 v8, v159, v5
	v_dot4c_i32_i8_e32 v30, v170, v4
	;; [unrolled: 1-line block ×16, first 2 shown]
	v_mul_lo_u32 v0, v23, v187
	v_mul_lo_u32 v1, v24, v187
	v_dot4c_i32_i8_e32 v28, v183, v9
	v_cvt_f32_i32_e32 v1, v1
	v_cvt_f32_i32_e32 v0, v0
	v_mul_lo_u32 v4, v22, v163
	v_mul_lo_u32 v5, v8, v163
	v_dot4c_i32_i8_e32 v28, v184, v10
	v_cvt_f32_i32_e32 v5, v5
	v_cvt_f32_i32_e32 v4, v4
	v_dot4c_i32_i8_e32 v28, v185, v11
	v_dot4c_i32_i8_e32 v30, v210, v2
	;; [unrolled: 1-line block ×3, first 2 shown]
	v_pk_fma_f32 v[2:3], v[150:151], v[236:237], 0 op_sel_hi:[0,1,0]
	v_mul_lo_u32 v28, v28, v253
	v_cvt_f32_i32_e32 v37, v28
	v_mul_lo_u32 v26, v30, v17
	v_pk_fma_f32 v[0:1], v[0:1], v[234:235], 0 op_sel_hi:[1,1,0]
	v_pk_fma_f32 v[2:3], v[148:149], v[232:233], v[2:3] op_sel_hi:[0,1,1]
	v_cvt_f32_i32_e32 v229, v26
	v_pk_fma_f32 v[0:1], v[4:5], v[230:231], v[0:1]
	v_pk_mul_f32 v[2:3], v[2:3], v[146:147]
	v_pk_fma_f32 v[36:37], v[36:37], v[234:235], 0 op_sel_hi:[1,1,0]
	v_pk_fma_f32 v[0:1], v[0:1], v[144:145], v[2:3] neg_lo:[0,0,1] neg_hi:[0,0,1]
	v_pk_fma_f32 v[36:37], v[228:229], v[230:231], v[36:37]
	v_pk_add_f32 v[124:125], v[124:125], v[0:1]
	v_or_b32_e32 v0, s18, v85
	v_lshlrev_b32_e32 v1, 2, v0
	v_lshrrev_b32_e32 v22, 1, v0
	ds_read_b128 v[12:15], v1 offset:33280
	ds_read_b128 v[8:11], v1 offset:33296
	;; [unrolled: 1-line block ×4, first 2 shown]
	ds_read_b64 v[228:229], v22 offset:43584
	v_mov_b32_e32 v24, 0
	v_mov_b32_e32 v26, 0
	;; [unrolled: 1-line block ×8, first 2 shown]
	s_waitcnt lgkmcnt(4)
	v_dot4c_i32_i8_e32 v24, v212, v12
	s_waitcnt lgkmcnt(2)
	v_dot4c_i32_i8_e32 v26, v204, v4
	v_dot4c_i32_i8_e32 v28, v164, v12
	;; [unrolled: 1-line block ×23, first 2 shown]
	v_pk_fma_f32 v[38:39], v[162:163], v[236:237], 0 op_sel_hi:[0,1,0]
	v_dot4c_i32_i8_e32 v24, v215, v15
	v_dot4c_i32_i8_e32 v26, v223, v7
	;; [unrolled: 1-line block ×8, first 2 shown]
	v_pk_fma_f32 v[38:39], v[196:197], v[232:233], v[38:39] op_sel_hi:[0,1,1]
	v_dot4c_i32_i8_e32 v24, v216, v8
	s_waitcnt lgkmcnt(1)
	v_dot4c_i32_i8_e32 v26, v224, v0
	v_dot4c_i32_i8_e32 v28, v176, v8
	;; [unrolled: 1-line block ×7, first 2 shown]
	v_pk_mul_f32 v[38:39], v[38:39], v[142:143]
	v_dot4c_i32_i8_e32 v24, v217, v9
	v_dot4c_i32_i8_e32 v26, v225, v1
	;; [unrolled: 1-line block ×8, first 2 shown]
	v_or_b32_e32 v0, s18, v87
	v_pk_fma_f32 v[36:37], v[36:37], v[140:141], v[38:39] neg_lo:[0,0,1] neg_hi:[0,0,1]
	v_dot4c_i32_i8_e32 v24, v218, v10
	v_dot4c_i32_i8_e32 v26, v226, v2
	;; [unrolled: 1-line block ×8, first 2 shown]
	v_lshlrev_b32_e32 v1, 2, v0
	v_pk_add_f32 v[116:117], v[116:117], v[36:37]
	v_dot4c_i32_i8_e32 v24, v219, v11
	v_dot4c_i32_i8_e32 v26, v227, v3
	;; [unrolled: 1-line block ×8, first 2 shown]
	v_lshrrev_b32_e32 v32, 1, v0
	ds_read_b128 v[12:15], v1 offset:33280
	ds_read_b128 v[8:11], v1 offset:33296
	;; [unrolled: 1-line block ×4, first 2 shown]
	ds_read_b64 v[36:37], v32 offset:43584
	v_mov_b32_e32 v32, 0
	s_waitcnt lgkmcnt(4)
	v_dot4c_i32_i8_e32 v32, v212, v12
	v_mov_b32_e32 v34, 0
	v_dot4c_i32_i8_e32 v32, v213, v13
	s_waitcnt lgkmcnt(2)
	v_dot4c_i32_i8_e32 v34, v204, v4
	v_dot4c_i32_i8_e32 v32, v214, v14
	;; [unrolled: 1-line block ×8, first 2 shown]
	s_waitcnt lgkmcnt(1)
	v_dot4c_i32_i8_e32 v34, v224, v0
	v_dot4c_i32_i8_e32 v32, v218, v10
	;; [unrolled: 1-line block ×6, first 2 shown]
	v_mul_lo_u32 v24, v24, v254
	v_mul_lo_u32 v32, v32, v254
	s_waitcnt lgkmcnt(0)
	v_cvt_f32_f16_e32 v217, v36
	v_cvt_f32_f16_e32 v216, v228
	v_cvt_f32_f16_sdwa v215, v36 dst_sel:DWORD dst_unused:UNUSED_PAD src0_sel:WORD_1
	v_cvt_f32_f16_sdwa v214, v228 dst_sel:DWORD dst_unused:UNUSED_PAD src0_sel:WORD_1
	v_cvt_f32_f16_e32 v213, v37
	v_cvt_f32_f16_sdwa v205, v37 dst_sel:DWORD dst_unused:UNUSED_PAD src0_sel:WORD_1
	v_cvt_f32_i32_e32 v37, v32
	v_cvt_f32_i32_e32 v36, v24
	v_mul_lo_u32 v24, v26, v25
	v_mul_lo_u32 v25, v34, v25
	v_cvt_f32_f16_e32 v212, v229
	v_cvt_f32_f16_sdwa v204, v229 dst_sel:DWORD dst_unused:UNUSED_PAD src0_sel:WORD_1
	v_cvt_f32_i32_e32 v25, v25
	v_cvt_f32_i32_e32 v24, v24
	v_pk_fma_f32 v[36:37], v[36:37], v[216:217], 0 op_sel_hi:[1,1,0]
	v_pk_fma_f32 v[38:39], v[186:187], v[214:215], 0 op_sel_hi:[0,1,0]
	v_mov_b32_e32 v26, 0
	v_pk_fma_f32 v[24:25], v[24:25], v[212:213], v[36:37]
	v_pk_fma_f32 v[36:37], v[220:221], v[204:205], v[38:39] op_sel_hi:[0,1,1]
	v_pk_mul_f32 v[36:37], v[36:37], v[134:135]
	v_dot4c_i32_i8_e32 v26, v166, v4
	v_pk_fma_f32 v[24:25], v[24:25], v[132:133], v[36:37] neg_lo:[0,0,1] neg_hi:[0,0,1]
	v_dot4c_i32_i8_e32 v26, v167, v5
	v_pk_add_f32 v[102:103], v[102:103], v[24:25]
	v_mov_b32_e32 v24, 0
	v_dot4c_i32_i8_e32 v24, v164, v12
	v_dot4c_i32_i8_e32 v24, v165, v13
	;; [unrolled: 1-line block ×14, first 2 shown]
	v_mul_lo_u32 v28, v28, v195
	v_mul_lo_u32 v24, v24, v195
	v_cvt_f32_i32_e32 v25, v24
	v_cvt_f32_i32_e32 v24, v28
	v_mul_lo_u32 v28, v30, v255
	v_mul_lo_u32 v26, v26, v255
	v_cvt_f32_i32_e32 v39, v26
	v_cvt_f32_i32_e32 v38, v28
	v_pk_fma_f32 v[36:37], v[160:161], v[214:215], 0 op_sel_hi:[0,1,0]
	v_pk_fma_f32 v[24:25], v[24:25], v[216:217], 0 op_sel_hi:[1,1,0]
	v_pk_fma_f32 v[36:37], v[194:195], v[204:205], v[36:37] op_sel_hi:[0,1,1]
	v_pk_fma_f32 v[24:25], v[38:39], v[212:213], v[24:25]
	v_pk_mul_f32 v[36:37], v[36:37], v[138:139]
	v_mov_b32_e32 v26, 0
	v_pk_fma_f32 v[24:25], v[24:25], v[136:137], v[36:37] neg_lo:[0,0,1] neg_hi:[0,0,1]
	v_dot4c_i32_i8_e32 v26, v170, v4
	v_pk_add_f32 v[106:107], v[106:107], v[24:25]
	v_mov_b32_e32 v24, 0
	v_dot4c_i32_i8_e32 v24, v168, v12
	v_dot4c_i32_i8_e32 v24, v169, v13
	;; [unrolled: 1-line block ×15, first 2 shown]
	v_mul_lo_u32 v22, v22, v253
	v_mul_lo_u32 v24, v24, v253
	v_cvt_f32_i32_e32 v25, v24
	v_cvt_f32_i32_e32 v24, v22
	v_mul_lo_u32 v22, v23, v17
	v_mul_lo_u32 v17, v26, v17
	v_cvt_f32_i32_e32 v23, v17
	v_mov_b32_e32 v17, 0
	v_dot4c_i32_i8_e32 v17, v172, v12
	v_dot4c_i32_i8_e32 v17, v173, v13
	;; [unrolled: 1-line block ×5, first 2 shown]
	v_mov_b32_e32 v8, 0
	v_dot4c_i32_i8_e32 v8, v158, v4
	v_dot4c_i32_i8_e32 v8, v159, v5
	;; [unrolled: 1-line block ×11, first 2 shown]
	v_mul_lo_u32 v0, v231, v187
	v_mul_lo_u32 v1, v17, v187
	v_cvt_f32_i32_e32 v22, v22
	v_cvt_f32_i32_e32 v1, v1
	;; [unrolled: 1-line block ×3, first 2 shown]
	v_mul_lo_u32 v4, v230, v163
	v_mul_lo_u32 v5, v8, v163
	v_cvt_f32_i32_e32 v5, v5
	v_cvt_f32_i32_e32 v4, v4
	v_pk_fma_f32 v[24:25], v[24:25], v[216:217], 0 op_sel_hi:[1,1,0]
	v_pk_fma_f32 v[36:37], v[162:163], v[214:215], 0 op_sel_hi:[0,1,0]
	;; [unrolled: 1-line block ×3, first 2 shown]
	v_pk_fma_f32 v[22:23], v[22:23], v[212:213], v[24:25]
	v_pk_fma_f32 v[24:25], v[196:197], v[204:205], v[36:37] op_sel_hi:[0,1,1]
	v_pk_fma_f32 v[0:1], v[0:1], v[216:217], 0 op_sel_hi:[1,1,0]
	;; [unrolled: 1-line block ×3, first 2 shown]
	v_pk_mul_f32 v[24:25], v[24:25], v[142:143]
	v_pk_fma_f32 v[0:1], v[4:5], v[212:213], v[0:1]
	v_pk_mul_f32 v[2:3], v[2:3], v[146:147]
	v_pk_fma_f32 v[22:23], v[22:23], v[140:141], v[24:25] neg_lo:[0,0,1] neg_hi:[0,0,1]
	v_pk_fma_f32 v[0:1], v[0:1], v[144:145], v[2:3] neg_lo:[0,0,1] neg_hi:[0,0,1]
	v_pk_add_f32 v[112:113], v[112:113], v[22:23]
	v_pk_add_f32 v[118:119], v[118:119], v[0:1]
	s_mov_b32 s19, 8
	s_and_b64 vcc, exec, s[0:1]
	s_mov_b64 s[0:1], 0
	s_cbranch_vccnz .LBB154_6
; %bb.7:                                ;   in Loop: Header=BB154_5 Depth=1
	v_add_u32_e32 v14, s17, v63
	v_add_u32_e32 v0, v14, v45
	;; [unrolled: 1-line block ×6, first 2 shown]
	v_mad_i64_i32 v[0:1], s[0:1], v0, 36, v[96:97]
	v_mad_i64_i32 v[2:3], s[0:1], v2, 36, v[96:97]
	;; [unrolled: 1-line block ×4, first 2 shown]
	v_add_u32_e32 v8, v14, v53
	v_add_u32_e32 v10, v14, v55
	;; [unrolled: 1-line block ×4, first 2 shown]
	v_mad_u64_u32 v[22:23], s[0:1], v17, 36, s[2:3]
	s_barrier
	v_mad_i64_i32 v[8:9], s[0:1], v8, 36, v[96:97]
	v_mad_i64_i32 v[10:11], s[0:1], v10, 36, v[96:97]
	;; [unrolled: 1-line block ×4, first 2 shown]
	global_load_dword v17, v[22:23], off
	s_nop 0
	global_load_dword v0, v[0:1], off offset:4
	s_nop 0
	global_load_dword v1, v[2:3], off offset:4
	;; [unrolled: 2-line block ×3, first 2 shown]
	global_load_dword v3, v[6:7], off offset:4
	s_nop 0
	global_load_dword v4, v[8:9], off offset:4
	global_load_dword v5, v[10:11], off offset:4
	;; [unrolled: 1-line block ×4, first 2 shown]
	s_mov_b32 s0, 16
	s_waitcnt vmcnt(8)
	ds_write_b32 v41, v17
	s_waitcnt vmcnt(7)
	ds_write_b32 v221, v0
	;; [unrolled: 2-line block ×9, first 2 shown]
	s_waitcnt lgkmcnt(0)
	s_barrier
	ds_read_b32 v0, v61
	ds_read_b32 v1, v65 offset:128
	ds_read_b32 v2, v69 offset:256
	;; [unrolled: 1-line block ×3, first 2 shown]
	s_waitcnt lgkmcnt(2)
	v_cvt_f32_f16_e32 v136, v1
	v_cvt_f32_f16_e32 v132, v0
	v_cvt_f32_f16_sdwa v134, v0 dst_sel:DWORD dst_unused:UNUSED_PAD src0_sel:WORD_1
	v_cvt_f32_f16_sdwa v138, v1 dst_sel:DWORD dst_unused:UNUSED_PAD src0_sel:WORD_1
	s_waitcnt lgkmcnt(1)
	v_cvt_f32_f16_e32 v140, v2
	v_cvt_f32_f16_sdwa v142, v2 dst_sel:DWORD dst_unused:UNUSED_PAD src0_sel:WORD_1
	s_waitcnt lgkmcnt(0)
	v_cvt_f32_f16_e32 v144, v3
	v_cvt_f32_f16_sdwa v146, v3 dst_sel:DWORD dst_unused:UNUSED_PAD src0_sel:WORD_1
	v_mov_b32_e32 v133, v132
	v_mov_b32_e32 v135, v134
	;; [unrolled: 1-line block ×8, first 2 shown]
.LBB154_8:                              ;   Parent Loop BB154_5 Depth=1
                                        ; =>  This Inner Loop Header: Depth=2
	s_lshr_b32 s1, s0, 2
	s_and_b32 s17, s1, 0x3ffffffe
	s_lshl_b32 s1, s0, 1
	s_and_b32 s1, s1, 16
	v_or_b32_e32 v0, s1, v29
	s_add_i32 s17, s17, 0xa200
	s_lshl_b32 s18, s0, 3
	v_lshlrev_b32_e32 v1, 2, v0
	v_add3_u32 v17, s17, v248, v249
	v_add_u32_e32 v22, s18, v89
	v_lshrrev_b32_e32 v228, 1, v0
	ds_read_b128 v[12:15], v1 offset:33280
	ds_read_b128 v[8:11], v1 offset:33296
	ds_read_b128 v[4:7], v1 offset:33312
	ds_read_b128 v[0:3], v1 offset:33328
	ds_read2_b32 v[212:213], v22 offset1:1
	ds_read2_b32 v[214:215], v22 offset0:2 offset1:3
	ds_read2_b32 v[216:217], v22 offset0:4 offset1:5
	;; [unrolled: 1-line block ×3, first 2 shown]
	ds_read_u16 v23, v17
	ds_read_u16 v17, v17 offset:8
	ds_read2_b32 v[194:195], v22 offset0:8 offset1:9
	ds_read2_b32 v[222:223], v22 offset0:10 offset1:11
	;; [unrolled: 1-line block ×4, first 2 shown]
	s_waitcnt lgkmcnt(4)
	v_cvt_f32_ubyte0_e32 v184, v17
	v_cvt_f32_ubyte1_e32 v220, v17
	v_add3_u32 v17, s17, v250, v245
	v_add_u32_e32 v22, s18, v91
	v_and_b32_e32 v185, 0xff, v23
	v_lshrrev_b16_e32 v237, 8, v23
	ds_read2_b32 v[168:169], v22 offset1:1
	ds_read2_b32 v[180:181], v22 offset0:2 offset1:3
	ds_read2_b32 v[186:187], v22 offset0:4 offset1:5
	;; [unrolled: 1-line block ×3, first 2 shown]
	ds_read_u16 v23, v17
	ds_read_u16 v25, v17 offset:8
	ds_read2_b32 v[176:177], v22 offset0:8 offset1:9
	ds_read2_b32 v[200:201], v22 offset0:10 offset1:11
	ds_read2_b32 v[204:205], v22 offset0:12 offset1:13
	ds_read2_b32 v[208:209], v22 offset0:14 offset1:15
	v_add3_u32 v22, s17, v251, v246
	v_add_u32_e32 v26, s18, v93
	ds_read2_b32 v[170:171], v26 offset1:1
	ds_read2_b32 v[182:183], v26 offset0:2 offset1:3
	ds_read2_b32 v[188:189], v26 offset0:4 offset1:5
	;; [unrolled: 1-line block ×3, first 2 shown]
	ds_read_u16 v34, v22
	ds_read_u16 v22, v22 offset:8
	s_waitcnt lgkmcnt(10)
	v_cvt_f32_ubyte0_e32 v172, v25
	v_cvt_f32_ubyte1_e32 v196, v25
	v_mov_b32_e32 v24, 0
	s_waitcnt lgkmcnt(1)
	v_and_b32_e32 v25, 0xff, v34
	v_lshrrev_b16_e32 v236, 8, v34
	v_add_u32_e32 v34, s18, v149
	ds_read2_b32 v[160:161], v34 offset1:1
	ds_read2_b32 v[162:163], v34 offset0:2 offset1:3
	ds_read2_b32 v[164:165], v34 offset0:4 offset1:5
	;; [unrolled: 1-line block ×3, first 2 shown]
	v_mov_b32_e32 v253, 0
	v_and_b32_e32 v17, 0xff, v23
	v_lshrrev_b16_e32 v199, 8, v23
	v_mov_b32_e32 v23, 0
	s_waitcnt lgkmcnt(4)
	v_cvt_f32_ubyte0_e32 v174, v22
	v_cvt_f32_ubyte1_e32 v198, v22
	v_mov_b32_e32 v22, 0
	v_dot4c_i32_i8_e32 v24, v212, v12
	v_dot4c_i32_i8_e32 v253, v168, v12
	;; [unrolled: 1-line block ×3, first 2 shown]
	s_waitcnt lgkmcnt(3)
	v_dot4c_i32_i8_e32 v22, v160, v12
	v_dot4c_i32_i8_e32 v24, v213, v13
	;; [unrolled: 1-line block ×8, first 2 shown]
	s_waitcnt lgkmcnt(2)
	v_dot4c_i32_i8_e32 v22, v162, v14
	v_dot4c_i32_i8_e32 v24, v215, v15
	;; [unrolled: 1-line block ×8, first 2 shown]
	ds_read2_b32 v[178:179], v26 offset0:8 offset1:9
	ds_read2_b32 v[202:203], v26 offset0:10 offset1:11
	;; [unrolled: 1-line block ×4, first 2 shown]
	v_add3_u32 v26, s17, v252, v247
	s_waitcnt lgkmcnt(5)
	v_dot4c_i32_i8_e32 v22, v164, v8
	v_dot4c_i32_i8_e32 v24, v217, v9
	;; [unrolled: 1-line block ×5, first 2 shown]
	ds_read_u16 v8, v26
	ds_read_u16 v9, v26 offset:8
	ds_read2_b32 v[158:159], v34 offset0:8 offset1:9
	ds_read2_b32 v[152:153], v34 offset0:10 offset1:11
	;; [unrolled: 1-line block ×4, first 2 shown]
	v_mov_b32_e32 v32, 0
	v_mov_b32_e32 v30, 0
	;; [unrolled: 1-line block ×4, first 2 shown]
	v_dot4c_i32_i8_e32 v32, v194, v4
	v_dot4c_i32_i8_e32 v30, v176, v4
	s_waitcnt lgkmcnt(9)
	v_dot4c_i32_i8_e32 v28, v178, v4
	s_waitcnt lgkmcnt(3)
	v_dot4c_i32_i8_e32 v26, v158, v4
	v_dot4c_i32_i8_e32 v32, v195, v5
	;; [unrolled: 1-line block ×8, first 2 shown]
	s_waitcnt lgkmcnt(2)
	v_dot4c_i32_i8_e32 v26, v152, v6
	v_dot4c_i32_i8_e32 v32, v223, v7
	;; [unrolled: 1-line block ×8, first 2 shown]
	s_waitcnt lgkmcnt(1)
	v_dot4c_i32_i8_e32 v26, v154, v0
	v_dot4c_i32_i8_e32 v32, v225, v1
	;; [unrolled: 1-line block ×5, first 2 shown]
	v_or_b32_e32 v0, s1, v75
	v_dot4c_i32_i8_e32 v24, v218, v10
	v_dot4c_i32_i8_e32 v32, v226, v2
	v_dot4c_i32_i8_e32 v253, v190, v10
	v_dot4c_i32_i8_e32 v30, v208, v2
	v_dot4c_i32_i8_e32 v23, v192, v10
	v_dot4c_i32_i8_e32 v28, v210, v2
	v_dot4c_i32_i8_e32 v22, v166, v10
	s_waitcnt lgkmcnt(0)
	v_dot4c_i32_i8_e32 v26, v156, v2
	v_lshlrev_b32_e32 v1, 2, v0
	v_dot4c_i32_i8_e32 v24, v219, v11
	v_dot4c_i32_i8_e32 v32, v227, v3
	;; [unrolled: 1-line block ×7, first 2 shown]
	v_and_b32_e32 v175, 0xff, v8
	v_cvt_f32_ubyte0_e32 v150, v9
	v_dot4c_i32_i8_e32 v26, v157, v3
	v_lshrrev_b16_e32 v173, 8, v8
	v_cvt_f32_ubyte1_e32 v148, v9
	v_lshrrev_b32_e32 v34, 1, v0
	ds_read_b128 v[12:15], v1 offset:33280
	ds_read_b128 v[8:11], v1 offset:33296
	;; [unrolled: 1-line block ×4, first 2 shown]
	v_mov_b32_e32 v254, 0
	v_mov_b32_e32 v44, 0
	s_waitcnt lgkmcnt(3)
	v_dot4c_i32_i8_e32 v44, v212, v12
	s_waitcnt lgkmcnt(1)
	v_dot4c_i32_i8_e32 v254, v194, v4
	v_dot4c_i32_i8_e32 v254, v195, v5
	;; [unrolled: 1-line block ×5, first 2 shown]
	ds_read_b64 v[36:37], v228 offset:43584
	ds_read_b64 v[38:39], v34 offset:43584
	v_dot4c_i32_i8_e32 v44, v214, v14
	s_waitcnt lgkmcnt(2)
	v_dot4c_i32_i8_e32 v254, v224, v0
	v_dot4c_i32_i8_e32 v44, v215, v15
	;; [unrolled: 1-line block ×5, first 2 shown]
	v_mul_lo_u32 v24, v24, v185
	v_dot4c_i32_i8_e32 v44, v217, v9
	v_dot4c_i32_i8_e32 v254, v227, v3
	s_waitcnt lgkmcnt(1)
	v_cvt_f32_f16_e32 v232, v36
	v_cvt_f32_f16_sdwa v234, v36 dst_sel:DWORD dst_unused:UNUSED_PAD src0_sel:WORD_1
	v_cvt_f32_i32_e32 v36, v24
	v_mul_lo_u32 v24, v32, v237
	v_dot4c_i32_i8_e32 v44, v218, v10
	v_mul_lo_u32 v32, v254, v237
	v_cvt_f32_i32_e32 v254, v24
	v_mov_b32_e32 v24, 0
	v_dot4c_i32_i8_e32 v44, v219, v11
	v_cvt_f32_i32_e32 v255, v32
	v_dot4c_i32_i8_e32 v24, v168, v12
	v_mov_b32_e32 v32, 0
	s_waitcnt lgkmcnt(0)
	v_cvt_f32_f16_sdwa v235, v38 dst_sel:DWORD dst_unused:UNUSED_PAD src0_sel:WORD_1
	v_mul_lo_u32 v34, v44, v185
	v_dot4c_i32_i8_e32 v24, v169, v13
	v_dot4c_i32_i8_e32 v32, v176, v4
	v_cvt_f32_f16_e32 v233, v38
	v_cvt_f32_f16_e32 v228, v37
	v_cvt_f32_f16_sdwa v231, v39 dst_sel:DWORD dst_unused:UNUSED_PAD src0_sel:WORD_1
	v_cvt_f32_f16_sdwa v230, v37 dst_sel:DWORD dst_unused:UNUSED_PAD src0_sel:WORD_1
	v_cvt_f32_i32_e32 v37, v34
	v_dot4c_i32_i8_e32 v24, v180, v14
	v_dot4c_i32_i8_e32 v32, v177, v5
	v_cvt_f32_f16_e32 v229, v39
	v_dot4c_i32_i8_e32 v24, v181, v15
	v_dot4c_i32_i8_e32 v32, v200, v6
	;; [unrolled: 1-line block ×4, first 2 shown]
	v_pk_fma_f32 v[38:39], v[184:185], v[234:235], 0 op_sel_hi:[0,1,0]
	v_dot4c_i32_i8_e32 v24, v187, v9
	v_dot4c_i32_i8_e32 v32, v204, v0
	v_pk_fma_f32 v[36:37], v[232:233], v[36:37], 0 op_sel_hi:[1,1,0]
	v_pk_fma_f32 v[38:39], v[220:221], v[230:231], v[38:39] op_sel_hi:[0,1,1]
	v_dot4c_i32_i8_e32 v24, v190, v10
	v_dot4c_i32_i8_e32 v32, v205, v1
	v_pk_fma_f32 v[36:37], v[228:229], v[254:255], v[36:37]
	v_pk_mul_f32 v[38:39], v[38:39], v[134:135]
	v_dot4c_i32_i8_e32 v24, v191, v11
	v_dot4c_i32_i8_e32 v32, v208, v2
	v_pk_fma_f32 v[36:37], v[36:37], v[132:133], v[38:39] neg_lo:[0,0,1] neg_hi:[0,0,1]
	v_dot4c_i32_i8_e32 v32, v209, v3
	v_mul_lo_u32 v34, v253, v17
	v_mul_lo_u32 v24, v24, v17
	v_pk_add_f32 v[94:95], v[94:95], v[36:37]
	v_cvt_f32_i32_e32 v37, v24
	v_cvt_f32_i32_e32 v36, v34
	v_mul_lo_u32 v24, v30, v199
	v_mul_lo_u32 v30, v32, v199
	v_cvt_f32_i32_e32 v255, v30
	v_cvt_f32_i32_e32 v254, v24
	v_pk_fma_f32 v[38:39], v[172:173], v[234:235], 0 op_sel_hi:[0,1,0]
	v_pk_fma_f32 v[36:37], v[232:233], v[36:37], 0 op_sel_hi:[1,1,0]
	v_pk_fma_f32 v[38:39], v[196:197], v[230:231], v[38:39] op_sel_hi:[0,1,1]
	v_pk_fma_f32 v[36:37], v[228:229], v[254:255], v[36:37]
	v_pk_mul_f32 v[38:39], v[38:39], v[138:139]
	v_mul_lo_u32 v23, v23, v25
	v_pk_fma_f32 v[36:37], v[36:37], v[136:137], v[38:39] neg_lo:[0,0,1] neg_hi:[0,0,1]
	v_mov_b32_e32 v24, 0
	v_pk_add_f32 v[120:121], v[120:121], v[36:37]
	v_cvt_f32_i32_e32 v36, v23
	v_mul_lo_u32 v23, v28, v236
	v_cvt_f32_i32_e32 v254, v23
	v_mov_b32_e32 v23, 0
	v_dot4c_i32_i8_e32 v24, v170, v12
	v_dot4c_i32_i8_e32 v23, v160, v12
	v_dot4c_i32_i8_e32 v24, v171, v13
	v_dot4c_i32_i8_e32 v23, v161, v13
	v_dot4c_i32_i8_e32 v24, v182, v14
	v_dot4c_i32_i8_e32 v23, v162, v14
	v_dot4c_i32_i8_e32 v24, v183, v15
	v_dot4c_i32_i8_e32 v23, v163, v15
	v_dot4c_i32_i8_e32 v24, v188, v8
	v_dot4c_i32_i8_e32 v23, v164, v8
	v_mov_b32_e32 v8, 0
	v_dot4c_i32_i8_e32 v8, v158, v4
	v_mov_b32_e32 v30, 0
	v_dot4c_i32_i8_e32 v8, v159, v5
	v_dot4c_i32_i8_e32 v30, v178, v4
	;; [unrolled: 1-line block ×16, first 2 shown]
	v_mul_lo_u32 v0, v22, v175
	v_mul_lo_u32 v1, v23, v175
	v_cvt_f32_i32_e32 v1, v1
	v_cvt_f32_i32_e32 v0, v0
	v_mul_lo_u32 v4, v26, v173
	v_mul_lo_u32 v5, v8, v173
	v_cvt_f32_i32_e32 v5, v5
	v_cvt_f32_i32_e32 v4, v4
	v_dot4c_i32_i8_e32 v30, v210, v2
	v_dot4c_i32_i8_e32 v30, v211, v3
	v_pk_fma_f32 v[2:3], v[150:151], v[234:235], 0 op_sel_hi:[0,1,0]
	v_pk_fma_f32 v[0:1], v[232:233], v[0:1], 0 op_sel_hi:[1,1,0]
	;; [unrolled: 1-line block ×3, first 2 shown]
	v_pk_fma_f32 v[0:1], v[228:229], v[4:5], v[0:1]
	v_pk_mul_f32 v[2:3], v[2:3], v[146:147]
	v_dot4c_i32_i8_e32 v24, v189, v9
	v_pk_fma_f32 v[0:1], v[0:1], v[144:145], v[2:3] neg_lo:[0,0,1] neg_hi:[0,0,1]
	v_dot4c_i32_i8_e32 v24, v192, v10
	v_pk_add_f32 v[130:131], v[130:131], v[0:1]
	v_or_b32_e32 v0, s1, v77
	v_lshlrev_b32_e32 v1, 2, v0
	v_dot4c_i32_i8_e32 v24, v193, v11
	v_lshrrev_b32_e32 v28, 1, v0
	ds_read_b128 v[12:15], v1 offset:33280
	ds_read_b128 v[8:11], v1 offset:33296
	;; [unrolled: 1-line block ×4, first 2 shown]
	v_mul_lo_u32 v24, v24, v25
	v_cvt_f32_i32_e32 v37, v24
	v_mul_lo_u32 v24, v30, v236
	v_cvt_f32_i32_e32 v255, v24
	v_mov_b32_e32 v30, 0
	v_mov_b32_e32 v32, 0
	;; [unrolled: 1-line block ×8, first 2 shown]
	s_waitcnt lgkmcnt(3)
	v_dot4c_i32_i8_e32 v30, v212, v12
	s_waitcnt lgkmcnt(1)
	v_dot4c_i32_i8_e32 v32, v194, v4
	v_dot4c_i32_i8_e32 v34, v168, v12
	;; [unrolled: 1-line block ×31, first 2 shown]
	v_pk_fma_f32 v[38:39], v[174:175], v[234:235], 0 op_sel_hi:[0,1,0]
	v_dot4c_i32_i8_e32 v30, v216, v8
	s_waitcnt lgkmcnt(0)
	v_dot4c_i32_i8_e32 v32, v224, v0
	v_dot4c_i32_i8_e32 v34, v186, v8
	;; [unrolled: 1-line block ×7, first 2 shown]
	v_pk_fma_f32 v[36:37], v[232:233], v[36:37], 0 op_sel_hi:[1,1,0]
	v_pk_fma_f32 v[38:39], v[198:199], v[230:231], v[38:39] op_sel_hi:[0,1,1]
	v_dot4c_i32_i8_e32 v30, v217, v9
	v_dot4c_i32_i8_e32 v32, v225, v1
	;; [unrolled: 1-line block ×8, first 2 shown]
	v_or_b32_e32 v0, s1, v79
	v_pk_fma_f32 v[36:37], v[228:229], v[254:255], v[36:37]
	v_pk_mul_f32 v[38:39], v[38:39], v[142:143]
	v_dot4c_i32_i8_e32 v30, v218, v10
	v_dot4c_i32_i8_e32 v32, v226, v2
	;; [unrolled: 1-line block ×8, first 2 shown]
	v_lshlrev_b32_e32 v1, 2, v0
	v_pk_fma_f32 v[36:37], v[36:37], v[140:141], v[38:39] neg_lo:[0,0,1] neg_hi:[0,0,1]
	v_dot4c_i32_i8_e32 v30, v219, v11
	v_dot4c_i32_i8_e32 v32, v227, v3
	;; [unrolled: 1-line block ×8, first 2 shown]
	v_lshrrev_b32_e32 v38, 1, v0
	ds_read_b128 v[12:15], v1 offset:33280
	ds_read_b128 v[8:11], v1 offset:33296
	;; [unrolled: 1-line block ×4, first 2 shown]
	v_mov_b32_e32 v253, 0
	s_waitcnt lgkmcnt(3)
	v_dot4c_i32_i8_e32 v253, v212, v12
	v_mov_b32_e32 v254, 0
	v_dot4c_i32_i8_e32 v253, v213, v13
	s_waitcnt lgkmcnt(1)
	v_dot4c_i32_i8_e32 v254, v194, v4
	v_dot4c_i32_i8_e32 v253, v214, v14
	;; [unrolled: 1-line block ×5, first 2 shown]
	v_pk_add_f32 v[126:127], v[126:127], v[36:37]
	v_dot4c_i32_i8_e32 v253, v216, v8
	v_dot4c_i32_i8_e32 v254, v223, v7
	ds_read_b64 v[36:37], v28 offset:43584
	ds_read_b64 v[38:39], v38 offset:43584
	v_dot4c_i32_i8_e32 v253, v217, v9
	s_waitcnt lgkmcnt(2)
	v_dot4c_i32_i8_e32 v254, v224, v0
	v_dot4c_i32_i8_e32 v253, v218, v10
	;; [unrolled: 1-line block ×5, first 2 shown]
	v_mul_lo_u32 v28, v30, v185
	v_dot4c_i32_i8_e32 v254, v227, v3
	s_waitcnt lgkmcnt(1)
	v_cvt_f32_f16_e32 v232, v36
	v_cvt_f32_f16_sdwa v234, v36 dst_sel:DWORD dst_unused:UNUSED_PAD src0_sel:WORD_1
	v_mul_lo_u32 v30, v253, v185
	v_cvt_f32_i32_e32 v36, v28
	v_mul_lo_u32 v28, v32, v237
	v_cvt_f32_f16_e32 v228, v37
	v_cvt_f32_f16_sdwa v230, v37 dst_sel:DWORD dst_unused:UNUSED_PAD src0_sel:WORD_1
	v_cvt_f32_i32_e32 v37, v30
	v_mul_lo_u32 v30, v254, v237
	v_cvt_f32_i32_e32 v254, v28
	v_mov_b32_e32 v28, 0
	v_cvt_f32_i32_e32 v255, v30
	v_dot4c_i32_i8_e32 v28, v168, v12
	v_mov_b32_e32 v30, 0
	s_waitcnt lgkmcnt(0)
	v_cvt_f32_f16_sdwa v235, v38 dst_sel:DWORD dst_unused:UNUSED_PAD src0_sel:WORD_1
	v_dot4c_i32_i8_e32 v28, v169, v13
	v_dot4c_i32_i8_e32 v30, v176, v4
	v_cvt_f32_f16_e32 v233, v38
	v_cvt_f32_f16_sdwa v231, v39 dst_sel:DWORD dst_unused:UNUSED_PAD src0_sel:WORD_1
	v_dot4c_i32_i8_e32 v28, v180, v14
	v_dot4c_i32_i8_e32 v30, v177, v5
	v_cvt_f32_f16_e32 v229, v39
	v_dot4c_i32_i8_e32 v28, v181, v15
	v_dot4c_i32_i8_e32 v30, v200, v6
	;; [unrolled: 1-line block ×4, first 2 shown]
	v_pk_fma_f32 v[38:39], v[184:185], v[234:235], 0 op_sel_hi:[0,1,0]
	v_dot4c_i32_i8_e32 v28, v187, v9
	v_dot4c_i32_i8_e32 v30, v204, v0
	v_pk_fma_f32 v[36:37], v[36:37], v[232:233], 0 op_sel_hi:[1,1,0]
	v_pk_fma_f32 v[38:39], v[220:221], v[230:231], v[38:39] op_sel_hi:[0,1,1]
	v_dot4c_i32_i8_e32 v28, v190, v10
	v_dot4c_i32_i8_e32 v30, v205, v1
	v_pk_fma_f32 v[36:37], v[254:255], v[228:229], v[36:37]
	v_pk_mul_f32 v[38:39], v[38:39], v[134:135]
	v_dot4c_i32_i8_e32 v28, v191, v11
	v_dot4c_i32_i8_e32 v30, v208, v2
	v_pk_fma_f32 v[36:37], v[36:37], v[132:133], v[38:39] neg_lo:[0,0,1] neg_hi:[0,0,1]
	v_dot4c_i32_i8_e32 v30, v209, v3
	v_mul_lo_u32 v32, v34, v17
	v_mul_lo_u32 v28, v28, v17
	v_pk_add_f32 v[108:109], v[108:109], v[36:37]
	v_cvt_f32_i32_e32 v37, v28
	v_cvt_f32_i32_e32 v36, v32
	v_mul_lo_u32 v28, v44, v199
	v_mul_lo_u32 v30, v30, v199
	v_cvt_f32_i32_e32 v255, v30
	v_cvt_f32_i32_e32 v254, v28
	v_pk_fma_f32 v[38:39], v[172:173], v[234:235], 0 op_sel_hi:[0,1,0]
	v_pk_fma_f32 v[36:37], v[36:37], v[232:233], 0 op_sel_hi:[1,1,0]
	;; [unrolled: 1-line block ×3, first 2 shown]
	v_pk_fma_f32 v[36:37], v[254:255], v[228:229], v[36:37]
	v_pk_mul_f32 v[38:39], v[38:39], v[138:139]
	v_mul_lo_u32 v24, v24, v25
	v_pk_fma_f32 v[36:37], v[36:37], v[136:137], v[38:39] neg_lo:[0,0,1] neg_hi:[0,0,1]
	v_mov_b32_e32 v28, 0
	v_pk_add_f32 v[114:115], v[114:115], v[36:37]
	v_cvt_f32_i32_e32 v36, v24
	v_mul_lo_u32 v24, v26, v236
	v_cvt_f32_i32_e32 v254, v24
	v_mov_b32_e32 v24, 0
	v_dot4c_i32_i8_e32 v28, v170, v12
	v_dot4c_i32_i8_e32 v24, v160, v12
	;; [unrolled: 1-line block ×10, first 2 shown]
	v_mov_b32_e32 v8, 0
	v_dot4c_i32_i8_e32 v8, v158, v4
	v_mov_b32_e32 v30, 0
	v_dot4c_i32_i8_e32 v8, v159, v5
	v_dot4c_i32_i8_e32 v30, v178, v4
	;; [unrolled: 1-line block ×16, first 2 shown]
	v_mul_lo_u32 v0, v22, v175
	v_mul_lo_u32 v1, v24, v175
	v_cvt_f32_i32_e32 v1, v1
	v_cvt_f32_i32_e32 v0, v0
	v_mul_lo_u32 v4, v23, v173
	v_mul_lo_u32 v5, v8, v173
	v_cvt_f32_i32_e32 v5, v5
	v_cvt_f32_i32_e32 v4, v4
	v_dot4c_i32_i8_e32 v30, v210, v2
	v_dot4c_i32_i8_e32 v30, v211, v3
	v_pk_fma_f32 v[2:3], v[150:151], v[234:235], 0 op_sel_hi:[0,1,0]
	v_pk_fma_f32 v[0:1], v[0:1], v[232:233], 0 op_sel_hi:[1,1,0]
	;; [unrolled: 1-line block ×3, first 2 shown]
	v_dot4c_i32_i8_e32 v28, v189, v9
	v_pk_fma_f32 v[0:1], v[4:5], v[228:229], v[0:1]
	v_pk_mul_f32 v[2:3], v[2:3], v[146:147]
	v_dot4c_i32_i8_e32 v28, v192, v10
	v_pk_fma_f32 v[0:1], v[0:1], v[144:145], v[2:3] neg_lo:[0,0,1] neg_hi:[0,0,1]
	v_dot4c_i32_i8_e32 v28, v193, v11
	v_pk_add_f32 v[128:129], v[128:129], v[0:1]
	v_or_b32_e32 v0, s1, v81
	v_lshlrev_b32_e32 v1, 2, v0
	v_mul_lo_u32 v28, v28, v25
	v_cvt_f32_i32_e32 v37, v28
	v_lshrrev_b32_e32 v28, 1, v0
	ds_read_b128 v[12:15], v1 offset:33280
	ds_read_b128 v[8:11], v1 offset:33296
	;; [unrolled: 1-line block ×4, first 2 shown]
	v_mul_lo_u32 v26, v30, v236
	v_cvt_f32_i32_e32 v255, v26
	v_mov_b32_e32 v30, 0
	v_mov_b32_e32 v32, 0
	;; [unrolled: 1-line block ×8, first 2 shown]
	s_waitcnt lgkmcnt(3)
	v_dot4c_i32_i8_e32 v30, v212, v12
	s_waitcnt lgkmcnt(1)
	v_dot4c_i32_i8_e32 v32, v194, v4
	v_dot4c_i32_i8_e32 v34, v168, v12
	;; [unrolled: 1-line block ×31, first 2 shown]
	v_pk_fma_f32 v[38:39], v[174:175], v[234:235], 0 op_sel_hi:[0,1,0]
	v_dot4c_i32_i8_e32 v30, v216, v8
	s_waitcnt lgkmcnt(0)
	v_dot4c_i32_i8_e32 v32, v224, v0
	v_dot4c_i32_i8_e32 v34, v186, v8
	;; [unrolled: 1-line block ×7, first 2 shown]
	v_pk_fma_f32 v[36:37], v[36:37], v[232:233], 0 op_sel_hi:[1,1,0]
	v_pk_fma_f32 v[38:39], v[198:199], v[230:231], v[38:39] op_sel_hi:[0,1,1]
	v_dot4c_i32_i8_e32 v30, v217, v9
	v_dot4c_i32_i8_e32 v32, v225, v1
	;; [unrolled: 1-line block ×8, first 2 shown]
	v_or_b32_e32 v0, s1, v83
	v_pk_fma_f32 v[36:37], v[254:255], v[228:229], v[36:37]
	v_pk_mul_f32 v[38:39], v[38:39], v[142:143]
	v_dot4c_i32_i8_e32 v30, v218, v10
	v_dot4c_i32_i8_e32 v32, v226, v2
	;; [unrolled: 1-line block ×8, first 2 shown]
	v_lshlrev_b32_e32 v1, 2, v0
	v_pk_fma_f32 v[36:37], v[36:37], v[140:141], v[38:39] neg_lo:[0,0,1] neg_hi:[0,0,1]
	v_dot4c_i32_i8_e32 v30, v219, v11
	v_dot4c_i32_i8_e32 v32, v227, v3
	;; [unrolled: 1-line block ×8, first 2 shown]
	v_lshrrev_b32_e32 v38, 1, v0
	ds_read_b128 v[12:15], v1 offset:33280
	ds_read_b128 v[8:11], v1 offset:33296
	;; [unrolled: 1-line block ×4, first 2 shown]
	v_mov_b32_e32 v253, 0
	s_waitcnt lgkmcnt(3)
	v_dot4c_i32_i8_e32 v253, v212, v12
	v_mov_b32_e32 v254, 0
	v_dot4c_i32_i8_e32 v253, v213, v13
	s_waitcnt lgkmcnt(1)
	v_dot4c_i32_i8_e32 v254, v194, v4
	v_dot4c_i32_i8_e32 v253, v214, v14
	;; [unrolled: 1-line block ×5, first 2 shown]
	v_pk_add_f32 v[122:123], v[122:123], v[36:37]
	v_dot4c_i32_i8_e32 v253, v216, v8
	v_dot4c_i32_i8_e32 v254, v223, v7
	ds_read_b64 v[36:37], v28 offset:43584
	ds_read_b64 v[38:39], v38 offset:43584
	v_dot4c_i32_i8_e32 v253, v217, v9
	s_waitcnt lgkmcnt(2)
	v_dot4c_i32_i8_e32 v254, v224, v0
	v_dot4c_i32_i8_e32 v253, v218, v10
	;; [unrolled: 1-line block ×5, first 2 shown]
	v_mul_lo_u32 v28, v30, v185
	v_dot4c_i32_i8_e32 v254, v227, v3
	s_waitcnt lgkmcnt(1)
	v_cvt_f32_f16_e32 v232, v36
	v_cvt_f32_f16_sdwa v234, v36 dst_sel:DWORD dst_unused:UNUSED_PAD src0_sel:WORD_1
	v_mul_lo_u32 v30, v253, v185
	v_cvt_f32_i32_e32 v36, v28
	v_mul_lo_u32 v28, v32, v237
	v_cvt_f32_f16_e32 v228, v37
	v_cvt_f32_f16_sdwa v230, v37 dst_sel:DWORD dst_unused:UNUSED_PAD src0_sel:WORD_1
	v_cvt_f32_i32_e32 v37, v30
	v_mul_lo_u32 v30, v254, v237
	v_cvt_f32_i32_e32 v254, v28
	v_mov_b32_e32 v28, 0
	v_cvt_f32_i32_e32 v255, v30
	v_dot4c_i32_i8_e32 v28, v168, v12
	v_mov_b32_e32 v30, 0
	s_waitcnt lgkmcnt(0)
	v_cvt_f32_f16_sdwa v235, v38 dst_sel:DWORD dst_unused:UNUSED_PAD src0_sel:WORD_1
	v_dot4c_i32_i8_e32 v28, v169, v13
	v_dot4c_i32_i8_e32 v30, v176, v4
	v_cvt_f32_f16_e32 v233, v38
	v_cvt_f32_f16_sdwa v231, v39 dst_sel:DWORD dst_unused:UNUSED_PAD src0_sel:WORD_1
	v_dot4c_i32_i8_e32 v28, v180, v14
	v_dot4c_i32_i8_e32 v30, v177, v5
	v_cvt_f32_f16_e32 v229, v39
	v_dot4c_i32_i8_e32 v28, v181, v15
	v_dot4c_i32_i8_e32 v30, v200, v6
	;; [unrolled: 1-line block ×4, first 2 shown]
	v_pk_fma_f32 v[38:39], v[184:185], v[234:235], 0 op_sel_hi:[0,1,0]
	v_dot4c_i32_i8_e32 v28, v187, v9
	v_dot4c_i32_i8_e32 v30, v204, v0
	v_pk_fma_f32 v[36:37], v[36:37], v[232:233], 0 op_sel_hi:[1,1,0]
	v_pk_fma_f32 v[38:39], v[220:221], v[230:231], v[38:39] op_sel_hi:[0,1,1]
	v_dot4c_i32_i8_e32 v28, v190, v10
	v_dot4c_i32_i8_e32 v30, v205, v1
	v_pk_fma_f32 v[36:37], v[254:255], v[228:229], v[36:37]
	v_pk_mul_f32 v[38:39], v[38:39], v[134:135]
	v_dot4c_i32_i8_e32 v28, v191, v11
	v_dot4c_i32_i8_e32 v30, v208, v2
	v_pk_fma_f32 v[36:37], v[36:37], v[132:133], v[38:39] neg_lo:[0,0,1] neg_hi:[0,0,1]
	v_dot4c_i32_i8_e32 v30, v209, v3
	v_mul_lo_u32 v32, v34, v17
	v_mul_lo_u32 v28, v28, v17
	v_pk_add_f32 v[104:105], v[104:105], v[36:37]
	v_cvt_f32_i32_e32 v37, v28
	v_cvt_f32_i32_e32 v36, v32
	v_mul_lo_u32 v28, v44, v199
	v_mul_lo_u32 v30, v30, v199
	v_cvt_f32_i32_e32 v255, v30
	v_cvt_f32_i32_e32 v254, v28
	v_pk_fma_f32 v[38:39], v[172:173], v[234:235], 0 op_sel_hi:[0,1,0]
	v_pk_fma_f32 v[36:37], v[36:37], v[232:233], 0 op_sel_hi:[1,1,0]
	;; [unrolled: 1-line block ×3, first 2 shown]
	v_pk_fma_f32 v[36:37], v[254:255], v[228:229], v[36:37]
	v_pk_mul_f32 v[38:39], v[38:39], v[138:139]
	v_mul_lo_u32 v24, v24, v25
	v_pk_fma_f32 v[36:37], v[36:37], v[136:137], v[38:39] neg_lo:[0,0,1] neg_hi:[0,0,1]
	v_mov_b32_e32 v28, 0
	v_pk_add_f32 v[110:111], v[110:111], v[36:37]
	v_cvt_f32_i32_e32 v36, v24
	v_mul_lo_u32 v24, v26, v236
	v_cvt_f32_i32_e32 v254, v24
	v_mov_b32_e32 v24, 0
	v_dot4c_i32_i8_e32 v28, v170, v12
	v_dot4c_i32_i8_e32 v24, v160, v12
	;; [unrolled: 1-line block ×10, first 2 shown]
	v_mov_b32_e32 v8, 0
	v_dot4c_i32_i8_e32 v8, v158, v4
	v_mov_b32_e32 v30, 0
	v_dot4c_i32_i8_e32 v8, v159, v5
	v_dot4c_i32_i8_e32 v30, v178, v4
	v_dot4c_i32_i8_e32 v8, v152, v6
	v_dot4c_i32_i8_e32 v30, v179, v5
	v_dot4c_i32_i8_e32 v8, v153, v7
	v_dot4c_i32_i8_e32 v30, v202, v6
	v_dot4c_i32_i8_e32 v24, v165, v9
	v_dot4c_i32_i8_e32 v8, v154, v0
	v_dot4c_i32_i8_e32 v30, v203, v7
	v_dot4c_i32_i8_e32 v24, v166, v10
	v_dot4c_i32_i8_e32 v8, v155, v1
	v_dot4c_i32_i8_e32 v30, v206, v0
	v_dot4c_i32_i8_e32 v24, v167, v11
	v_dot4c_i32_i8_e32 v8, v156, v2
	v_dot4c_i32_i8_e32 v30, v207, v1
	v_dot4c_i32_i8_e32 v8, v157, v3
	v_mul_lo_u32 v0, v22, v175
	v_mul_lo_u32 v1, v24, v175
	v_cvt_f32_i32_e32 v1, v1
	v_cvt_f32_i32_e32 v0, v0
	v_mul_lo_u32 v4, v23, v173
	v_mul_lo_u32 v5, v8, v173
	v_cvt_f32_i32_e32 v5, v5
	v_cvt_f32_i32_e32 v4, v4
	v_dot4c_i32_i8_e32 v30, v210, v2
	v_dot4c_i32_i8_e32 v28, v189, v9
	;; [unrolled: 1-line block ×3, first 2 shown]
	v_pk_fma_f32 v[2:3], v[150:151], v[234:235], 0 op_sel_hi:[0,1,0]
	v_dot4c_i32_i8_e32 v28, v192, v10
	v_pk_fma_f32 v[0:1], v[0:1], v[232:233], 0 op_sel_hi:[1,1,0]
	v_pk_fma_f32 v[2:3], v[148:149], v[230:231], v[2:3] op_sel_hi:[0,1,1]
	v_dot4c_i32_i8_e32 v28, v193, v11
	v_pk_fma_f32 v[0:1], v[4:5], v[228:229], v[0:1]
	v_pk_mul_f32 v[2:3], v[2:3], v[146:147]
	v_mul_lo_u32 v26, v30, v236
	v_mul_lo_u32 v28, v28, v25
	v_pk_fma_f32 v[0:1], v[0:1], v[144:145], v[2:3] neg_lo:[0,0,1] neg_hi:[0,0,1]
	v_cvt_f32_i32_e32 v37, v28
	v_pk_add_f32 v[124:125], v[124:125], v[0:1]
	v_or_b32_e32 v0, s1, v85
	v_cvt_f32_i32_e32 v255, v26
	v_lshlrev_b32_e32 v1, 2, v0
	v_lshrrev_b32_e32 v24, 1, v0
	ds_read_b128 v[12:15], v1 offset:33280
	ds_read_b128 v[8:11], v1 offset:33296
	;; [unrolled: 1-line block ×4, first 2 shown]
	v_pk_fma_f32 v[36:37], v[36:37], v[232:233], 0 op_sel_hi:[1,1,0]
	v_mov_b32_e32 v26, 0
	v_pk_fma_f32 v[36:37], v[254:255], v[228:229], v[36:37]
	v_mov_b32_e32 v28, 0
	v_mov_b32_e32 v30, 0
	;; [unrolled: 1-line block ×7, first 2 shown]
	s_waitcnt lgkmcnt(3)
	v_dot4c_i32_i8_e32 v26, v212, v12
	s_waitcnt lgkmcnt(1)
	v_dot4c_i32_i8_e32 v28, v194, v4
	v_dot4c_i32_i8_e32 v30, v168, v12
	;; [unrolled: 1-line block ×32, first 2 shown]
	s_waitcnt lgkmcnt(0)
	v_dot4c_i32_i8_e32 v28, v224, v0
	v_dot4c_i32_i8_e32 v30, v186, v8
	;; [unrolled: 1-line block ×15, first 2 shown]
	v_or_b32_e32 v0, s1, v87
	v_dot4c_i32_i8_e32 v26, v218, v10
	v_dot4c_i32_i8_e32 v28, v226, v2
	;; [unrolled: 1-line block ×8, first 2 shown]
	v_lshlrev_b32_e32 v1, 2, v0
	v_dot4c_i32_i8_e32 v26, v219, v11
	v_dot4c_i32_i8_e32 v28, v227, v3
	;; [unrolled: 1-line block ×8, first 2 shown]
	v_lshrrev_b32_e32 v34, 1, v0
	ds_read_b128 v[12:15], v1 offset:33280
	ds_read_b128 v[8:11], v1 offset:33296
	;; [unrolled: 1-line block ×4, first 2 shown]
	v_mov_b32_e32 v44, 0
	v_pk_fma_f32 v[38:39], v[174:175], v[234:235], 0 op_sel_hi:[0,1,0]
	s_waitcnt lgkmcnt(3)
	v_dot4c_i32_i8_e32 v44, v212, v12
	v_pk_fma_f32 v[38:39], v[198:199], v[230:231], v[38:39] op_sel_hi:[0,1,1]
	v_dot4c_i32_i8_e32 v44, v213, v13
	v_pk_mul_f32 v[38:39], v[38:39], v[142:143]
	v_dot4c_i32_i8_e32 v44, v214, v14
	v_pk_fma_f32 v[36:37], v[36:37], v[140:141], v[38:39] neg_lo:[0,0,1] neg_hi:[0,0,1]
	v_dot4c_i32_i8_e32 v44, v215, v15
	v_pk_add_f32 v[116:117], v[116:117], v[36:37]
	s_waitcnt lgkmcnt(2)
	v_dot4c_i32_i8_e32 v44, v216, v8
	ds_read_b64 v[36:37], v24 offset:43584
	ds_read_b64 v[38:39], v34 offset:43584
	v_dot4c_i32_i8_e32 v44, v217, v9
	v_dot4c_i32_i8_e32 v44, v218, v10
	v_mov_b32_e32 v218, 0
	s_waitcnt lgkmcnt(3)
	v_dot4c_i32_i8_e32 v218, v194, v4
	v_dot4c_i32_i8_e32 v218, v195, v5
	;; [unrolled: 1-line block ×3, first 2 shown]
	s_waitcnt lgkmcnt(0)
	v_cvt_f32_f16_sdwa v215, v38 dst_sel:DWORD dst_unused:UNUSED_PAD src0_sel:WORD_1
	v_cvt_f32_f16_sdwa v214, v36 dst_sel:DWORD dst_unused:UNUSED_PAD src0_sel:WORD_1
	v_dot4c_i32_i8_e32 v218, v223, v7
	v_dot4c_i32_i8_e32 v218, v224, v0
	v_mul_lo_u32 v24, v26, v185
	v_dot4c_i32_i8_e32 v218, v225, v1
	v_cvt_f32_f16_e32 v216, v36
	v_cvt_f32_i32_e32 v36, v24
	v_mul_lo_u32 v24, v28, v237
	v_dot4c_i32_i8_e32 v44, v219, v11
	v_dot4c_i32_i8_e32 v218, v226, v2
	v_cvt_f32_f16_e32 v217, v38
	v_cvt_f32_f16_e32 v213, v39
	v_cvt_f32_f16_sdwa v195, v39 dst_sel:DWORD dst_unused:UNUSED_PAD src0_sel:WORD_1
	v_pk_fma_f32 v[38:39], v[184:185], v[214:215], 0 op_sel_hi:[0,1,0]
	v_cvt_f32_i32_e32 v184, v24
	v_mov_b32_e32 v24, 0
	v_dot4c_i32_i8_e32 v218, v227, v3
	v_mul_lo_u32 v26, v44, v185
	v_dot4c_i32_i8_e32 v24, v168, v12
	v_cvt_f32_f16_e32 v212, v37
	v_cvt_f32_f16_sdwa v194, v37 dst_sel:DWORD dst_unused:UNUSED_PAD src0_sel:WORD_1
	v_cvt_f32_i32_e32 v37, v26
	v_mul_lo_u32 v26, v218, v237
	v_dot4c_i32_i8_e32 v24, v169, v13
	v_cvt_f32_i32_e32 v185, v26
	v_dot4c_i32_i8_e32 v24, v180, v14
	v_mov_b32_e32 v26, 0
	v_dot4c_i32_i8_e32 v24, v181, v15
	v_dot4c_i32_i8_e32 v26, v176, v4
	;; [unrolled: 1-line block ×6, first 2 shown]
	v_pk_fma_f32 v[36:37], v[36:37], v[216:217], 0 op_sel_hi:[1,1,0]
	v_pk_fma_f32 v[38:39], v[220:221], v[194:195], v[38:39] op_sel_hi:[0,1,1]
	v_dot4c_i32_i8_e32 v24, v190, v10
	v_dot4c_i32_i8_e32 v26, v201, v7
	v_pk_fma_f32 v[36:37], v[184:185], v[212:213], v[36:37]
	v_pk_mul_f32 v[38:39], v[38:39], v[134:135]
	v_dot4c_i32_i8_e32 v24, v191, v11
	v_dot4c_i32_i8_e32 v26, v204, v0
	v_pk_fma_f32 v[36:37], v[36:37], v[132:133], v[38:39] neg_lo:[0,0,1] neg_hi:[0,0,1]
	v_dot4c_i32_i8_e32 v26, v205, v1
	v_mul_lo_u32 v28, v30, v17
	v_mul_lo_u32 v17, v24, v17
	v_pk_add_f32 v[102:103], v[102:103], v[36:37]
	v_dot4c_i32_i8_e32 v26, v208, v2
	v_cvt_f32_i32_e32 v37, v17
	v_mul_lo_u32 v17, v32, v199
	v_dot4c_i32_i8_e32 v26, v209, v3
	v_cvt_f32_i32_e32 v168, v17
	v_mov_b32_e32 v17, 0
	v_dot4c_i32_i8_e32 v17, v170, v12
	v_mul_lo_u32 v24, v26, v199
	v_mov_b32_e32 v26, 0
	v_dot4c_i32_i8_e32 v17, v171, v13
	v_dot4c_i32_i8_e32 v26, v178, v4
	;; [unrolled: 1-line block ×15, first 2 shown]
	v_mul_lo_u32 v22, v22, v25
	v_mul_lo_u32 v17, v17, v25
	v_cvt_f32_i32_e32 v169, v24
	v_cvt_f32_i32_e32 v25, v17
	;; [unrolled: 1-line block ×3, first 2 shown]
	v_mul_lo_u32 v17, v23, v236
	v_mul_lo_u32 v22, v26, v236
	v_cvt_f32_i32_e32 v23, v22
	v_cvt_f32_i32_e32 v22, v17
	v_mov_b32_e32 v17, 0
	v_dot4c_i32_i8_e32 v17, v160, v12
	v_dot4c_i32_i8_e32 v17, v161, v13
	;; [unrolled: 1-line block ×5, first 2 shown]
	v_mov_b32_e32 v8, 0
	v_dot4c_i32_i8_e32 v8, v158, v4
	v_dot4c_i32_i8_e32 v8, v159, v5
	;; [unrolled: 1-line block ×4, first 2 shown]
	v_cvt_f32_i32_e32 v36, v28
	v_dot4c_i32_i8_e32 v17, v165, v9
	v_dot4c_i32_i8_e32 v8, v154, v0
	;; [unrolled: 1-line block ×6, first 2 shown]
	v_pk_fma_f32 v[38:39], v[172:173], v[214:215], 0 op_sel_hi:[0,1,0]
	v_dot4c_i32_i8_e32 v8, v157, v3
	v_mul_lo_u32 v0, v229, v175
	v_mul_lo_u32 v1, v17, v175
	v_pk_fma_f32 v[36:37], v[36:37], v[216:217], 0 op_sel_hi:[1,1,0]
	v_pk_fma_f32 v[38:39], v[196:197], v[194:195], v[38:39] op_sel_hi:[0,1,1]
	v_cvt_f32_i32_e32 v1, v1
	v_cvt_f32_i32_e32 v0, v0
	v_mul_lo_u32 v4, v228, v173
	v_mul_lo_u32 v5, v8, v173
	v_pk_fma_f32 v[36:37], v[168:169], v[212:213], v[36:37]
	v_pk_mul_f32 v[38:39], v[38:39], v[138:139]
	v_cvt_f32_i32_e32 v5, v5
	v_cvt_f32_i32_e32 v4, v4
	v_pk_fma_f32 v[36:37], v[36:37], v[136:137], v[38:39] neg_lo:[0,0,1] neg_hi:[0,0,1]
	v_pk_fma_f32 v[24:25], v[24:25], v[216:217], 0 op_sel_hi:[1,1,0]
	v_pk_add_f32 v[106:107], v[106:107], v[36:37]
	v_pk_fma_f32 v[36:37], v[174:175], v[214:215], 0 op_sel_hi:[0,1,0]
	v_pk_fma_f32 v[2:3], v[150:151], v[214:215], 0 op_sel_hi:[0,1,0]
	v_pk_fma_f32 v[22:23], v[22:23], v[212:213], v[24:25]
	v_pk_fma_f32 v[24:25], v[198:199], v[194:195], v[36:37] op_sel_hi:[0,1,1]
	v_pk_fma_f32 v[0:1], v[0:1], v[216:217], 0 op_sel_hi:[1,1,0]
	v_pk_fma_f32 v[2:3], v[148:149], v[194:195], v[2:3] op_sel_hi:[0,1,1]
	v_pk_mul_f32 v[24:25], v[24:25], v[142:143]
	v_pk_fma_f32 v[0:1], v[4:5], v[212:213], v[0:1]
	v_pk_mul_f32 v[2:3], v[2:3], v[146:147]
	v_pk_fma_f32 v[22:23], v[22:23], v[140:141], v[24:25] neg_lo:[0,0,1] neg_hi:[0,0,1]
	v_pk_fma_f32 v[0:1], v[0:1], v[144:145], v[2:3] neg_lo:[0,0,1] neg_hi:[0,0,1]
	s_add_i32 s1, s0, 8
	v_pk_add_f32 v[112:113], v[112:113], v[22:23]
	v_pk_add_f32 v[118:119], v[118:119], v[0:1]
	s_cmp_lt_u32 s0, 24
	s_mov_b32 s0, s1
	s_cbranch_scc1 .LBB154_8
; %bb.9:                                ;   in Loop: Header=BB154_5 Depth=1
	s_add_i32 s7, s7, 1
	s_cmp_eq_u32 s7, s4
	s_barrier
	s_cbranch_scc0 .LBB154_5
; %bb.10:
	scratch_load_dword v5, off, off offset:100 ; 4-byte Folded Reload
	scratch_load_dword v6, off, off offset:96 ; 4-byte Folded Reload
	;; [unrolled: 1-line block ×3, first 2 shown]
	v_cvt_pk_f16_f32 v20, v94, v95
	v_cvt_pk_f16_f32 v19, v120, v121
	;; [unrolled: 1-line block ×16, first 2 shown]
.LBB154_11:
	s_waitcnt vmcnt(0)
	v_cmp_gt_u32_e32 vcc, s10, v7
	s_and_saveexec_b64 s[0:1], vcc
	s_cbranch_execz .LBB154_62
; %bb.12:
	v_add_u32_e32 v0, s6, v6
	v_mul_lo_u32 v21, v7, s14
	v_cmp_gt_u32_e32 vcc, s14, v0
	s_and_saveexec_b64 s[0:1], vcc
	s_cbranch_execz .LBB154_14
; %bb.13:
	v_add_u32_e32 v6, v0, v21
	v_mov_b32_e32 v7, 0
	s_waitcnt lgkmcnt(0)
	v_lshl_add_u64 v[6:7], v[6:7], 1, s[12:13]
	global_store_short v[6:7], v20, off
.LBB154_14:
	s_or_b64 exec, exec, s[0:1]
	v_add_u32_e32 v6, 32, v0
	v_cmp_gt_u32_e64 s[0:1], s14, v6
	s_and_saveexec_b64 s[2:3], s[0:1]
	s_cbranch_execz .LBB154_16
; %bb.15:
	v_add_u32_e32 v22, v6, v21
	v_mov_b32_e32 v23, 0
	s_waitcnt lgkmcnt(0)
	v_lshl_add_u64 v[22:23], v[22:23], 1, s[12:13]
	global_store_short v[22:23], v19, off
.LBB154_16:
	s_or_b64 exec, exec, s[2:3]
	v_add_u32_e32 v7, 64, v0
	v_cmp_gt_u32_e64 s[2:3], s14, v7
	s_and_saveexec_b64 s[4:5], s[2:3]
	;; [unrolled: 12-line block ×3, first 2 shown]
	s_cbranch_execz .LBB154_20
; %bb.19:
	v_add_u32_e32 v22, v8, v21
	v_mov_b32_e32 v23, 0
	s_waitcnt lgkmcnt(0)
	v_lshl_add_u64 v[22:23], v[22:23], 1, s[12:13]
	global_store_short v[22:23], v17, off
.LBB154_20:
	s_or_b64 exec, exec, s[6:7]
	v_add3_u32 v21, v5, s15, 8
	v_cmp_gt_u32_e64 s[6:7], s10, v21
	s_and_b64 exec, exec, s[6:7]
	s_cbranch_execz .LBB154_62
; %bb.21:
	v_mul_lo_u32 v21, v21, s14
	s_and_saveexec_b64 s[6:7], vcc
	s_cbranch_execnz .LBB154_63
; %bb.22:
	s_or_b64 exec, exec, s[6:7]
	s_and_saveexec_b64 s[6:7], s[0:1]
	s_cbranch_execnz .LBB154_64
.LBB154_23:
	s_or_b64 exec, exec, s[6:7]
	s_and_saveexec_b64 s[6:7], s[2:3]
	s_cbranch_execnz .LBB154_65
.LBB154_24:
	s_or_b64 exec, exec, s[6:7]
	s_and_saveexec_b64 s[6:7], s[4:5]
	s_cbranch_execz .LBB154_26
.LBB154_25:
	v_add_u32_e32 v18, v21, v8
	v_mov_b32_e32 v19, 0
	s_waitcnt lgkmcnt(0)
	v_lshl_add_u64 v[18:19], v[18:19], 1, s[12:13]
	global_store_short_d16_hi v[18:19], v17, off
.LBB154_26:
	s_or_b64 exec, exec, s[6:7]
	v_add3_u32 v17, v5, s15, 16
	v_cmp_gt_u32_e64 s[6:7], s10, v17
	s_and_b64 exec, exec, s[6:7]
	s_cbranch_execz .LBB154_62
; %bb.27:
	v_mul_lo_u32 v17, v17, s14
	s_and_saveexec_b64 s[6:7], vcc
	s_cbranch_execnz .LBB154_66
; %bb.28:
	s_or_b64 exec, exec, s[6:7]
	s_and_saveexec_b64 s[6:7], s[0:1]
	s_cbranch_execnz .LBB154_67
.LBB154_29:
	s_or_b64 exec, exec, s[6:7]
	s_and_saveexec_b64 s[6:7], s[2:3]
	s_cbranch_execnz .LBB154_68
.LBB154_30:
	s_or_b64 exec, exec, s[6:7]
	s_and_saveexec_b64 s[6:7], s[4:5]
	s_cbranch_execz .LBB154_32
.LBB154_31:
	v_add_u32_e32 v18, v17, v8
	v_mov_b32_e32 v19, 0
	s_waitcnt lgkmcnt(0)
	v_lshl_add_u64 v[18:19], v[18:19], 1, s[12:13]
	global_store_short v[18:19], v13, off
.LBB154_32:
	s_or_b64 exec, exec, s[6:7]
	v_add3_u32 v17, v5, s15, 24
	v_cmp_gt_u32_e64 s[6:7], s10, v17
	s_and_b64 exec, exec, s[6:7]
	s_cbranch_execz .LBB154_62
; %bb.33:
	v_mul_lo_u32 v17, v17, s14
	s_and_saveexec_b64 s[6:7], vcc
	s_cbranch_execnz .LBB154_69
; %bb.34:
	s_or_b64 exec, exec, s[6:7]
	s_and_saveexec_b64 s[6:7], s[0:1]
	s_cbranch_execnz .LBB154_70
.LBB154_35:
	s_or_b64 exec, exec, s[6:7]
	s_and_saveexec_b64 s[6:7], s[2:3]
	s_cbranch_execnz .LBB154_71
.LBB154_36:
	s_or_b64 exec, exec, s[6:7]
	s_and_saveexec_b64 s[6:7], s[4:5]
	s_cbranch_execz .LBB154_38
.LBB154_37:
	v_add_u32_e32 v14, v17, v8
	v_mov_b32_e32 v15, 0
	s_waitcnt lgkmcnt(0)
	v_lshl_add_u64 v[14:15], v[14:15], 1, s[12:13]
	global_store_short_d16_hi v[14:15], v13, off
.LBB154_38:
	s_or_b64 exec, exec, s[6:7]
	v_add3_u32 v13, v5, s15, 32
	v_cmp_gt_u32_e64 s[6:7], s10, v13
	s_and_b64 exec, exec, s[6:7]
	s_cbranch_execz .LBB154_62
; %bb.39:
	v_mul_lo_u32 v13, v13, s14
	s_and_saveexec_b64 s[6:7], vcc
	s_cbranch_execnz .LBB154_72
; %bb.40:
	s_or_b64 exec, exec, s[6:7]
	s_and_saveexec_b64 s[6:7], s[0:1]
	s_cbranch_execnz .LBB154_73
.LBB154_41:
	s_or_b64 exec, exec, s[6:7]
	s_and_saveexec_b64 s[6:7], s[2:3]
	s_cbranch_execnz .LBB154_74
.LBB154_42:
	s_or_b64 exec, exec, s[6:7]
	s_and_saveexec_b64 s[6:7], s[4:5]
	s_cbranch_execz .LBB154_44
.LBB154_43:
	v_add_u32_e32 v14, v13, v8
	v_mov_b32_e32 v15, 0
	s_waitcnt lgkmcnt(0)
	v_lshl_add_u64 v[14:15], v[14:15], 1, s[12:13]
	global_store_short v[14:15], v9, off
.LBB154_44:
	s_or_b64 exec, exec, s[6:7]
	v_add3_u32 v13, v5, s15, 40
	v_cmp_gt_u32_e64 s[6:7], s10, v13
	s_and_b64 exec, exec, s[6:7]
	s_cbranch_execz .LBB154_62
; %bb.45:
	v_mul_lo_u32 v13, v13, s14
	s_and_saveexec_b64 s[6:7], vcc
	s_cbranch_execnz .LBB154_75
; %bb.46:
	s_or_b64 exec, exec, s[6:7]
	s_and_saveexec_b64 s[6:7], s[0:1]
	s_cbranch_execnz .LBB154_76
.LBB154_47:
	s_or_b64 exec, exec, s[6:7]
	s_and_saveexec_b64 s[6:7], s[2:3]
	s_cbranch_execnz .LBB154_77
.LBB154_48:
	s_or_b64 exec, exec, s[6:7]
	s_and_saveexec_b64 s[6:7], s[4:5]
	s_cbranch_execz .LBB154_50
.LBB154_49:
	v_add_u32_e32 v10, v13, v8
	v_mov_b32_e32 v11, 0
	s_waitcnt lgkmcnt(0)
	v_lshl_add_u64 v[10:11], v[10:11], 1, s[12:13]
	global_store_short_d16_hi v[10:11], v9, off
.LBB154_50:
	s_or_b64 exec, exec, s[6:7]
	v_add3_u32 v9, v5, s15, 48
	v_cmp_gt_u32_e64 s[6:7], s10, v9
	s_and_b64 exec, exec, s[6:7]
	s_cbranch_execz .LBB154_62
; %bb.51:
	v_mul_lo_u32 v9, v9, s14
	s_and_saveexec_b64 s[6:7], vcc
	s_cbranch_execnz .LBB154_78
; %bb.52:
	s_or_b64 exec, exec, s[6:7]
	s_and_saveexec_b64 s[6:7], s[0:1]
	s_cbranch_execnz .LBB154_79
.LBB154_53:
	s_or_b64 exec, exec, s[6:7]
	s_and_saveexec_b64 s[6:7], s[2:3]
	s_cbranch_execnz .LBB154_80
.LBB154_54:
	s_or_b64 exec, exec, s[6:7]
	s_and_saveexec_b64 s[6:7], s[4:5]
	s_cbranch_execz .LBB154_56
.LBB154_55:
	v_add_u32_e32 v10, v9, v8
	v_mov_b32_e32 v11, 0
	s_waitcnt lgkmcnt(0)
	v_lshl_add_u64 v[10:11], v[10:11], 1, s[12:13]
	global_store_short v[10:11], v1, off
.LBB154_56:
	s_or_b64 exec, exec, s[6:7]
	v_add3_u32 v5, v5, s15, 56
	v_cmp_gt_u32_e64 s[6:7], s10, v5
	s_and_b64 exec, exec, s[6:7]
	s_cbranch_execz .LBB154_62
; %bb.57:
	v_mul_lo_u32 v5, v5, s14
	s_and_saveexec_b64 s[6:7], vcc
	s_cbranch_execnz .LBB154_81
; %bb.58:
	s_or_b64 exec, exec, s[6:7]
	s_and_saveexec_b64 s[6:7], s[0:1]
	s_cbranch_execnz .LBB154_82
.LBB154_59:
	s_or_b64 exec, exec, s[6:7]
	s_and_saveexec_b64 s[0:1], s[2:3]
	s_cbranch_execnz .LBB154_83
.LBB154_60:
	s_or_b64 exec, exec, s[0:1]
	s_and_b64 exec, exec, s[4:5]
	s_cbranch_execz .LBB154_62
.LBB154_61:
	v_add_u32_e32 v2, v5, v8
	v_mov_b32_e32 v3, 0
	s_waitcnt lgkmcnt(0)
	v_lshl_add_u64 v[2:3], v[2:3], 1, s[12:13]
	global_store_short_d16_hi v[2:3], v1, off
.LBB154_62:
	s_endpgm
.LBB154_63:
	v_add_u32_e32 v22, v21, v0
	v_mov_b32_e32 v23, 0
	s_waitcnt lgkmcnt(0)
	v_lshl_add_u64 v[22:23], v[22:23], 1, s[12:13]
	global_store_short_d16_hi v[22:23], v20, off
	s_or_b64 exec, exec, s[6:7]
	s_and_saveexec_b64 s[6:7], s[0:1]
	s_cbranch_execz .LBB154_23
.LBB154_64:
	v_add_u32_e32 v22, v21, v6
	v_mov_b32_e32 v23, 0
	s_waitcnt lgkmcnt(0)
	v_lshl_add_u64 v[22:23], v[22:23], 1, s[12:13]
	global_store_short_d16_hi v[22:23], v19, off
	s_or_b64 exec, exec, s[6:7]
	s_and_saveexec_b64 s[6:7], s[2:3]
	s_cbranch_execz .LBB154_24
.LBB154_65:
	v_add_u32_e32 v22, v21, v7
	v_mov_b32_e32 v23, 0
	s_waitcnt lgkmcnt(0)
	v_lshl_add_u64 v[22:23], v[22:23], 1, s[12:13]
	global_store_short_d16_hi v[22:23], v18, off
	s_or_b64 exec, exec, s[6:7]
	s_and_saveexec_b64 s[6:7], s[4:5]
	s_cbranch_execnz .LBB154_25
	s_branch .LBB154_26
.LBB154_66:
	v_add_u32_e32 v18, v17, v0
	v_mov_b32_e32 v19, 0
	s_waitcnt lgkmcnt(0)
	v_lshl_add_u64 v[18:19], v[18:19], 1, s[12:13]
	global_store_short v[18:19], v16, off
	s_or_b64 exec, exec, s[6:7]
	s_and_saveexec_b64 s[6:7], s[0:1]
	s_cbranch_execz .LBB154_29
.LBB154_67:
	v_add_u32_e32 v18, v17, v6
	v_mov_b32_e32 v19, 0
	s_waitcnt lgkmcnt(0)
	v_lshl_add_u64 v[18:19], v[18:19], 1, s[12:13]
	global_store_short v[18:19], v15, off
	s_or_b64 exec, exec, s[6:7]
	s_and_saveexec_b64 s[6:7], s[2:3]
	s_cbranch_execz .LBB154_30
.LBB154_68:
	v_add_u32_e32 v18, v17, v7
	v_mov_b32_e32 v19, 0
	s_waitcnt lgkmcnt(0)
	v_lshl_add_u64 v[18:19], v[18:19], 1, s[12:13]
	global_store_short v[18:19], v14, off
	s_or_b64 exec, exec, s[6:7]
	s_and_saveexec_b64 s[6:7], s[4:5]
	s_cbranch_execnz .LBB154_31
	s_branch .LBB154_32
.LBB154_69:
	v_add_u32_e32 v18, v17, v0
	v_mov_b32_e32 v19, 0
	s_waitcnt lgkmcnt(0)
	v_lshl_add_u64 v[18:19], v[18:19], 1, s[12:13]
	global_store_short_d16_hi v[18:19], v16, off
	s_or_b64 exec, exec, s[6:7]
	s_and_saveexec_b64 s[6:7], s[0:1]
	s_cbranch_execz .LBB154_35
.LBB154_70:
	v_add_u32_e32 v18, v17, v6
	v_mov_b32_e32 v19, 0
	s_waitcnt lgkmcnt(0)
	v_lshl_add_u64 v[18:19], v[18:19], 1, s[12:13]
	global_store_short_d16_hi v[18:19], v15, off
	s_or_b64 exec, exec, s[6:7]
	s_and_saveexec_b64 s[6:7], s[2:3]
	s_cbranch_execz .LBB154_36
.LBB154_71:
	v_add_u32_e32 v18, v17, v7
	v_mov_b32_e32 v19, 0
	s_waitcnt lgkmcnt(0)
	v_lshl_add_u64 v[18:19], v[18:19], 1, s[12:13]
	global_store_short_d16_hi v[18:19], v14, off
	s_or_b64 exec, exec, s[6:7]
	s_and_saveexec_b64 s[6:7], s[4:5]
	s_cbranch_execnz .LBB154_37
	s_branch .LBB154_38
.LBB154_72:
	v_add_u32_e32 v14, v13, v0
	v_mov_b32_e32 v15, 0
	s_waitcnt lgkmcnt(0)
	v_lshl_add_u64 v[14:15], v[14:15], 1, s[12:13]
	global_store_short v[14:15], v12, off
	s_or_b64 exec, exec, s[6:7]
	s_and_saveexec_b64 s[6:7], s[0:1]
	s_cbranch_execz .LBB154_41
.LBB154_73:
	v_add_u32_e32 v14, v13, v6
	v_mov_b32_e32 v15, 0
	s_waitcnt lgkmcnt(0)
	v_lshl_add_u64 v[14:15], v[14:15], 1, s[12:13]
	global_store_short v[14:15], v11, off
	s_or_b64 exec, exec, s[6:7]
	s_and_saveexec_b64 s[6:7], s[2:3]
	s_cbranch_execz .LBB154_42
.LBB154_74:
	v_add_u32_e32 v14, v13, v7
	v_mov_b32_e32 v15, 0
	s_waitcnt lgkmcnt(0)
	v_lshl_add_u64 v[14:15], v[14:15], 1, s[12:13]
	global_store_short v[14:15], v10, off
	s_or_b64 exec, exec, s[6:7]
	s_and_saveexec_b64 s[6:7], s[4:5]
	s_cbranch_execnz .LBB154_43
	s_branch .LBB154_44
.LBB154_75:
	v_add_u32_e32 v14, v13, v0
	v_mov_b32_e32 v15, 0
	s_waitcnt lgkmcnt(0)
	v_lshl_add_u64 v[14:15], v[14:15], 1, s[12:13]
	global_store_short_d16_hi v[14:15], v12, off
	s_or_b64 exec, exec, s[6:7]
	s_and_saveexec_b64 s[6:7], s[0:1]
	s_cbranch_execz .LBB154_47
.LBB154_76:
	v_add_u32_e32 v14, v13, v6
	v_mov_b32_e32 v15, 0
	s_waitcnt lgkmcnt(0)
	v_lshl_add_u64 v[14:15], v[14:15], 1, s[12:13]
	global_store_short_d16_hi v[14:15], v11, off
	s_or_b64 exec, exec, s[6:7]
	s_and_saveexec_b64 s[6:7], s[2:3]
	s_cbranch_execz .LBB154_48
.LBB154_77:
	v_add_u32_e32 v14, v13, v7
	v_mov_b32_e32 v15, 0
	s_waitcnt lgkmcnt(0)
	v_lshl_add_u64 v[14:15], v[14:15], 1, s[12:13]
	global_store_short_d16_hi v[14:15], v10, off
	s_or_b64 exec, exec, s[6:7]
	s_and_saveexec_b64 s[6:7], s[4:5]
	s_cbranch_execnz .LBB154_49
	s_branch .LBB154_50
.LBB154_78:
	v_add_u32_e32 v10, v9, v0
	v_mov_b32_e32 v11, 0
	s_waitcnt lgkmcnt(0)
	v_lshl_add_u64 v[10:11], v[10:11], 1, s[12:13]
	global_store_short v[10:11], v4, off
	s_or_b64 exec, exec, s[6:7]
	s_and_saveexec_b64 s[6:7], s[0:1]
	s_cbranch_execz .LBB154_53
.LBB154_79:
	v_add_u32_e32 v10, v9, v6
	v_mov_b32_e32 v11, 0
	s_waitcnt lgkmcnt(0)
	v_lshl_add_u64 v[10:11], v[10:11], 1, s[12:13]
	global_store_short v[10:11], v3, off
	s_or_b64 exec, exec, s[6:7]
	s_and_saveexec_b64 s[6:7], s[2:3]
	s_cbranch_execz .LBB154_54
.LBB154_80:
	v_add_u32_e32 v10, v9, v7
	v_mov_b32_e32 v11, 0
	s_waitcnt lgkmcnt(0)
	v_lshl_add_u64 v[10:11], v[10:11], 1, s[12:13]
	global_store_short v[10:11], v2, off
	s_or_b64 exec, exec, s[6:7]
	s_and_saveexec_b64 s[6:7], s[4:5]
	s_cbranch_execnz .LBB154_55
	s_branch .LBB154_56
.LBB154_81:
	v_add_u32_e32 v10, v5, v0
	v_mov_b32_e32 v11, 0
	s_waitcnt lgkmcnt(0)
	v_lshl_add_u64 v[10:11], v[10:11], 1, s[12:13]
	global_store_short_d16_hi v[10:11], v4, off
	s_or_b64 exec, exec, s[6:7]
	s_and_saveexec_b64 s[6:7], s[0:1]
	s_cbranch_execz .LBB154_59
.LBB154_82:
	v_add_u32_e32 v10, v5, v6
	v_mov_b32_e32 v11, 0
	s_waitcnt lgkmcnt(0)
	v_lshl_add_u64 v[10:11], v[10:11], 1, s[12:13]
	global_store_short_d16_hi v[10:11], v3, off
	s_or_b64 exec, exec, s[6:7]
	s_and_saveexec_b64 s[0:1], s[2:3]
	s_cbranch_execz .LBB154_60
.LBB154_83:
	v_add_u32_e32 v6, v5, v7
	v_mov_b32_e32 v7, 0
	s_waitcnt lgkmcnt(0)
	v_lshl_add_u64 v[6:7], v[6:7], 1, s[12:13]
	global_store_short_d16_hi v[6:7], v2, off
	s_or_b64 exec, exec, s[0:1]
	s_and_b64 exec, exec, s[4:5]
	s_cbranch_execnz .LBB154_61
	s_branch .LBB154_62
	.section	.rodata,"a",@progbits
	.p2align	6, 0x0
	.amdhsa_kernel _ZL12mul_mat_q5_KIN3c104HalfELb1EEvPKvS3_PT_iiiii
		.amdhsa_group_segment_fixed_size 45136
		.amdhsa_private_segment_fixed_size 112
		.amdhsa_kernarg_size 44
		.amdhsa_user_sgpr_count 2
		.amdhsa_user_sgpr_dispatch_ptr 0
		.amdhsa_user_sgpr_queue_ptr 0
		.amdhsa_user_sgpr_kernarg_segment_ptr 1
		.amdhsa_user_sgpr_dispatch_id 0
		.amdhsa_user_sgpr_kernarg_preload_length 0
		.amdhsa_user_sgpr_kernarg_preload_offset 0
		.amdhsa_user_sgpr_private_segment_size 0
		.amdhsa_uses_dynamic_stack 0
		.amdhsa_enable_private_segment 1
		.amdhsa_system_sgpr_workgroup_id_x 1
		.amdhsa_system_sgpr_workgroup_id_y 1
		.amdhsa_system_sgpr_workgroup_id_z 0
		.amdhsa_system_sgpr_workgroup_info 0
		.amdhsa_system_vgpr_workitem_id 1
		.amdhsa_next_free_vgpr 256
		.amdhsa_next_free_sgpr 96
		.amdhsa_accum_offset 256
		.amdhsa_reserve_vcc 1
		.amdhsa_float_round_mode_32 0
		.amdhsa_float_round_mode_16_64 0
		.amdhsa_float_denorm_mode_32 3
		.amdhsa_float_denorm_mode_16_64 3
		.amdhsa_dx10_clamp 1
		.amdhsa_ieee_mode 1
		.amdhsa_fp16_overflow 0
		.amdhsa_tg_split 0
		.amdhsa_exception_fp_ieee_invalid_op 0
		.amdhsa_exception_fp_denorm_src 0
		.amdhsa_exception_fp_ieee_div_zero 0
		.amdhsa_exception_fp_ieee_overflow 0
		.amdhsa_exception_fp_ieee_underflow 0
		.amdhsa_exception_fp_ieee_inexact 0
		.amdhsa_exception_int_div_zero 0
	.end_amdhsa_kernel
	.section	.text._ZL12mul_mat_q5_KIN3c104HalfELb1EEvPKvS3_PT_iiiii,"axG",@progbits,_ZL12mul_mat_q5_KIN3c104HalfELb1EEvPKvS3_PT_iiiii,comdat
.Lfunc_end154:
	.size	_ZL12mul_mat_q5_KIN3c104HalfELb1EEvPKvS3_PT_iiiii, .Lfunc_end154-_ZL12mul_mat_q5_KIN3c104HalfELb1EEvPKvS3_PT_iiiii
                                        ; -- End function
	.set _ZL12mul_mat_q5_KIN3c104HalfELb1EEvPKvS3_PT_iiiii.num_vgpr, 256
	.set _ZL12mul_mat_q5_KIN3c104HalfELb1EEvPKvS3_PT_iiiii.num_agpr, 0
	.set _ZL12mul_mat_q5_KIN3c104HalfELb1EEvPKvS3_PT_iiiii.numbered_sgpr, 21
	.set _ZL12mul_mat_q5_KIN3c104HalfELb1EEvPKvS3_PT_iiiii.num_named_barrier, 0
	.set _ZL12mul_mat_q5_KIN3c104HalfELb1EEvPKvS3_PT_iiiii.private_seg_size, 112
	.set _ZL12mul_mat_q5_KIN3c104HalfELb1EEvPKvS3_PT_iiiii.uses_vcc, 1
	.set _ZL12mul_mat_q5_KIN3c104HalfELb1EEvPKvS3_PT_iiiii.uses_flat_scratch, 0
	.set _ZL12mul_mat_q5_KIN3c104HalfELb1EEvPKvS3_PT_iiiii.has_dyn_sized_stack, 0
	.set _ZL12mul_mat_q5_KIN3c104HalfELb1EEvPKvS3_PT_iiiii.has_recursion, 0
	.set _ZL12mul_mat_q5_KIN3c104HalfELb1EEvPKvS3_PT_iiiii.has_indirect_call, 0
	.section	.AMDGPU.csdata,"",@progbits
; Kernel info:
; codeLenInByte = 17188
; TotalNumSgprs: 27
; NumVgprs: 256
; NumAgprs: 0
; TotalNumVgprs: 256
; ScratchSize: 112
; MemoryBound: 0
; FloatMode: 240
; IeeeMode: 1
; LDSByteSize: 45136 bytes/workgroup (compile time only)
; SGPRBlocks: 12
; VGPRBlocks: 31
; NumSGPRsForWavesPerEU: 102
; NumVGPRsForWavesPerEU: 256
; AccumOffset: 256
; Occupancy: 2
; WaveLimiterHint : 0
; COMPUTE_PGM_RSRC2:SCRATCH_EN: 1
; COMPUTE_PGM_RSRC2:USER_SGPR: 2
; COMPUTE_PGM_RSRC2:TRAP_HANDLER: 0
; COMPUTE_PGM_RSRC2:TGID_X_EN: 1
; COMPUTE_PGM_RSRC2:TGID_Y_EN: 1
; COMPUTE_PGM_RSRC2:TGID_Z_EN: 0
; COMPUTE_PGM_RSRC2:TIDIG_COMP_CNT: 1
; COMPUTE_PGM_RSRC3_GFX90A:ACCUM_OFFSET: 63
; COMPUTE_PGM_RSRC3_GFX90A:TG_SPLIT: 0
	.section	.text._ZL12mul_mat_q6_KIN3c104HalfELb0EEvPKvS3_PT_iiiii,"axG",@progbits,_ZL12mul_mat_q6_KIN3c104HalfELb0EEvPKvS3_PT_iiiii,comdat
	.globl	_ZL12mul_mat_q6_KIN3c104HalfELb0EEvPKvS3_PT_iiiii ; -- Begin function _ZL12mul_mat_q6_KIN3c104HalfELb0EEvPKvS3_PT_iiiii
	.p2align	8
	.type	_ZL12mul_mat_q6_KIN3c104HalfELb0EEvPKvS3_PT_iiiii,@function
_ZL12mul_mat_q6_KIN3c104HalfELb0EEvPKvS3_PT_iiiii: ; @_ZL12mul_mat_q6_KIN3c104HalfELb0EEvPKvS3_PT_iiiii
; %bb.0:
	s_load_dword s14, s[0:1], 0x18
	s_load_dwordx4 s[8:11], s[0:1], 0x20
	s_waitcnt lgkmcnt(0)
	s_lshl_b32 s11, s3, 6
	v_bfe_u32 v23, v0, 10, 10
	s_cmpk_gt_i32 s14, 0xff
	s_cbranch_scc1 .LBB155_2
; %bb.1:
	v_bfe_u32 v5, v0, 10, 10
	v_and_b32_e32 v17, 0x3ff, v0
	v_add_u32_e32 v25, s11, v5
	s_mov_b64 s[4:5], 0
	s_branch .LBB155_3
.LBB155_2:
	s_mov_b64 s[4:5], -1
                                        ; implicit-def: $vgpr5
                                        ; implicit-def: $vgpr17
                                        ; implicit-def: $vgpr25
.LBB155_3:
	s_load_dwordx2 s[12:13], s[0:1], 0x10
	s_lshl_b32 s6, s2, 7
	s_mov_b32 s7, 0
	v_mov_b32_e32 v1, 0
	s_andn2_b64 vcc, exec, s[4:5]
	v_mov_b32_e32 v9, 0
	v_mov_b32_e32 v13, 0
	;; [unrolled: 1-line block ×15, first 2 shown]
	s_cbranch_vccnz .LBB155_11
; %bb.4:
	s_ashr_i32 s4, s14, 31
	s_load_dwordx4 s[0:3], s[0:1], 0x0
	s_lshr_b32 s4, s4, 24
	s_add_i32 s14, s14, s4
	s_ashr_i32 s5, s9, 31
	s_ashr_i32 s4, s14, 8
	s_lshr_b32 s5, s5, 27
	v_lshrrev_b32_e32 v3, 1, v0
	v_and_b32_e32 v4, 7, v0
	s_add_i32 s5, s9, s5
	s_mul_i32 s9, s4, s6
	v_and_b32_e32 v1, 31, v0
	v_and_or_b32 v3, v3, 8, v4
	s_ashr_i32 s15, s5, 5
	s_mul_hi_i32 s14, s9, 0xd2
	s_mulk_i32 s9, 0xd2
	v_lshlrev_b32_e32 v20, 2, v3
	v_add_u16_e32 v3, -16, v1
	v_cmp_gt_u32_e32 vcc, 16, v1
	s_waitcnt lgkmcnt(0)
	s_add_u32 s9, s0, s9
	v_lshlrev_b32_e32 v2, 1, v1
	v_lshlrev_b32_e32 v18, 2, v1
	v_cndmask_b32_e32 v1, v3, v1, vcc
	s_addc_u32 s14, s1, s14
	v_cmp_lt_u16_e64 s[0:1], 7, v1
	v_add_u32_e32 v1, 0xe0, v2
	v_cndmask_b32_e32 v1, v1, v2, vcc
	v_and_b32_e32 v1, 0xfe, v1
	v_sub_u32_e32 v1, v2, v1
	v_and_b32_e32 v2, 15, v0
	v_mul_u32_u24_e32 v3, 0x41, v23
	v_cndmask_b32_e64 v27, 0, 2, s[0:1]
	v_lshlrev_b32_e32 v1, 2, v1
	v_lshlrev_b32_e32 v2, 2, v2
	;; [unrolled: 1-line block ×3, first 2 shown]
	s_lshl_b32 s0, s4, 3
	v_add3_u32 v29, v1, v2, v3
	v_mov_b32_e32 v1, s0
	v_mad_i32_i24 v22, s4, v23, v1
	v_add_u32_e32 v24, s0, v22
	v_add_u32_e32 v26, s0, v24
	;; [unrolled: 1-line block ×6, first 2 shown]
	v_and_b32_e32 v17, 0x3ff, v0
	v_add_u32_e32 v36, s0, v34
	v_lshlrev_b32_e32 v37, 5, v23
	v_add_u32_e32 v38, s0, v36
	v_add_u32_e32 v1, v37, v17
	;; [unrolled: 1-line block ×3, first 2 shown]
	v_and_b32_e32 v2, 0x7f, v1
	v_lshrrev_b32_e32 v1, 3, v1
	v_add_u32_e32 v42, s0, v40
	v_mul_i32_i24_e32 v52, s4, v2
	v_and_b32_e32 v1, 12, v1
	v_lshlrev_b32_e32 v2, 2, v2
	s_mov_b32 s16, 0xae40
	v_add_u32_e32 v44, s0, v42
	v_add3_u32 v39, v2, v1, s16
	v_lshlrev_b32_e32 v1, 3, v23
	v_bfe_u32 v4, v0, 2, 8
	v_add_u32_e32 v46, s0, v44
	v_add_u32_e32 v14, v4, v1
	v_and_b32_e32 v2, 3, v0
	v_add_u16_e32 v1, v4, v1
	v_add_u32_e32 v48, s0, v46
	v_lshlrev_b32_e32 v54, 2, v2
	v_and_b32_e32 v5, 0x7f, v14
	v_lshrrev_b16_e32 v1, 1, v1
	v_add_u32_e32 v50, s0, v48
	v_mul_i32_i24_e32 v56, s4, v5
	v_lshl_or_b32 v5, v5, 4, v54
	v_and_b32_e32 v1, 60, v1
	s_mov_b32 s0, 0xa200
	v_add3_u32 v41, v5, v1, s0
	v_mov_b32_e32 v1, 0x7f
	v_bitop3_b32 v1, v14, 64, v1 bitop3:0x6c
	v_mul_i32_i24_e32 v58, s4, v1
	v_lshl_or_b32 v4, v1, 4, v54
	v_lshrrev_b32_e32 v1, 1, v1
	v_and_b32_e32 v1, 60, v1
	v_add3_u32 v43, v4, v1, s0
	v_and_b32_e32 v1, 63, v14
	v_add_u32_e32 v25, s11, v23
	s_add_i32 s0, s8, -1
	v_or_b32_e32 v14, s11, v1
	v_lshl_or_b32 v1, v1, 4, v54
	v_bfe_u32 v16, v0, 5, 5
	v_cvt_f64_i32_e32 v[4:5], s0
	v_add_u32_e32 v47, 0xaa40, v1
	v_bfe_u32 v49, v0, 3, 7
	v_cvt_f64_u32_e32 v[0:1], v25
	v_min_f64 v[0:1], v[0:1], v[4:5]
	v_cvt_i32_f64_e32 v0, v[0:1]
	v_mul_lo_u32 v51, s15, v0
	v_add_u32_e32 v0, 8, v25
	v_cvt_f64_u32_e32 v[0:1], v0
	v_min_f64 v[0:1], v[0:1], v[4:5]
	v_cvt_i32_f64_e32 v0, v[0:1]
	v_mul_lo_u32 v53, s15, v0
	v_add_u32_e32 v0, 16, v25
	v_cvt_f64_u32_e32 v[0:1], v0
	v_min_f64 v[0:1], v[0:1], v[4:5]
	v_cvt_i32_f64_e32 v0, v[0:1]
	v_mul_lo_u32 v57, s15, v0
	v_add_u32_e32 v0, 24, v25
	v_cvt_f64_u32_e32 v[0:1], v0
	v_min_f64 v[0:1], v[0:1], v[4:5]
	v_cvt_i32_f64_e32 v0, v[0:1]
	v_mul_lo_u32 v59, s15, v0
	v_add_u32_e32 v0, 32, v25
	v_cvt_f64_u32_e32 v[0:1], v0
	v_add_u32_e32 v3, 8, v23
	v_min_i32_e32 v14, s0, v14
	v_min_f64 v[0:1], v[0:1], v[4:5]
	v_mad_u64_u32 v[60:61], s[0:1], v14, s15, v[2:3]
	v_cvt_i32_f64_e32 v0, v[0:1]
	v_mul_lo_u32 v61, s15, v0
	v_add_u32_e32 v0, 40, v25
	v_cvt_f64_u32_e32 v[0:1], v0
	v_min_f64 v[0:1], v[0:1], v[4:5]
	v_cvt_i32_f64_e32 v0, v[0:1]
	v_mul_lo_u32 v172, s15, v0
	v_add_u32_e32 v0, 48, v25
	v_cvt_f64_u32_e32 v[0:1], v0
	v_min_f64 v[0:1], v[0:1], v[4:5]
	;; [unrolled: 5-line block ×3, first 2 shown]
	v_lshlrev_b32_e32 v45, 2, v17
	v_cvt_i32_f64_e32 v0, v[0:1]
	v_lshlrev_b32_e32 v1, 2, v16
	v_add3_u32 v175, v1, v45, s16
	v_add_u32_e32 v1, 32, v17
	v_lshrrev_b32_e32 v176, 3, v1
	v_lshlrev_b32_e32 v4, 2, v1
	v_and_b32_e32 v1, 60, v176
	v_add3_u32 v177, v45, v1, s16
	v_add_u32_e32 v1, 64, v17
	v_lshrrev_b32_e32 v178, 3, v1
	v_lshlrev_b32_e32 v5, 2, v1
	v_and_b32_e32 v1, 60, v178
	;; [unrolled: 5-line block ×3, first 2 shown]
	v_add3_u32 v181, v45, v1, s16
	s_movk_i32 s0, 0x104
	v_mov_b32_e32 v1, 0x2080
	v_mov_b32_e32 v19, 0
	v_add_u32_e32 v8, 16, v23
	v_add_u32_e32 v9, 24, v23
	;; [unrolled: 1-line block ×6, first 2 shown]
	v_mad_u32_u24 v190, v17, s0, v1
	v_mov_b32_e32 v1, 0x4100
	v_add_u32_e32 v31, 0x30c0, v29
	v_and_b32_e32 v6, 28, v45
	v_mov_b32_e32 v7, v19
	v_or_b32_e32 v15, 0x8200, v18
	v_lshlrev_b32_e32 v2, 7, v23
	v_lshlrev_b32_e32 v14, 7, v3
	;; [unrolled: 1-line block ×7, first 2 shown]
	v_mul_lo_u32 v174, s15, v0
	v_lshlrev_b32_e32 v0, 7, v13
	v_mad_u32_u24 v191, v17, s0, v1
	v_mov_b32_e32 v1, 0x6180
	v_mov_b32_e32 v64, v19
	;; [unrolled: 1-line block ×3, first 2 shown]
	s_movk_i32 s5, 0xd2
	v_mov_b32_e32 v21, v19
	v_add_u32_e32 v33, 0x71c0, v29
	v_add_u32_e32 v35, 0x79e0, v29
	v_mov_b32_e32 v55, v19
	v_lshlrev_b32_e32 v182, 5, v3
	v_lshlrev_b32_e32 v183, 5, v8
	;; [unrolled: 1-line block ×7, first 2 shown]
	v_mul_u32_u24_e32 v189, 0x104, v17
	v_mad_u32_u24 v192, v17, s0, v1
	v_lshl_add_u64 v[62:63], s[2:3], 0, v[6:7]
	s_mov_b32 s15, 0x30303030
	s_movk_i32 s16, 0xe000
	s_movk_i32 s17, 0x3f00
	v_add_u32_e32 v193, v15, v2
	v_add_u32_e32 v194, v15, v14
	;; [unrolled: 1-line block ×16, first 2 shown]
	v_lshlrev_b32_e32 v209, 2, v4
	v_lshlrev_b32_e32 v210, 2, v5
	;; [unrolled: 1-line block ×3, first 2 shown]
	v_mov_b64_e32 v[72:73], v[64:65]
	v_mov_b64_e32 v[68:69], v[64:65]
	;; [unrolled: 1-line block ×15, first 2 shown]
.LBB155_5:                              ; =>This Loop Header: Depth=1
                                        ;     Child Loop BB155_6 Depth 2
                                        ;     Child Loop BB155_8 Depth 2
	s_mul_i32 s0, s7, 0xd2
	s_mul_hi_u32 s1, s7, 0xd2
	s_add_u32 s0, s9, s0
	s_addc_u32 s1, s14, s1
	v_mov_b64_e32 v[0:1], s[0:1]
	v_mad_u64_u32 v[2:3], s[0:1], v16, s5, v[0:1]
	v_mul_i32_i24_e32 v4, s4, v23
	v_mad_u64_u32 v[4:5], s[0:1], v4, s5, v[2:3]
	v_mad_u64_u32 v[8:9], s[0:1], v22, s5, v[2:3]
	v_lshl_add_u64 v[6:7], v[4:5], 0, v[18:19]
	v_lshl_add_u64 v[10:11], v[8:9], 0, v[18:19]
	;; [unrolled: 1-line block ×3, first 2 shown]
	global_load_dword v12, v[6:7], off
	global_load_dword v13, v[4:5], off offset:128
	s_nop 0
	global_load_dword v10, v[10:11], off
	v_mad_u64_u32 v[6:7], s[0:1], v24, s5, v[2:3]
	v_lshl_add_u64 v[4:5], v[8:9], 0, v[20:21]
	v_lshl_add_u64 v[8:9], v[6:7], 0, v[18:19]
	global_load_dword v11, v[4:5], off offset:128
	s_nop 0
	global_load_dword v8, v[8:9], off
	v_lshl_add_u64 v[4:5], v[6:7], 0, v[20:21]
	global_load_dword v9, v[4:5], off offset:128
	v_mad_u64_u32 v[4:5], s[0:1], v26, s5, v[2:3]
	v_lshl_add_u64 v[6:7], v[4:5], 0, v[18:19]
	v_lshl_add_u64 v[4:5], v[4:5], 0, v[20:21]
	global_load_dword v14, v[6:7], off
	global_load_dword v15, v[4:5], off offset:128
	s_lshl_b32 s18, s7, 3
	v_add_u32_e32 v217, s18, v60
	s_mov_b32 s20, 0
	s_waitcnt vmcnt(7)
	v_lshrrev_b32_e32 v5, 4, v12
	s_waitcnt vmcnt(6)
	v_ashrrev_i32_e32 v6, v27, v13
	v_and_b32_e32 v4, 0xf0f0f0f, v12
	s_waitcnt vmcnt(5)
	v_and_b32_e32 v7, 0xf0f0f0f, v10
	v_lshrrev_b32_e32 v10, 4, v10
	v_and_b32_e32 v5, 0xf0f0f0f, v5
	s_waitcnt vmcnt(4)
	v_ashrrev_i32_e32 v11, v27, v11
	v_lshlrev_b32_e32 v13, 4, v6
	v_and_b32_e32 v10, 0xf0f0f0f, v10
	v_lshlrev_b32_e32 v96, 4, v11
	v_and_or_b32 v4, v13, s15, v4
	v_and_or_b32 v5, v6, s15, v5
	;; [unrolled: 1-line block ×4, first 2 shown]
	v_lshrrev_b32_e32 v10, 16, v4
	v_lshlrev_b16_e32 v11, 8, v4
	v_lshrrev_b32_e32 v13, 16, v5
	v_lshlrev_b16_e32 v96, 8, v5
	;; [unrolled: 2-line block ×4, first 2 shown]
	v_add_u16_e32 v11, 0xe000, v11
	v_lshlrev_b16_e32 v101, 8, v10
	v_add_u16_e32 v96, 0xe000, v96
	v_lshlrev_b16_e32 v102, 8, v13
	;; [unrolled: 2-line block ×4, first 2 shown]
	v_lshrrev_b16_e32 v11, 8, v11
	v_add_u16_e32 v101, 0xe000, v101
	v_lshrrev_b16_e32 v96, 8, v96
	v_add_u16_e32 v102, 0xe000, v102
	;; [unrolled: 2-line block ×4, first 2 shown]
	v_bitop3_b16 v4, v4, v11, s17 bitop3:0xec
	v_lshrrev_b16_e32 v11, 8, v101
	v_bitop3_b16 v5, v5, v96, s17 bitop3:0xec
	v_lshrrev_b16_e32 v96, 8, v102
	;; [unrolled: 2-line block ×4, first 2 shown]
	v_bitop3_b16 v10, v10, v11, s17 bitop3:0xec
	v_bitop3_b16 v11, v13, v96, s17 bitop3:0xec
	v_add_u16_e32 v4, 0xe000, v4
	v_add_u16_e32 v5, 0xe000, v5
	v_bitop3_b16 v13, v97, v98, s17 bitop3:0xec
	v_bitop3_b16 v96, v99, v100, s17 bitop3:0xec
	v_add_u16_sdwa v10, v10, s16 dst_sel:WORD_1 dst_unused:UNUSED_PAD src0_sel:DWORD src1_sel:DWORD
	v_add_u16_sdwa v11, v11, s16 dst_sel:WORD_1 dst_unused:UNUSED_PAD src0_sel:DWORD src1_sel:DWORD
	v_add_u16_e32 v6, 0xe000, v6
	v_add_u16_e32 v7, 0xe000, v7
	v_add_u16_sdwa v13, v13, s16 dst_sel:WORD_1 dst_unused:UNUSED_PAD src0_sel:DWORD src1_sel:DWORD
	v_add_u16_sdwa v96, v96, s16 dst_sel:WORD_1 dst_unused:UNUSED_PAD src0_sel:DWORD src1_sel:DWORD
	v_or_b32_e32 v4, v4, v10
	v_or_b32_e32 v5, v5, v11
	;; [unrolled: 1-line block ×4, first 2 shown]
	ds_write2_b32 v29, v4, v5 offset1:16
	ds_write2_b32 v201, v6, v7 offset0:8 offset1:24
	s_waitcnt vmcnt(2)
	v_ashrrev_i32_e32 v9, v27, v9
	v_mad_u64_u32 v[4:5], s[0:1], v28, s5, v[2:3]
	v_and_b32_e32 v12, 0xf0f0f0f, v8
	v_lshlrev_b32_e32 v10, 4, v9
	v_lshl_add_u64 v[6:7], v[4:5], 0, v[18:19]
	global_load_dword v11, v[6:7], off
	v_and_or_b32 v6, v10, s15, v12
	v_lshl_add_u64 v[4:5], v[4:5], 0, v[20:21]
	global_load_dword v10, v[4:5], off offset:128
	v_lshlrev_b16_e32 v5, 8, v6
	v_add_u16_e32 v5, 0xe000, v5
	v_lshrrev_b32_e32 v4, 16, v6
	v_lshrrev_b16_e32 v5, 8, v5
	v_bitop3_b16 v5, v6, v5, s17 bitop3:0xec
	v_lshlrev_b16_e32 v6, 8, v4
	v_add_u16_e32 v6, 0xe000, v6
	v_lshrrev_b16_e32 v6, 8, v6
	v_lshrrev_b32_e32 v8, 4, v8
	v_bitop3_b16 v4, v4, v6, s17 bitop3:0xec
	v_and_b32_e32 v8, 0xf0f0f0f, v8
	v_add_u16_e32 v5, 0xe000, v5
	v_add_u16_sdwa v4, v4, s16 dst_sel:WORD_1 dst_unused:UNUSED_PAD src0_sel:DWORD src1_sel:DWORD
	s_nop 0
	v_or_b32_e32 v12, v5, v4
	v_and_or_b32 v4, v9, s15, v8
	v_lshlrev_b16_e32 v6, 8, v4
	v_add_u16_e32 v6, 0xe000, v6
	v_lshrrev_b32_e32 v5, 16, v4
	v_lshrrev_b16_e32 v6, 8, v6
	v_bitop3_b16 v4, v4, v6, s17 bitop3:0xec
	v_lshlrev_b16_e32 v6, 8, v5
	v_add_u16_e32 v6, 0xe000, v6
	v_lshrrev_b16_e32 v6, 8, v6
	v_bitop3_b16 v5, v5, v6, s17 bitop3:0xec
	v_add_u16_e32 v4, 0xe000, v4
	v_add_u16_sdwa v5, v5, s16 dst_sel:WORD_1 dst_unused:UNUSED_PAD src0_sel:DWORD src1_sel:DWORD
	s_nop 0
	v_or_b32_e32 v8, v4, v5
	v_mad_u64_u32 v[4:5], s[0:1], v30, s5, v[2:3]
	v_lshl_add_u64 v[6:7], v[4:5], 0, v[18:19]
	v_lshl_add_u64 v[4:5], v[4:5], 0, v[20:21]
	global_load_dword v9, v[6:7], off
	ds_write2_b32 v202, v12, v8 offset0:16 offset1:32
	global_load_dword v8, v[4:5], off offset:128
	s_waitcnt vmcnt(4)
	v_ashrrev_i32_e32 v6, v27, v15
	v_and_b32_e32 v4, 0xf0f0f0f, v14
	v_lshlrev_b32_e32 v7, 4, v6
	v_and_or_b32 v4, v7, s15, v4
	v_lshlrev_b16_e32 v12, 8, v4
	v_add_u16_e32 v12, 0xe000, v12
	v_lshrrev_b32_e32 v7, 16, v4
	v_lshrrev_b16_e32 v12, 8, v12
	v_bitop3_b16 v4, v4, v12, s17 bitop3:0xec
	v_lshlrev_b16_e32 v12, 8, v7
	v_add_u16_e32 v12, 0xe000, v12
	v_lshrrev_b16_e32 v12, 8, v12
	v_lshrrev_b32_e32 v5, 4, v14
	v_bitop3_b16 v7, v7, v12, s17 bitop3:0xec
	v_and_b32_e32 v5, 0xf0f0f0f, v5
	v_add_u16_e32 v4, 0xe000, v4
	v_add_u16_sdwa v7, v7, s16 dst_sel:WORD_1 dst_unused:UNUSED_PAD src0_sel:DWORD src1_sel:DWORD
	s_nop 0
	v_or_b32_e32 v12, v4, v7
	v_and_or_b32 v4, v6, s15, v5
	v_lshlrev_b16_e32 v5, 8, v4
	v_add_u16_e32 v5, 0xe000, v5
	v_lshrrev_b16_e32 v5, 8, v5
	v_lshrrev_b32_e32 v13, 16, v4
	v_bitop3_b16 v4, v4, v5, s17 bitop3:0xec
	v_add_u16_e32 v14, 0xe000, v4
	v_mad_u64_u32 v[4:5], s[0:1], v32, s5, v[2:3]
	v_lshl_add_u64 v[6:7], v[4:5], 0, v[18:19]
	global_load_dword v15, v[6:7], off
	v_lshl_add_u64 v[4:5], v[4:5], 0, v[20:21]
	global_load_dword v96, v[4:5], off offset:128
	v_lshlrev_b16_e32 v6, 8, v13
	v_add_u16_e32 v4, 0xe000, v6
	v_lshrrev_b16_e32 v4, 8, v4
	v_bitop3_b16 v4, v13, v4, s17 bitop3:0xec
	v_add_u16_sdwa v4, v4, s16 dst_sel:WORD_1 dst_unused:UNUSED_PAD src0_sel:DWORD src1_sel:DWORD
	s_nop 0
	v_or_b32_e32 v4, v14, v4
	ds_write2_b32 v203, v12, v4 offset0:24 offset1:40
	v_mad_u64_u32 v[4:5], s[0:1], v34, s5, v[2:3]
	v_lshl_add_u64 v[6:7], v[4:5], 0, v[18:19]
	v_lshl_add_u64 v[4:5], v[4:5], 0, v[20:21]
	global_load_dword v12, v[6:7], off
	global_load_dword v13, v[4:5], off offset:128
	s_waitcnt vmcnt(6)
	v_ashrrev_i32_e32 v6, v27, v10
	v_and_b32_e32 v4, 0xf0f0f0f, v11
	v_lshlrev_b32_e32 v7, 4, v6
	v_and_or_b32 v4, v7, s15, v4
	v_lshlrev_b16_e32 v10, 8, v4
	v_add_u16_e32 v10, 0xe000, v10
	v_lshrrev_b32_e32 v7, 16, v4
	v_lshrrev_b16_e32 v10, 8, v10
	v_bitop3_b16 v4, v4, v10, s17 bitop3:0xec
	v_lshlrev_b16_e32 v10, 8, v7
	v_add_u16_e32 v10, 0xe000, v10
	v_lshrrev_b32_e32 v5, 4, v11
	v_lshrrev_b16_e32 v10, 8, v10
	v_and_b32_e32 v5, 0xf0f0f0f, v5
	v_bitop3_b16 v7, v7, v10, s17 bitop3:0xec
	v_add_u16_e32 v4, 0xe000, v4
	v_add_u16_sdwa v7, v7, s16 dst_sel:WORD_1 dst_unused:UNUSED_PAD src0_sel:DWORD src1_sel:DWORD
	v_and_or_b32 v5, v6, s15, v5
	v_or_b32_e32 v4, v4, v7
	v_lshlrev_b16_e32 v7, 8, v5
	v_add_u16_e32 v7, 0xe000, v7
	v_lshrrev_b32_e32 v6, 16, v5
	v_lshrrev_b16_e32 v7, 8, v7
	v_bitop3_b16 v5, v5, v7, s17 bitop3:0xec
	v_lshlrev_b16_e32 v7, 8, v6
	v_add_u16_e32 v7, 0xe000, v7
	v_lshrrev_b16_e32 v7, 8, v7
	v_bitop3_b16 v6, v6, v7, s17 bitop3:0xec
	v_add_u16_e32 v5, 0xe000, v5
	v_add_u16_sdwa v6, v6, s16 dst_sel:WORD_1 dst_unused:UNUSED_PAD src0_sel:DWORD src1_sel:DWORD
	s_waitcnt vmcnt(2)
	v_ashrrev_i32_e32 v10, v27, v96
	v_or_b32_e32 v5, v5, v6
	v_ashrrev_i32_e32 v6, v27, v8
	ds_write2_b32 v204, v4, v5 offset0:32 offset1:48
	v_and_b32_e32 v4, 0xf0f0f0f, v9
	v_lshlrev_b32_e32 v7, 4, v6
	v_and_or_b32 v4, v7, s15, v4
	v_lshlrev_b16_e32 v8, 8, v4
	v_add_u16_e32 v8, 0xe000, v8
	v_lshrrev_b32_e32 v7, 16, v4
	v_lshrrev_b16_e32 v8, 8, v8
	v_bitop3_b16 v4, v4, v8, s17 bitop3:0xec
	v_lshlrev_b16_e32 v8, 8, v7
	v_add_u16_e32 v8, 0xe000, v8
	v_lshrrev_b32_e32 v5, 4, v9
	v_lshrrev_b16_e32 v8, 8, v8
	v_and_b32_e32 v5, 0xf0f0f0f, v5
	v_bitop3_b16 v7, v7, v8, s17 bitop3:0xec
	v_add_u16_e32 v4, 0xe000, v4
	v_add_u16_sdwa v7, v7, s16 dst_sel:WORD_1 dst_unused:UNUSED_PAD src0_sel:DWORD src1_sel:DWORD
	v_and_or_b32 v5, v6, s15, v5
	v_or_b32_e32 v4, v4, v7
	v_lshlrev_b16_e32 v7, 8, v5
	v_add_u16_e32 v7, 0xe000, v7
	v_lshrrev_b32_e32 v6, 16, v5
	v_lshrrev_b16_e32 v7, 8, v7
	v_bitop3_b16 v5, v5, v7, s17 bitop3:0xec
	v_lshlrev_b16_e32 v7, 8, v6
	v_add_u16_e32 v7, 0xe000, v7
	v_lshrrev_b16_e32 v7, 8, v7
	v_bitop3_b16 v6, v6, v7, s17 bitop3:0xec
	v_add_u16_e32 v5, 0xe000, v5
	v_add_u16_sdwa v6, v6, s16 dst_sel:WORD_1 dst_unused:UNUSED_PAD src0_sel:DWORD src1_sel:DWORD
	v_and_b32_e32 v8, 0xf0f0f0f, v15
	v_or_b32_e32 v5, v5, v6
	ds_write2_b32 v205, v4, v5 offset0:40 offset1:56
	v_lshrrev_b32_e32 v4, 4, v15
	v_and_b32_e32 v9, 0xf0f0f0f, v4
	v_mad_u64_u32 v[4:5], s[0:1], v36, s5, v[2:3]
	v_lshlrev_b32_e32 v11, 4, v10
	v_lshl_add_u64 v[6:7], v[4:5], 0, v[18:19]
	global_load_dword v14, v[6:7], off
	v_and_or_b32 v6, v11, s15, v8
	v_lshl_add_u64 v[4:5], v[4:5], 0, v[20:21]
	global_load_dword v8, v[4:5], off offset:128
	v_lshlrev_b16_e32 v5, 8, v6
	v_add_u16_e32 v5, 0xe000, v5
	v_lshrrev_b32_e32 v4, 16, v6
	v_lshrrev_b16_e32 v5, 8, v5
	v_bitop3_b16 v5, v6, v5, s17 bitop3:0xec
	v_lshlrev_b16_e32 v6, 8, v4
	v_add_u16_e32 v6, 0xe000, v6
	v_lshrrev_b16_e32 v6, 8, v6
	v_bitop3_b16 v4, v4, v6, s17 bitop3:0xec
	v_add_u16_e32 v5, 0xe000, v5
	v_add_u16_sdwa v4, v4, s16 dst_sel:WORD_1 dst_unused:UNUSED_PAD src0_sel:DWORD src1_sel:DWORD
	s_nop 0
	v_or_b32_e32 v11, v5, v4
	v_and_or_b32 v4, v10, s15, v9
	v_lshlrev_b16_e32 v6, 8, v4
	v_add_u16_e32 v6, 0xe000, v6
	v_lshrrev_b32_e32 v5, 16, v4
	v_lshrrev_b16_e32 v6, 8, v6
	v_bitop3_b16 v4, v4, v6, s17 bitop3:0xec
	v_lshlrev_b16_e32 v6, 8, v5
	v_add_u16_e32 v6, 0xe000, v6
	v_lshrrev_b16_e32 v6, 8, v6
	v_bitop3_b16 v5, v5, v6, s17 bitop3:0xec
	v_add_u16_e32 v4, 0xe000, v4
	v_add_u16_sdwa v5, v5, s16 dst_sel:WORD_1 dst_unused:UNUSED_PAD src0_sel:DWORD src1_sel:DWORD
	s_nop 0
	v_or_b32_e32 v9, v4, v5
	v_mad_u64_u32 v[4:5], s[0:1], v38, s5, v[2:3]
	v_lshl_add_u64 v[6:7], v[4:5], 0, v[18:19]
	v_lshl_add_u64 v[4:5], v[4:5], 0, v[20:21]
	global_load_dword v10, v[6:7], off
	ds_write2_b32 v31, v11, v9 offset1:16
	global_load_dword v9, v[4:5], off offset:128
	s_waitcnt vmcnt(4)
	v_ashrrev_i32_e32 v6, v27, v13
	v_and_b32_e32 v4, 0xf0f0f0f, v12
	v_lshlrev_b32_e32 v7, 4, v6
	v_and_or_b32 v4, v7, s15, v4
	v_lshlrev_b16_e32 v11, 8, v4
	v_add_u16_e32 v11, 0xe000, v11
	v_lshrrev_b32_e32 v7, 16, v4
	v_lshrrev_b16_e32 v11, 8, v11
	v_bitop3_b16 v4, v4, v11, s17 bitop3:0xec
	v_lshlrev_b16_e32 v11, 8, v7
	v_add_u16_e32 v11, 0xe000, v11
	v_lshrrev_b16_e32 v11, 8, v11
	v_lshrrev_b32_e32 v5, 4, v12
	v_bitop3_b16 v7, v7, v11, s17 bitop3:0xec
	v_and_b32_e32 v5, 0xf0f0f0f, v5
	v_add_u16_e32 v4, 0xe000, v4
	v_add_u16_sdwa v7, v7, s16 dst_sel:WORD_1 dst_unused:UNUSED_PAD src0_sel:DWORD src1_sel:DWORD
	s_nop 0
	v_or_b32_e32 v11, v4, v7
	v_and_or_b32 v4, v6, s15, v5
	v_lshlrev_b16_e32 v5, 8, v4
	v_add_u16_e32 v5, 0xe000, v5
	v_lshrrev_b16_e32 v5, 8, v5
	v_lshrrev_b32_e32 v12, 16, v4
	v_bitop3_b16 v4, v4, v5, s17 bitop3:0xec
	v_add_u16_e32 v13, 0xe000, v4
	v_mad_u64_u32 v[4:5], s[0:1], v40, s5, v[2:3]
	v_lshl_add_u64 v[6:7], v[4:5], 0, v[18:19]
	global_load_dword v15, v[6:7], off
	v_lshl_add_u64 v[4:5], v[4:5], 0, v[20:21]
	global_load_dword v96, v[4:5], off offset:128
	v_lshlrev_b16_e32 v6, 8, v12
	v_add_u16_e32 v4, 0xe000, v6
	v_lshrrev_b16_e32 v4, 8, v4
	v_bitop3_b16 v4, v12, v4, s17 bitop3:0xec
	v_add_u16_sdwa v4, v4, s16 dst_sel:WORD_1 dst_unused:UNUSED_PAD src0_sel:DWORD src1_sel:DWORD
	s_nop 0
	v_or_b32_e32 v4, v13, v4
	ds_write2_b32 v206, v11, v4 offset0:8 offset1:24
	v_mad_u64_u32 v[4:5], s[0:1], v42, s5, v[2:3]
	v_lshl_add_u64 v[6:7], v[4:5], 0, v[18:19]
	v_lshl_add_u64 v[4:5], v[4:5], 0, v[20:21]
	global_load_dword v11, v[6:7], off
	global_load_dword v12, v[4:5], off offset:128
	s_waitcnt vmcnt(6)
	v_ashrrev_i32_e32 v6, v27, v8
	v_and_b32_e32 v4, 0xf0f0f0f, v14
	v_lshlrev_b32_e32 v7, 4, v6
	v_and_or_b32 v4, v7, s15, v4
	v_lshlrev_b16_e32 v8, 8, v4
	v_add_u16_e32 v8, 0xe000, v8
	v_lshrrev_b32_e32 v7, 16, v4
	v_lshrrev_b16_e32 v8, 8, v8
	v_bitop3_b16 v4, v4, v8, s17 bitop3:0xec
	v_lshlrev_b16_e32 v8, 8, v7
	v_add_u16_e32 v8, 0xe000, v8
	v_lshrrev_b32_e32 v5, 4, v14
	v_lshrrev_b16_e32 v8, 8, v8
	v_and_b32_e32 v5, 0xf0f0f0f, v5
	v_bitop3_b16 v7, v7, v8, s17 bitop3:0xec
	v_add_u16_e32 v4, 0xe000, v4
	v_add_u16_sdwa v7, v7, s16 dst_sel:WORD_1 dst_unused:UNUSED_PAD src0_sel:DWORD src1_sel:DWORD
	v_and_or_b32 v5, v6, s15, v5
	v_or_b32_e32 v4, v4, v7
	v_lshlrev_b16_e32 v7, 8, v5
	v_add_u16_e32 v7, 0xe000, v7
	v_lshrrev_b32_e32 v6, 16, v5
	v_lshrrev_b16_e32 v7, 8, v7
	v_bitop3_b16 v5, v5, v7, s17 bitop3:0xec
	v_lshlrev_b16_e32 v7, 8, v6
	v_add_u16_e32 v7, 0xe000, v7
	v_lshrrev_b16_e32 v7, 8, v7
	v_bitop3_b16 v6, v6, v7, s17 bitop3:0xec
	v_add_u16_e32 v5, 0xe000, v5
	v_add_u16_sdwa v6, v6, s16 dst_sel:WORD_1 dst_unused:UNUSED_PAD src0_sel:DWORD src1_sel:DWORD
	s_nop 0
	v_or_b32_e32 v5, v5, v6
	ds_write2_b32 v207, v4, v5 offset0:16 offset1:32
	s_waitcnt vmcnt(5)
	v_and_b32_e32 v4, 0xf0f0f0f, v10
	s_waitcnt vmcnt(4)
	v_ashrrev_i32_e32 v6, v27, v9
	v_lshlrev_b32_e32 v7, 4, v6
	v_and_or_b32 v4, v7, s15, v4
	v_lshlrev_b16_e32 v8, 8, v4
	v_add_u16_e32 v8, 0xe000, v8
	v_lshrrev_b32_e32 v7, 16, v4
	v_lshrrev_b16_e32 v8, 8, v8
	v_bitop3_b16 v4, v4, v8, s17 bitop3:0xec
	v_lshlrev_b16_e32 v8, 8, v7
	v_add_u16_e32 v8, 0xe000, v8
	v_lshrrev_b32_e32 v5, 4, v10
	v_lshrrev_b16_e32 v8, 8, v8
	v_and_b32_e32 v5, 0xf0f0f0f, v5
	v_bitop3_b16 v7, v7, v8, s17 bitop3:0xec
	v_add_u16_e32 v4, 0xe000, v4
	v_add_u16_sdwa v7, v7, s16 dst_sel:WORD_1 dst_unused:UNUSED_PAD src0_sel:DWORD src1_sel:DWORD
	v_and_or_b32 v5, v6, s15, v5
	v_or_b32_e32 v4, v4, v7
	v_lshlrev_b16_e32 v7, 8, v5
	v_add_u16_e32 v7, 0xe000, v7
	v_lshrrev_b32_e32 v6, 16, v5
	v_lshrrev_b16_e32 v7, 8, v7
	v_bitop3_b16 v5, v5, v7, s17 bitop3:0xec
	v_lshlrev_b16_e32 v7, 8, v6
	v_add_u16_e32 v7, 0xe000, v7
	v_lshrrev_b16_e32 v7, 8, v7
	v_bitop3_b16 v6, v6, v7, s17 bitop3:0xec
	v_add_u16_e32 v5, 0xe000, v5
	v_add_u16_sdwa v6, v6, s16 dst_sel:WORD_1 dst_unused:UNUSED_PAD src0_sel:DWORD src1_sel:DWORD
	s_waitcnt vmcnt(3)
	v_and_b32_e32 v8, 0xf0f0f0f, v15
	v_or_b32_e32 v5, v5, v6
	ds_write2_b32 v208, v4, v5 offset0:24 offset1:40
	v_lshrrev_b32_e32 v4, 4, v15
	v_and_b32_e32 v9, 0xf0f0f0f, v4
	s_waitcnt vmcnt(2)
	v_ashrrev_i32_e32 v10, v27, v96
	v_mad_u64_u32 v[4:5], s[0:1], v44, s5, v[2:3]
	v_lshlrev_b32_e32 v13, 4, v10
	v_lshl_add_u64 v[6:7], v[4:5], 0, v[18:19]
	v_and_or_b32 v8, v13, s15, v8
	v_lshl_add_u64 v[4:5], v[4:5], 0, v[20:21]
	global_load_dword v13, v[6:7], off
	global_load_dword v14, v[4:5], off offset:128
	v_lshrrev_b32_e32 v4, 16, v8
	v_lshlrev_b16_e32 v5, 8, v8
	v_lshlrev_b16_e32 v6, 8, v4
	v_add_u16_e32 v5, 0xe000, v5
	v_add_u16_e32 v6, 0xe000, v6
	v_lshrrev_b16_e32 v5, 8, v5
	v_lshrrev_b16_e32 v6, 8, v6
	v_bitop3_b16 v5, v8, v5, s17 bitop3:0xec
	v_bitop3_b16 v4, v4, v6, s17 bitop3:0xec
	v_add_u16_e32 v5, 0xe000, v5
	v_add_u16_sdwa v4, v4, s16 dst_sel:WORD_1 dst_unused:UNUSED_PAD src0_sel:DWORD src1_sel:DWORD
	v_mad_u64_u32 v[96:97], s[0:1], v217, 36, s[2:3]
	v_or_b32_e32 v8, v5, v4
	v_and_or_b32 v4, v10, s15, v9
	v_lshlrev_b16_e32 v6, 8, v4
	v_add_u16_e32 v6, 0xe000, v6
	v_lshrrev_b32_e32 v5, 16, v4
	v_lshrrev_b16_e32 v6, 8, v6
	v_bitop3_b16 v4, v4, v6, s17 bitop3:0xec
	v_lshlrev_b16_e32 v6, 8, v5
	v_add_u16_e32 v6, 0xe000, v6
	v_lshrrev_b16_e32 v6, 8, v6
	v_bitop3_b16 v5, v5, v6, s17 bitop3:0xec
	v_add_u16_e32 v4, 0xe000, v4
	v_add_u16_sdwa v5, v5, s16 dst_sel:WORD_1 dst_unused:UNUSED_PAD src0_sel:DWORD src1_sel:DWORD
	v_add_u32_e32 v10, 0x5140, v29
	v_or_b32_e32 v9, v4, v5
	v_mad_u64_u32 v[4:5], s[0:1], v46, s5, v[2:3]
	v_lshl_add_u64 v[6:7], v[4:5], 0, v[18:19]
	ds_write2_b32 v10, v8, v9 offset1:16
	v_lshl_add_u64 v[4:5], v[4:5], 0, v[20:21]
	global_load_dword v10, v[6:7], off
	global_load_dword v15, v[4:5], off offset:128
	s_waitcnt vmcnt(4)
	v_ashrrev_i32_e32 v6, v27, v12
	v_and_b32_e32 v4, 0xf0f0f0f, v11
	v_lshlrev_b32_e32 v7, 4, v6
	v_and_or_b32 v4, v7, s15, v4
	v_lshlrev_b16_e32 v8, 8, v4
	v_add_u16_e32 v8, 0xe000, v8
	v_lshrrev_b32_e32 v7, 16, v4
	v_lshrrev_b16_e32 v8, 8, v8
	v_bitop3_b16 v4, v4, v8, s17 bitop3:0xec
	v_lshlrev_b16_e32 v8, 8, v7
	v_add_u16_e32 v8, 0xe000, v8
	v_lshrrev_b32_e32 v5, 4, v11
	v_lshrrev_b16_e32 v8, 8, v8
	v_and_b32_e32 v5, 0xf0f0f0f, v5
	v_bitop3_b16 v7, v7, v8, s17 bitop3:0xec
	v_add_u16_e32 v4, 0xe000, v4
	v_add_u16_sdwa v7, v7, s16 dst_sel:WORD_1 dst_unused:UNUSED_PAD src0_sel:DWORD src1_sel:DWORD
	v_and_or_b32 v5, v6, s15, v5
	v_or_b32_e32 v4, v4, v7
	v_lshlrev_b16_e32 v7, 8, v5
	v_add_u16_e32 v7, 0xe000, v7
	v_lshrrev_b32_e32 v6, 16, v5
	v_lshrrev_b16_e32 v7, 8, v7
	v_bitop3_b16 v5, v5, v7, s17 bitop3:0xec
	v_lshlrev_b16_e32 v7, 8, v6
	v_add_u16_e32 v7, 0xe000, v7
	v_lshrrev_b16_e32 v7, 8, v7
	v_bitop3_b16 v6, v6, v7, s17 bitop3:0xec
	v_add_u16_e32 v5, 0xe000, v5
	v_add_u16_sdwa v6, v6, s16 dst_sel:WORD_1 dst_unused:UNUSED_PAD src0_sel:DWORD src1_sel:DWORD
	s_nop 0
	v_or_b32_e32 v5, v5, v6
	v_add_u32_e32 v6, 0x5960, v29
	ds_write2_b32 v6, v4, v5 offset1:16
	v_mad_u64_u32 v[4:5], s[0:1], v48, s5, v[2:3]
	v_lshl_add_u64 v[6:7], v[4:5], 0, v[18:19]
	v_lshl_add_u64 v[4:5], v[4:5], 0, v[20:21]
	v_mad_u64_u32 v[2:3], s[0:1], v50, s5, v[2:3]
	v_lshl_add_u64 v[8:9], v[2:3], 0, v[18:19]
	v_lshl_add_u64 v[2:3], v[2:3], 0, v[20:21]
	global_load_dword v98, v[6:7], off
	global_load_dword v99, v[4:5], off offset:128
	global_load_dword v100, v[8:9], off
	global_load_dword v101, v[2:3], off offset:128
	s_waitcnt vmcnt(7)
	v_and_b32_e32 v2, 0xf0f0f0f, v13
	s_waitcnt vmcnt(6)
	v_ashrrev_i32_e32 v4, v27, v14
	v_lshlrev_b32_e32 v5, 4, v4
	v_and_or_b32 v2, v5, s15, v2
	v_lshlrev_b16_e32 v6, 8, v2
	v_add_u16_e32 v6, 0xe000, v6
	v_lshrrev_b32_e32 v5, 16, v2
	v_lshrrev_b16_e32 v6, 8, v6
	v_bitop3_b16 v2, v2, v6, s17 bitop3:0xec
	v_lshlrev_b16_e32 v6, 8, v5
	v_add_u16_e32 v6, 0xe000, v6
	v_lshrrev_b32_e32 v3, 4, v13
	v_lshrrev_b16_e32 v6, 8, v6
	v_and_b32_e32 v3, 0xf0f0f0f, v3
	v_bitop3_b16 v5, v5, v6, s17 bitop3:0xec
	v_add_u16_e32 v2, 0xe000, v2
	v_add_u16_sdwa v5, v5, s16 dst_sel:WORD_1 dst_unused:UNUSED_PAD src0_sel:DWORD src1_sel:DWORD
	v_and_or_b32 v3, v4, s15, v3
	v_or_b32_e32 v2, v2, v5
	v_lshlrev_b16_e32 v5, 8, v3
	v_add_u16_e32 v5, 0xe000, v5
	v_lshrrev_b32_e32 v4, 16, v3
	v_lshrrev_b16_e32 v5, 8, v5
	v_bitop3_b16 v3, v3, v5, s17 bitop3:0xec
	v_lshlrev_b16_e32 v5, 8, v4
	v_add_u16_e32 v5, 0xe000, v5
	v_lshrrev_b16_e32 v5, 8, v5
	v_bitop3_b16 v4, v4, v5, s17 bitop3:0xec
	v_add_u16_e32 v3, 0xe000, v3
	v_add_u16_sdwa v4, v4, s16 dst_sel:WORD_1 dst_unused:UNUSED_PAD src0_sel:DWORD src1_sel:DWORD
	v_add_u32_e32 v14, s18, v49
	v_or_b32_e32 v3, v3, v4
	v_add_u32_e32 v4, 0x6180, v29
	ds_write2_b32 v4, v2, v3 offset1:16
	s_waitcnt vmcnt(5)
	v_and_b32_e32 v2, 0xf0f0f0f, v10
	s_waitcnt vmcnt(4)
	v_ashrrev_i32_e32 v4, v27, v15
	v_lshlrev_b32_e32 v5, 4, v4
	v_and_or_b32 v2, v5, s15, v2
	v_lshlrev_b16_e32 v6, 8, v2
	v_add_u16_e32 v6, 0xe000, v6
	v_lshrrev_b32_e32 v5, 16, v2
	v_lshrrev_b16_e32 v6, 8, v6
	v_bitop3_b16 v2, v2, v6, s17 bitop3:0xec
	v_lshlrev_b16_e32 v6, 8, v5
	v_add_u16_e32 v6, 0xe000, v6
	v_lshrrev_b16_e32 v6, 8, v6
	v_lshrrev_b32_e32 v3, 4, v10
	v_bitop3_b16 v5, v5, v6, s17 bitop3:0xec
	v_and_b32_e32 v3, 0xf0f0f0f, v3
	v_add_u16_e32 v2, 0xe000, v2
	v_add_u16_sdwa v5, v5, s16 dst_sel:WORD_1 dst_unused:UNUSED_PAD src0_sel:DWORD src1_sel:DWORD
	v_add_u32_e32 v6, v14, v59
	v_or_b32_e32 v102, v2, v5
	v_and_or_b32 v2, v4, s15, v3
	v_lshlrev_b16_e32 v4, 8, v2
	v_add_u16_e32 v4, 0xe000, v4
	v_lshrrev_b16_e32 v4, 8, v4
	v_lshrrev_b32_e32 v3, 16, v2
	v_bitop3_b16 v2, v2, v4, s17 bitop3:0xec
	v_add_u16_e32 v103, 0xe000, v2
	v_lshlrev_b16_e32 v2, 8, v3
	v_add_u16_e32 v2, 0xe000, v2
	v_lshrrev_b16_e32 v2, 8, v2
	v_bitop3_b16 v104, v3, v2, s17 bitop3:0xec
	v_mad_u64_u32 v[2:3], s[0:1], v52, s5, v[0:1]
	v_mad_u64_u32 v[4:5], s[0:1], v56, s5, v[0:1]
	;; [unrolled: 1-line block ×3, first 2 shown]
	v_lshl_add_u64 v[4:5], v[4:5], 0, v[54:55]
	v_lshl_add_u64 v[0:1], v[0:1], 0, v[54:55]
	global_load_ushort v105, v[2:3], off offset:208
	global_load_dword v106, v[4:5], off offset:192
	global_load_dword v107, v[0:1], off offset:192
	v_add_u32_e32 v0, v14, v51
	v_add_u32_e32 v2, v14, v53
	;; [unrolled: 1-line block ×3, first 2 shown]
	v_mad_i64_i32 v[0:1], s[0:1], v0, 36, v[62:63]
	v_mad_i64_i32 v[2:3], s[0:1], v2, 36, v[62:63]
	;; [unrolled: 1-line block ×4, first 2 shown]
	v_add_u32_e32 v8, v14, v61
	v_add_u32_e32 v10, v14, v172
	;; [unrolled: 1-line block ×4, first 2 shown]
	v_mad_i64_i32 v[8:9], s[0:1], v8, 36, v[62:63]
	v_mad_i64_i32 v[10:11], s[0:1], v10, 36, v[62:63]
	;; [unrolled: 1-line block ×4, first 2 shown]
	global_load_dword v96, v[96:97], off
	s_nop 0
	global_load_dword v0, v[0:1], off offset:4
	s_nop 0
	global_load_dword v1, v[2:3], off offset:4
	;; [unrolled: 2-line block ×3, first 2 shown]
	global_load_dword v3, v[6:7], off offset:4
	s_nop 0
	global_load_dword v4, v[8:9], off offset:4
	global_load_dword v5, v[10:11], off offset:4
	;; [unrolled: 1-line block ×4, first 2 shown]
	v_add_u16_sdwa v8, v104, s16 dst_sel:WORD_1 dst_unused:UNUSED_PAD src0_sel:DWORD src1_sel:DWORD
	v_add_u32_e32 v9, 0x69a0, v29
	v_or_b32_e32 v8, v103, v8
	s_waitcnt vmcnt(14)
	v_ashrrev_i32_e32 v10, v27, v99
	ds_write2_b32 v9, v102, v8 offset1:16
	v_and_b32_e32 v8, 0xf0f0f0f, v98
	v_lshlrev_b32_e32 v11, 4, v10
	v_and_or_b32 v8, v11, s15, v8
	v_lshlrev_b16_e32 v12, 8, v8
	v_add_u16_e32 v12, 0xe000, v12
	v_lshrrev_b32_e32 v11, 16, v8
	v_lshrrev_b16_e32 v12, 8, v12
	v_bitop3_b16 v8, v8, v12, s17 bitop3:0xec
	v_lshlrev_b16_e32 v12, 8, v11
	v_add_u16_e32 v12, 0xe000, v12
	v_lshrrev_b32_e32 v9, 4, v98
	v_lshrrev_b16_e32 v12, 8, v12
	v_and_b32_e32 v9, 0xf0f0f0f, v9
	v_bitop3_b16 v11, v11, v12, s17 bitop3:0xec
	v_add_u16_e32 v8, 0xe000, v8
	v_add_u16_sdwa v11, v11, s16 dst_sel:WORD_1 dst_unused:UNUSED_PAD src0_sel:DWORD src1_sel:DWORD
	v_and_or_b32 v9, v10, s15, v9
	v_or_b32_e32 v8, v8, v11
	v_lshlrev_b16_e32 v11, 8, v9
	v_add_u16_e32 v11, 0xe000, v11
	v_lshrrev_b32_e32 v10, 16, v9
	v_lshrrev_b16_e32 v11, 8, v11
	v_bitop3_b16 v9, v9, v11, s17 bitop3:0xec
	v_lshlrev_b16_e32 v11, 8, v10
	v_add_u16_e32 v11, 0xe000, v11
	v_lshrrev_b16_e32 v11, 8, v11
	v_bitop3_b16 v10, v10, v11, s17 bitop3:0xec
	v_add_u16_e32 v9, 0xe000, v9
	v_add_u16_sdwa v10, v10, s16 dst_sel:WORD_1 dst_unused:UNUSED_PAD src0_sel:DWORD src1_sel:DWORD
	s_mov_b64 s[0:1], -1
	v_or_b32_e32 v9, v9, v10
	s_waitcnt vmcnt(12)
	v_ashrrev_i32_e32 v10, v27, v101
	ds_write2_b32 v33, v8, v9 offset1:16
	v_and_b32_e32 v8, 0xf0f0f0f, v100
	v_lshlrev_b32_e32 v11, 4, v10
	v_and_or_b32 v8, v11, s15, v8
	v_lshlrev_b16_e32 v12, 8, v8
	v_add_u16_e32 v12, 0xe000, v12
	v_lshrrev_b32_e32 v11, 16, v8
	v_lshrrev_b16_e32 v12, 8, v12
	v_bitop3_b16 v8, v8, v12, s17 bitop3:0xec
	v_lshlrev_b16_e32 v12, 8, v11
	v_add_u16_e32 v12, 0xe000, v12
	v_lshrrev_b32_e32 v9, 4, v100
	v_lshrrev_b16_e32 v12, 8, v12
	v_and_b32_e32 v9, 0xf0f0f0f, v9
	v_bitop3_b16 v11, v11, v12, s17 bitop3:0xec
	v_add_u16_e32 v8, 0xe000, v8
	v_add_u16_sdwa v11, v11, s16 dst_sel:WORD_1 dst_unused:UNUSED_PAD src0_sel:DWORD src1_sel:DWORD
	v_and_or_b32 v9, v10, s15, v9
	v_or_b32_e32 v8, v8, v11
	v_lshlrev_b16_e32 v11, 8, v9
	v_add_u16_e32 v11, 0xe000, v11
	v_lshrrev_b32_e32 v10, 16, v9
	v_lshrrev_b16_e32 v11, 8, v11
	v_bitop3_b16 v9, v9, v11, s17 bitop3:0xec
	v_lshlrev_b16_e32 v11, 8, v10
	v_add_u16_e32 v11, 0xe000, v11
	v_lshrrev_b16_e32 v11, 8, v11
	v_bitop3_b16 v10, v10, v11, s17 bitop3:0xec
	s_waitcnt vmcnt(11)
	v_cvt_f32_f16_e32 v11, v105
	v_add_u16_e32 v9, 0xe000, v9
	v_add_u16_sdwa v10, v10, s16 dst_sel:WORD_1 dst_unused:UNUSED_PAD src0_sel:DWORD src1_sel:DWORD
	s_nop 0
	v_or_b32_e32 v9, v9, v10
	ds_write2_b32 v35, v8, v9 offset1:16
	ds_write_b32 v39, v11
	s_waitcnt vmcnt(10)
	ds_write_b32 v41, v106
	s_waitcnt vmcnt(9)
	;; [unrolled: 2-line block ×7, first 2 shown]
	ds_write_b32 v197, v4
	v_cvt_f32_f16_e32 v0, v96
	s_waitcnt vmcnt(2)
	ds_write_b32 v198, v5
	s_waitcnt vmcnt(1)
	ds_write_b32 v199, v6
	;; [unrolled: 2-line block ×3, first 2 shown]
	ds_write_b32 v47, v0
	s_waitcnt lgkmcnt(0)
	s_barrier
	ds_read_b32 v96, v175
	ds_read_b32 v98, v177 offset:128
	ds_read_b32 v100, v179 offset:256
	;; [unrolled: 1-line block ×3, first 2 shown]
	s_waitcnt lgkmcnt(3)
	v_mov_b32_e32 v97, v96
	s_waitcnt lgkmcnt(2)
	v_mov_b32_e32 v99, v98
	;; [unrolled: 2-line block ×4, first 2 shown]
.LBB155_6:                              ;   Parent Loop BB155_5 Depth=1
                                        ; =>  This Inner Loop Header: Depth=2
	s_lshl_b32 s19, s20, 1
	s_lshr_b32 s21, s20, 1
	v_or_b32_e32 v0, s19, v37
	s_add_i32 s21, s21, 0xa200
	v_lshlrev_b32_e32 v212, 2, v49
	v_lshlrev_b32_e32 v213, 2, v45
	s_lshl_b32 s20, s20, 3
	v_lshlrev_b32_e32 v12, 2, v0
	v_add3_u32 v104, s21, v212, v213
	v_add_u32_e32 v105, s20, v189
	v_lshlrev_b32_e32 v214, 2, v176
	v_lshrrev_b32_e32 v168, 1, v0
	ds_read_b128 v[0:3], v12 offset:33280
	ds_read_b128 v[4:7], v12 offset:33296
	;; [unrolled: 1-line block ×4, first 2 shown]
	ds_read2_b32 v[154:155], v105 offset0:6 offset1:7
	ds_read2_b32 v[158:159], v105 offset0:4 offset1:5
	;; [unrolled: 1-line block ×3, first 2 shown]
	ds_read2_b32 v[156:157], v105 offset1:1
	ds_read_b32 v170, v104
	ds_read2_b32 v[160:161], v105 offset0:14 offset1:15
	ds_read2_b32 v[162:163], v105 offset0:12 offset1:13
	;; [unrolled: 1-line block ×4, first 2 shown]
	v_add3_u32 v104, s21, v214, v209
	v_add_u32_e32 v105, s20, v190
	v_lshlrev_b32_e32 v215, 2, v178
	v_lshlrev_b32_e32 v216, 2, v180
	ds_read2_b32 v[130:131], v105 offset0:6 offset1:7
	ds_read2_b32 v[134:135], v105 offset0:4 offset1:5
	;; [unrolled: 1-line block ×3, first 2 shown]
	ds_read2_b32 v[132:133], v105 offset1:1
	ds_read_b32 v229, v104
	ds_read2_b32 v[140:141], v105 offset0:14 offset1:15
	ds_read2_b32 v[142:143], v105 offset0:12 offset1:13
	;; [unrolled: 1-line block ×4, first 2 shown]
	v_add3_u32 v104, s21, v215, v210
	v_add_u32_e32 v105, s20, v191
	v_add3_u32 v112, s21, v216, v211
	v_add_u32_e32 v114, s20, v192
	ds_read2_b32 v[122:123], v105 offset0:6 offset1:7
	ds_read2_b32 v[126:127], v105 offset0:4 offset1:5
	;; [unrolled: 1-line block ×3, first 2 shown]
	ds_read2_b32 v[124:125], v105 offset1:1
	ds_read_b32 v220, v104
	ds_read2_b32 v[136:137], v105 offset0:14 offset1:15
	ds_read2_b32 v[138:139], v105 offset0:12 offset1:13
	;; [unrolled: 1-line block ×7, first 2 shown]
	ds_read2_b32 v[106:107], v114 offset1:1
	ds_read_b32 v221, v112
	ds_read2_b32 v[116:117], v114 offset0:14 offset1:15
	ds_read2_b32 v[118:119], v114 offset0:12 offset1:13
	;; [unrolled: 1-line block ×4, first 2 shown]
	v_mov_b32_e32 v228, 0
	v_mov_b32_e32 v244, 0
	;; [unrolled: 1-line block ×16, first 2 shown]
	s_waitcnt lgkmcnt(14)
	v_dot4c_i32_i8_e32 v228, v162, v12
	v_dot4c_i32_i8_e32 v244, v166, v8
	;; [unrolled: 1-line block ×8, first 2 shown]
	s_waitcnt lgkmcnt(11)
	v_dot4c_i32_i8_e32 v235, v138, v12
	s_waitcnt lgkmcnt(9)
	v_dot4c_i32_i8_e32 v239, v146, v8
	v_dot4c_i32_i8_e32 v240, v126, v4
	;; [unrolled: 1-line block ×3, first 2 shown]
	s_waitcnt lgkmcnt(2)
	v_dot4c_i32_i8_e32 v234, v118, v12
	s_waitcnt lgkmcnt(0)
	v_dot4c_i32_i8_e32 v236, v114, v8
	v_dot4c_i32_i8_e32 v237, v110, v4
	;; [unrolled: 1-line block ×19, first 2 shown]
	v_or_b32_e32 v0, s19, v182
	v_dot4c_i32_i8_e32 v228, v160, v14
	v_dot4c_i32_i8_e32 v244, v164, v10
	;; [unrolled: 1-line block ×16, first 2 shown]
	v_lshlrev_b32_e32 v12, 2, v0
	v_dot4c_i32_i8_e32 v228, v161, v15
	v_dot4c_i32_i8_e32 v244, v165, v11
	;; [unrolled: 1-line block ×16, first 2 shown]
	v_lshrrev_b32_e32 v246, 1, v0
	ds_read_b128 v[0:3], v12 offset:33280
	ds_read_b128 v[4:7], v12 offset:33296
	;; [unrolled: 1-line block ×4, first 2 shown]
	v_mov_b32_e32 v248, 0
	v_mov_b32_e32 v250, 0
	s_waitcnt lgkmcnt(2)
	v_dot4c_i32_i8_e32 v248, v158, v4
	v_mov_b32_e32 v249, 0
	ds_read_b64 v[168:169], v168 offset:43584
	ds_read_b64 v[246:247], v246 offset:43584
	s_waitcnt lgkmcnt(2)
	v_dot4c_i32_i8_e32 v250, v162, v12
	v_mov_b32_e32 v251, 0
	v_dot4c_i32_i8_e32 v248, v159, v5
	v_dot4c_i32_i8_e32 v249, v156, v0
	v_bfe_i32 v227, v170, 0, 8
	v_dot4c_i32_i8_e32 v250, v163, v13
	v_dot4c_i32_i8_e32 v251, v166, v8
	;; [unrolled: 1-line block ×4, first 2 shown]
	v_bfe_i32 v226, v170, 8, 8
	v_dot4c_i32_i8_e32 v250, v160, v14
	v_dot4c_i32_i8_e32 v251, v167, v9
	;; [unrolled: 1-line block ×4, first 2 shown]
	v_ashrrev_i32_e32 v232, 24, v170
	v_bfe_i32 v233, v170, 16, 8
	v_mul_lo_u32 v170, v245, v227
	v_dot4c_i32_i8_e32 v250, v161, v15
	v_dot4c_i32_i8_e32 v251, v164, v10
	;; [unrolled: 1-line block ×3, first 2 shown]
	v_mul_lo_u32 v248, v248, v226
	v_mad_u64_u32 v[170:171], s[20:21], v171, v226, v[170:171]
	v_dot4c_i32_i8_e32 v251, v165, v11
	v_mad_u64_u32 v[248:249], s[20:21], v249, v227, v[248:249]
	s_waitcnt lgkmcnt(1)
	v_mov_b32_e32 v171, v168
	v_mul_lo_u32 v168, v244, v233
	v_mul_lo_u32 v244, v250, v232
	v_cvt_f32_i32_e32 v249, v170
	v_cvt_f32_i32_e32 v248, v248
	v_mad_u64_u32 v[244:245], s[20:21], v251, v233, v[244:245]
	v_mad_u64_u32 v[250:251], s[20:21], v228, v232, v[168:169]
	v_cvt_f32_i32_e32 v245, v250
	v_cvt_f32_i32_e32 v244, v244
	s_waitcnt lgkmcnt(0)
	v_mov_b32_e32 v170, v246
	v_pk_fma_f32 v[248:249], v[170:171], v[248:249], 0 op_sel_hi:[1,1,0]
	v_mov_b32_e32 v168, v247
	v_pk_fma_f32 v[244:245], v[168:169], v[244:245], v[248:249]
	v_mov_b32_e32 v246, 0
	v_pk_fma_f32 v[64:65], v[96:97], v[244:245], v[64:65]
	v_mov_b32_e32 v245, 0
	v_dot4c_i32_i8_e32 v246, v134, v4
	v_mov_b32_e32 v247, 0
	v_dot4c_i32_i8_e32 v245, v142, v12
	v_dot4c_i32_i8_e32 v246, v135, v5
	;; [unrolled: 1-line block ×4, first 2 shown]
	v_mov_b32_e32 v248, 0
	v_dot4c_i32_i8_e32 v246, v130, v6
	v_dot4c_i32_i8_e32 v247, v133, v1
	v_bfe_i32 v224, v229, 8, 8
	v_bfe_i32 v225, v229, 0, 8
	v_dot4c_i32_i8_e32 v245, v140, v14
	v_dot4c_i32_i8_e32 v248, v150, v8
	;; [unrolled: 1-line block ×7, first 2 shown]
	v_mul_lo_u32 v244, v243, v225
	v_mul_lo_u32 v246, v246, v224
	v_dot4c_i32_i8_e32 v248, v148, v10
	v_ashrrev_i32_e32 v228, 24, v229
	v_bfe_i32 v229, v229, 16, 8
	v_mad_u64_u32 v[246:247], s[20:21], v247, v225, v[246:247]
	v_mad_u64_u32 v[242:243], s[20:21], v242, v224, v[244:245]
	v_dot4c_i32_i8_e32 v248, v149, v11
	v_cvt_f32_i32_e32 v243, v242
	v_cvt_f32_i32_e32 v242, v246
	v_mul_lo_u32 v244, v231, v229
	v_mul_lo_u32 v246, v245, v228
	v_mad_u64_u32 v[246:247], s[20:21], v248, v229, v[246:247]
	v_mad_u64_u32 v[230:231], s[20:21], v230, v228, v[244:245]
	v_cvt_f32_i32_e32 v231, v230
	v_cvt_f32_i32_e32 v230, v246
	v_pk_fma_f32 v[242:243], v[170:171], v[242:243], 0 op_sel_hi:[1,1,0]
	v_mov_b32_e32 v244, 0
	v_dot4c_i32_i8_e32 v244, v138, v12
	v_pk_fma_f32 v[230:231], v[168:169], v[230:231], v[242:243]
	v_mov_b32_e32 v242, 0
	v_dot4c_i32_i8_e32 v242, v126, v4
	v_mov_b32_e32 v243, 0
	v_dot4c_i32_i8_e32 v242, v127, v5
	v_dot4c_i32_i8_e32 v243, v124, v0
	v_mov_b32_e32 v245, 0
	v_dot4c_i32_i8_e32 v242, v122, v6
	v_dot4c_i32_i8_e32 v243, v125, v1
	v_bfe_i32 v222, v220, 8, 8
	v_bfe_i32 v223, v220, 0, 8
	v_dot4c_i32_i8_e32 v244, v139, v13
	v_dot4c_i32_i8_e32 v245, v146, v8
	;; [unrolled: 1-line block ×4, first 2 shown]
	v_pk_fma_f32 v[84:85], v[98:99], v[230:231], v[84:85]
	v_dot4c_i32_i8_e32 v244, v136, v14
	v_dot4c_i32_i8_e32 v245, v147, v9
	;; [unrolled: 1-line block ×3, first 2 shown]
	v_ashrrev_i32_e32 v230, 24, v220
	v_bfe_i32 v231, v220, 16, 8
	v_mul_lo_u32 v220, v241, v223
	v_mul_lo_u32 v242, v242, v222
	v_dot4c_i32_i8_e32 v244, v137, v15
	v_dot4c_i32_i8_e32 v245, v144, v10
	v_mad_u64_u32 v[242:243], s[20:21], v243, v223, v[242:243]
	v_mad_u64_u32 v[240:241], s[20:21], v240, v222, v[220:221]
	v_dot4c_i32_i8_e32 v245, v145, v11
	v_cvt_f32_i32_e32 v241, v240
	v_cvt_f32_i32_e32 v240, v242
	v_mul_lo_u32 v220, v239, v231
	v_mul_lo_u32 v242, v244, v230
	v_mad_u64_u32 v[242:243], s[20:21], v245, v231, v[242:243]
	v_mad_u64_u32 v[244:245], s[20:21], v235, v230, v[220:221]
	v_mov_b32_e32 v235, 0
	v_dot4c_i32_i8_e32 v235, v118, v12
	v_mov_b32_e32 v12, 0
	v_dot4c_i32_i8_e32 v12, v114, v8
	;; [unrolled: 2-line block ×4, first 2 shown]
	v_dot4c_i32_i8_e32 v4, v106, v0
	v_dot4c_i32_i8_e32 v8, v108, v6
	;; [unrolled: 1-line block ×3, first 2 shown]
	v_bfe_i32 v218, v221, 8, 8
	v_bfe_i32 v219, v221, 0, 8
	v_dot4c_i32_i8_e32 v235, v119, v13
	v_dot4c_i32_i8_e32 v8, v109, v7
	;; [unrolled: 1-line block ×6, first 2 shown]
	v_mul_lo_u32 v0, v238, v219
	v_mul_lo_u32 v2, v8, v218
	v_dot4c_i32_i8_e32 v235, v117, v15
	v_dot4c_i32_i8_e32 v12, v112, v10
	v_ashrrev_i32_e32 v220, 24, v221
	v_bfe_i32 v221, v221, 16, 8
	v_mad_u64_u32 v[2:3], s[20:21], v4, v219, v[2:3]
	v_mad_u64_u32 v[0:1], s[20:21], v237, v218, v[0:1]
	v_dot4c_i32_i8_e32 v12, v113, v11
	v_cvt_f32_i32_e32 v1, v0
	v_cvt_f32_i32_e32 v0, v2
	v_mul_lo_u32 v2, v236, v221
	v_mul_lo_u32 v4, v235, v220
	v_mad_u64_u32 v[4:5], s[20:21], v12, v221, v[4:5]
	v_mad_u64_u32 v[2:3], s[20:21], v234, v220, v[2:3]
	v_cvt_f32_i32_e32 v3, v2
	v_cvt_f32_i32_e32 v2, v4
	;; [unrolled: 1-line block ×4, first 2 shown]
	v_pk_fma_f32 v[0:1], v[170:171], v[0:1], 0 op_sel_hi:[1,1,0]
	v_pk_fma_f32 v[240:241], v[170:171], v[240:241], 0 op_sel_hi:[1,1,0]
	v_pk_fma_f32 v[0:1], v[168:169], v[2:3], v[0:1]
	v_pk_fma_f32 v[240:241], v[168:169], v[242:243], v[240:241]
	;; [unrolled: 1-line block ×3, first 2 shown]
	v_or_b32_e32 v0, s19, v183
	v_lshlrev_b32_e32 v12, 2, v0
	v_lshrrev_b32_e32 v168, 1, v0
	ds_read_b128 v[0:3], v12 offset:33280
	ds_read_b128 v[4:7], v12 offset:33296
	;; [unrolled: 1-line block ×4, first 2 shown]
	v_pk_fma_f32 v[90:91], v[100:101], v[240:241], v[90:91]
	v_mov_b32_e32 v252, 0
	v_mov_b32_e32 v250, 0
	;; [unrolled: 1-line block ×16, first 2 shown]
	s_waitcnt lgkmcnt(0)
	v_dot4c_i32_i8_e32 v252, v162, v12
	v_dot4c_i32_i8_e32 v250, v166, v8
	;; [unrolled: 1-line block ×32, first 2 shown]
	v_or_b32_e32 v0, s19, v184
	v_dot4c_i32_i8_e32 v252, v160, v14
	v_dot4c_i32_i8_e32 v250, v164, v10
	;; [unrolled: 1-line block ×16, first 2 shown]
	v_lshlrev_b32_e32 v12, 2, v0
	v_dot4c_i32_i8_e32 v252, v161, v15
	v_dot4c_i32_i8_e32 v250, v165, v11
	;; [unrolled: 1-line block ×16, first 2 shown]
	v_lshrrev_b32_e32 v246, 1, v0
	ds_read_b128 v[0:3], v12 offset:33280
	ds_read_b128 v[4:7], v12 offset:33296
	;; [unrolled: 1-line block ×4, first 2 shown]
	v_mov_b32_e32 v248, 0
	v_mov_b32_e32 v249, 0
	s_waitcnt lgkmcnt(2)
	v_dot4c_i32_i8_e32 v248, v158, v4
	v_mov_b32_e32 v251, 0
	v_dot4c_i32_i8_e32 v248, v159, v5
	v_dot4c_i32_i8_e32 v249, v156, v0
	ds_read_b64 v[168:169], v168 offset:43584
	ds_read_b64 v[246:247], v246 offset:43584
	s_waitcnt lgkmcnt(2)
	v_dot4c_i32_i8_e32 v251, v162, v12
	v_mov_b32_e32 v253, 0
	v_dot4c_i32_i8_e32 v248, v154, v6
	v_dot4c_i32_i8_e32 v249, v157, v1
	;; [unrolled: 1-line block ×9, first 2 shown]
	v_mul_lo_u32 v170, v170, v227
	v_mul_lo_u32 v248, v248, v226
	v_dot4c_i32_i8_e32 v251, v161, v15
	v_dot4c_i32_i8_e32 v253, v164, v10
	v_mad_u64_u32 v[248:249], s[20:21], v249, v227, v[248:249]
	v_mad_u64_u32 v[170:171], s[20:21], v171, v226, v[170:171]
	v_dot4c_i32_i8_e32 v253, v165, v11
	v_cvt_f32_i32_e32 v249, v170
	s_waitcnt lgkmcnt(0)
	v_mov_b32_e32 v170, v246
	v_mov_b32_e32 v171, v168
	v_mul_lo_u32 v168, v250, v233
	v_mul_lo_u32 v246, v251, v232
	v_cvt_f32_i32_e32 v248, v248
	v_mad_u64_u32 v[250:251], s[20:21], v253, v233, v[246:247]
	v_mad_u64_u32 v[252:253], s[20:21], v252, v232, v[168:169]
	v_cvt_f32_i32_e32 v251, v252
	v_cvt_f32_i32_e32 v250, v250
	v_pk_fma_f32 v[248:249], v[170:171], v[248:249], 0 op_sel_hi:[1,1,0]
	v_mov_b32_e32 v168, v247
	v_mov_b32_e32 v252, 0
	v_pk_fma_f32 v[246:247], v[168:169], v[250:251], v[248:249]
	v_mov_b32_e32 v248, 0
	v_pk_fma_f32 v[72:73], v[96:97], v[246:247], v[72:73]
	v_mov_b32_e32 v247, 0
	v_dot4c_i32_i8_e32 v248, v134, v4
	v_mov_b32_e32 v249, 0
	v_dot4c_i32_i8_e32 v247, v142, v12
	v_dot4c_i32_i8_e32 v248, v135, v5
	;; [unrolled: 1-line block ×4, first 2 shown]
	v_mov_b32_e32 v250, 0
	v_dot4c_i32_i8_e32 v248, v130, v6
	v_dot4c_i32_i8_e32 v249, v133, v1
	;; [unrolled: 1-line block ×9, first 2 shown]
	v_mul_lo_u32 v246, v245, v225
	v_mul_lo_u32 v248, v248, v224
	v_dot4c_i32_i8_e32 v250, v148, v10
	v_mad_u64_u32 v[248:249], s[20:21], v249, v225, v[248:249]
	v_mad_u64_u32 v[244:245], s[20:21], v244, v224, v[246:247]
	v_dot4c_i32_i8_e32 v250, v149, v11
	v_cvt_f32_i32_e32 v245, v244
	v_cvt_f32_i32_e32 v244, v248
	v_mul_lo_u32 v246, v243, v229
	v_mul_lo_u32 v248, v247, v228
	v_mad_u64_u32 v[248:249], s[20:21], v250, v229, v[248:249]
	v_mad_u64_u32 v[242:243], s[20:21], v242, v228, v[246:247]
	v_cvt_f32_i32_e32 v243, v242
	v_cvt_f32_i32_e32 v242, v248
	v_pk_fma_f32 v[244:245], v[170:171], v[244:245], 0 op_sel_hi:[1,1,0]
	v_mov_b32_e32 v246, 0
	v_dot4c_i32_i8_e32 v246, v146, v8
	v_pk_fma_f32 v[242:243], v[168:169], v[242:243], v[244:245]
	v_mov_b32_e32 v244, 0
	v_pk_fma_f32 v[78:79], v[98:99], v[242:243], v[78:79]
	v_mov_b32_e32 v243, 0
	v_dot4c_i32_i8_e32 v244, v126, v4
	v_mov_b32_e32 v245, 0
	v_dot4c_i32_i8_e32 v243, v138, v12
	v_dot4c_i32_i8_e32 v244, v127, v5
	;; [unrolled: 1-line block ×12, first 2 shown]
	v_mul_lo_u32 v242, v241, v223
	v_mul_lo_u32 v244, v244, v222
	v_dot4c_i32_i8_e32 v246, v144, v10
	v_mad_u64_u32 v[244:245], s[20:21], v245, v223, v[244:245]
	v_mad_u64_u32 v[240:241], s[20:21], v240, v222, v[242:243]
	v_dot4c_i32_i8_e32 v246, v145, v11
	v_cvt_f32_i32_e32 v241, v240
	v_cvt_f32_i32_e32 v240, v244
	v_mul_lo_u32 v242, v239, v231
	v_mul_lo_u32 v244, v243, v230
	v_mad_u64_u32 v[244:245], s[20:21], v246, v231, v[244:245]
	v_mad_u64_u32 v[238:239], s[20:21], v238, v230, v[242:243]
	v_cvt_f32_i32_e32 v239, v238
	v_cvt_f32_i32_e32 v238, v244
	v_pk_fma_f32 v[240:241], v[170:171], v[240:241], 0 op_sel_hi:[1,1,0]
	v_mov_b32_e32 v250, 0
	v_mov_b32_e32 v242, 0
	v_pk_fma_f32 v[238:239], v[168:169], v[238:239], v[240:241]
	v_mov_b32_e32 v243, 0
	v_pk_fma_f32 v[86:87], v[100:101], v[238:239], v[86:87]
	v_mov_b32_e32 v238, 0
	v_dot4c_i32_i8_e32 v238, v118, v12
	v_mov_b32_e32 v12, 0
	v_dot4c_i32_i8_e32 v12, v114, v8
	;; [unrolled: 2-line block ×4, first 2 shown]
	v_dot4c_i32_i8_e32 v4, v106, v0
	v_dot4c_i32_i8_e32 v8, v108, v6
	;; [unrolled: 1-line block ×9, first 2 shown]
	v_mul_lo_u32 v0, v237, v219
	v_mul_lo_u32 v2, v8, v218
	v_dot4c_i32_i8_e32 v238, v117, v15
	v_dot4c_i32_i8_e32 v12, v112, v10
	v_mad_u64_u32 v[2:3], s[20:21], v4, v219, v[2:3]
	v_mad_u64_u32 v[0:1], s[20:21], v236, v218, v[0:1]
	v_dot4c_i32_i8_e32 v12, v113, v11
	v_cvt_f32_i32_e32 v1, v0
	v_cvt_f32_i32_e32 v0, v2
	v_mul_lo_u32 v2, v235, v221
	v_mul_lo_u32 v4, v238, v220
	v_mad_u64_u32 v[4:5], s[20:21], v12, v221, v[4:5]
	v_mad_u64_u32 v[2:3], s[20:21], v234, v220, v[2:3]
	v_cvt_f32_i32_e32 v3, v2
	v_cvt_f32_i32_e32 v2, v4
	v_pk_fma_f32 v[0:1], v[170:171], v[0:1], 0 op_sel_hi:[1,1,0]
	v_mov_b32_e32 v171, 0
	v_mov_b32_e32 v170, 0
	v_pk_fma_f32 v[0:1], v[168:169], v[2:3], v[0:1]
	v_mov_b32_e32 v244, 0
	v_pk_fma_f32 v[92:93], v[102:103], v[0:1], v[92:93]
	v_or_b32_e32 v0, s19, v185
	v_lshlrev_b32_e32 v12, 2, v0
	v_lshrrev_b32_e32 v168, 1, v0
	ds_read_b128 v[0:3], v12 offset:33280
	ds_read_b128 v[4:7], v12 offset:33296
	;; [unrolled: 1-line block ×4, first 2 shown]
	v_mov_b32_e32 v245, 0
	v_mov_b32_e32 v238, 0
	;; [unrolled: 1-line block ×9, first 2 shown]
	s_waitcnt lgkmcnt(0)
	v_dot4c_i32_i8_e32 v252, v162, v12
	v_dot4c_i32_i8_e32 v250, v166, v8
	;; [unrolled: 1-line block ×32, first 2 shown]
	v_or_b32_e32 v0, s19, v186
	v_dot4c_i32_i8_e32 v252, v160, v14
	v_dot4c_i32_i8_e32 v250, v164, v10
	;; [unrolled: 1-line block ×16, first 2 shown]
	v_lshlrev_b32_e32 v12, 2, v0
	v_dot4c_i32_i8_e32 v252, v161, v15
	v_dot4c_i32_i8_e32 v250, v165, v11
	v_dot4c_i32_i8_e32 v171, v155, v7
	v_dot4c_i32_i8_e32 v170, v153, v3
	v_dot4c_i32_i8_e32 v242, v141, v15
	v_dot4c_i32_i8_e32 v243, v149, v11
	v_dot4c_i32_i8_e32 v244, v131, v7
	v_dot4c_i32_i8_e32 v245, v129, v3
	v_dot4c_i32_i8_e32 v238, v137, v15
	v_dot4c_i32_i8_e32 v239, v145, v11
	v_dot4c_i32_i8_e32 v240, v123, v7
	v_dot4c_i32_i8_e32 v241, v121, v3
	v_dot4c_i32_i8_e32 v234, v117, v15
	v_dot4c_i32_i8_e32 v235, v113, v11
	v_dot4c_i32_i8_e32 v236, v109, v7
	v_dot4c_i32_i8_e32 v237, v105, v3
	v_lshrrev_b32_e32 v246, 1, v0
	ds_read_b128 v[0:3], v12 offset:33280
	ds_read_b128 v[4:7], v12 offset:33296
	;; [unrolled: 1-line block ×4, first 2 shown]
	v_mov_b32_e32 v248, 0
	v_mov_b32_e32 v249, 0
	s_waitcnt lgkmcnt(2)
	v_dot4c_i32_i8_e32 v248, v158, v4
	v_mov_b32_e32 v251, 0
	v_dot4c_i32_i8_e32 v248, v159, v5
	v_dot4c_i32_i8_e32 v249, v156, v0
	ds_read_b64 v[168:169], v168 offset:43584
	ds_read_b64 v[246:247], v246 offset:43584
	s_waitcnt lgkmcnt(2)
	v_dot4c_i32_i8_e32 v251, v162, v12
	v_mov_b32_e32 v253, 0
	v_dot4c_i32_i8_e32 v248, v154, v6
	v_dot4c_i32_i8_e32 v249, v157, v1
	;; [unrolled: 1-line block ×9, first 2 shown]
	v_mul_lo_u32 v170, v170, v227
	v_mul_lo_u32 v248, v248, v226
	v_dot4c_i32_i8_e32 v251, v161, v15
	v_dot4c_i32_i8_e32 v253, v164, v10
	v_mad_u64_u32 v[248:249], s[20:21], v249, v227, v[248:249]
	v_mad_u64_u32 v[170:171], s[20:21], v171, v226, v[170:171]
	v_dot4c_i32_i8_e32 v253, v165, v11
	v_cvt_f32_i32_e32 v249, v170
	s_waitcnt lgkmcnt(0)
	v_mov_b32_e32 v170, v246
	v_mov_b32_e32 v171, v168
	v_mul_lo_u32 v168, v250, v233
	v_mul_lo_u32 v246, v251, v232
	v_cvt_f32_i32_e32 v248, v248
	v_mad_u64_u32 v[250:251], s[20:21], v253, v233, v[246:247]
	v_mad_u64_u32 v[252:253], s[20:21], v252, v232, v[168:169]
	v_cvt_f32_i32_e32 v251, v252
	v_cvt_f32_i32_e32 v250, v250
	v_pk_fma_f32 v[248:249], v[170:171], v[248:249], 0 op_sel_hi:[1,1,0]
	v_mov_b32_e32 v168, v247
	s_and_b64 vcc, exec, s[0:1]
	v_pk_fma_f32 v[246:247], v[168:169], v[250:251], v[248:249]
	v_mov_b32_e32 v248, 0
	v_pk_fma_f32 v[68:69], v[96:97], v[246:247], v[68:69]
	v_mov_b32_e32 v247, 0
	v_dot4c_i32_i8_e32 v248, v134, v4
	v_mov_b32_e32 v249, 0
	v_dot4c_i32_i8_e32 v247, v142, v12
	v_dot4c_i32_i8_e32 v248, v135, v5
	;; [unrolled: 1-line block ×4, first 2 shown]
	v_mov_b32_e32 v250, 0
	v_dot4c_i32_i8_e32 v248, v130, v6
	v_dot4c_i32_i8_e32 v249, v133, v1
	;; [unrolled: 1-line block ×9, first 2 shown]
	v_mul_lo_u32 v246, v245, v225
	v_mul_lo_u32 v248, v248, v224
	v_dot4c_i32_i8_e32 v250, v148, v10
	v_mad_u64_u32 v[248:249], s[20:21], v249, v225, v[248:249]
	v_mad_u64_u32 v[244:245], s[20:21], v244, v224, v[246:247]
	v_dot4c_i32_i8_e32 v250, v149, v11
	v_cvt_f32_i32_e32 v245, v244
	v_cvt_f32_i32_e32 v244, v248
	v_mul_lo_u32 v246, v243, v229
	v_mul_lo_u32 v248, v247, v228
	v_mad_u64_u32 v[248:249], s[20:21], v250, v229, v[248:249]
	v_mad_u64_u32 v[242:243], s[20:21], v242, v228, v[246:247]
	v_cvt_f32_i32_e32 v243, v242
	v_cvt_f32_i32_e32 v242, v248
	v_pk_fma_f32 v[244:245], v[170:171], v[244:245], 0 op_sel_hi:[1,1,0]
	v_mov_b32_e32 v246, 0
	v_dot4c_i32_i8_e32 v246, v146, v8
	v_pk_fma_f32 v[242:243], v[168:169], v[242:243], v[244:245]
	v_mov_b32_e32 v244, 0
	v_pk_fma_f32 v[74:75], v[98:99], v[242:243], v[74:75]
	v_mov_b32_e32 v243, 0
	v_dot4c_i32_i8_e32 v244, v126, v4
	v_mov_b32_e32 v245, 0
	v_dot4c_i32_i8_e32 v243, v138, v12
	v_dot4c_i32_i8_e32 v244, v127, v5
	;; [unrolled: 1-line block ×12, first 2 shown]
	v_mul_lo_u32 v242, v241, v223
	v_mul_lo_u32 v244, v244, v222
	v_dot4c_i32_i8_e32 v246, v144, v10
	v_mad_u64_u32 v[244:245], s[20:21], v245, v223, v[244:245]
	v_mad_u64_u32 v[240:241], s[20:21], v240, v222, v[242:243]
	v_dot4c_i32_i8_e32 v246, v145, v11
	v_cvt_f32_i32_e32 v241, v240
	v_cvt_f32_i32_e32 v240, v244
	v_mul_lo_u32 v242, v239, v231
	v_mul_lo_u32 v244, v243, v230
	v_mad_u64_u32 v[244:245], s[20:21], v246, v231, v[244:245]
	v_mad_u64_u32 v[238:239], s[20:21], v238, v230, v[242:243]
	v_cvt_f32_i32_e32 v239, v238
	v_cvt_f32_i32_e32 v238, v244
	v_pk_fma_f32 v[240:241], v[170:171], v[240:241], 0 op_sel_hi:[1,1,0]
	v_mov_b32_e32 v242, 0
	v_mov_b32_e32 v243, 0
	v_pk_fma_f32 v[238:239], v[168:169], v[238:239], v[240:241]
	v_mov_b32_e32 v244, 0
	v_pk_fma_f32 v[80:81], v[100:101], v[238:239], v[80:81]
	v_mov_b32_e32 v238, 0
	v_dot4c_i32_i8_e32 v238, v118, v12
	v_mov_b32_e32 v12, 0
	v_dot4c_i32_i8_e32 v12, v114, v8
	;; [unrolled: 2-line block ×4, first 2 shown]
	v_dot4c_i32_i8_e32 v4, v106, v0
	v_dot4c_i32_i8_e32 v8, v108, v6
	;; [unrolled: 1-line block ×9, first 2 shown]
	v_mul_lo_u32 v0, v237, v219
	v_mul_lo_u32 v2, v8, v218
	v_dot4c_i32_i8_e32 v238, v117, v15
	v_dot4c_i32_i8_e32 v12, v112, v10
	v_mad_u64_u32 v[2:3], s[20:21], v4, v219, v[2:3]
	v_mad_u64_u32 v[0:1], s[20:21], v236, v218, v[0:1]
	v_dot4c_i32_i8_e32 v12, v113, v11
	v_cvt_f32_i32_e32 v1, v0
	v_cvt_f32_i32_e32 v0, v2
	v_mul_lo_u32 v2, v235, v221
	v_mul_lo_u32 v4, v238, v220
	v_mad_u64_u32 v[4:5], s[20:21], v12, v221, v[4:5]
	v_mad_u64_u32 v[2:3], s[20:21], v234, v220, v[2:3]
	v_cvt_f32_i32_e32 v3, v2
	v_cvt_f32_i32_e32 v2, v4
	v_pk_fma_f32 v[0:1], v[170:171], v[0:1], 0 op_sel_hi:[1,1,0]
	v_mov_b32_e32 v245, 0
	v_mov_b32_e32 v238, 0
	v_pk_fma_f32 v[0:1], v[168:169], v[2:3], v[0:1]
	v_mov_b32_e32 v239, 0
	v_pk_fma_f32 v[88:89], v[102:103], v[0:1], v[88:89]
	v_or_b32_e32 v0, s19, v187
	v_lshlrev_b32_e32 v12, 2, v0
	v_lshrrev_b32_e32 v247, 1, v0
	ds_read_b128 v[0:3], v12 offset:33280
	ds_read_b128 v[4:7], v12 offset:33296
	;; [unrolled: 1-line block ×4, first 2 shown]
	v_mov_b32_e32 v240, 0
	v_mov_b32_e32 v241, 0
	;; [unrolled: 1-line block ×10, first 2 shown]
	s_waitcnt lgkmcnt(0)
	v_dot4c_i32_i8_e32 v242, v162, v12
	v_dot4c_i32_i8_e32 v243, v166, v8
	;; [unrolled: 1-line block ×32, first 2 shown]
	v_or_b32_e32 v0, s19, v188
	v_dot4c_i32_i8_e32 v242, v160, v14
	v_dot4c_i32_i8_e32 v243, v164, v10
	v_dot4c_i32_i8_e32 v244, v154, v6
	v_dot4c_i32_i8_e32 v245, v152, v2
	v_dot4c_i32_i8_e32 v238, v140, v14
	v_dot4c_i32_i8_e32 v239, v148, v10
	v_dot4c_i32_i8_e32 v240, v130, v6
	v_dot4c_i32_i8_e32 v241, v128, v2
	v_dot4c_i32_i8_e32 v234, v136, v14
	v_dot4c_i32_i8_e32 v235, v144, v10
	v_dot4c_i32_i8_e32 v236, v122, v6
	v_dot4c_i32_i8_e32 v237, v120, v2
	v_dot4c_i32_i8_e32 v168, v116, v14
	v_dot4c_i32_i8_e32 v169, v112, v10
	v_dot4c_i32_i8_e32 v170, v108, v6
	v_dot4c_i32_i8_e32 v171, v104, v2
	v_lshlrev_b32_e32 v12, 2, v0
	v_dot4c_i32_i8_e32 v242, v161, v15
	v_dot4c_i32_i8_e32 v243, v165, v11
	;; [unrolled: 1-line block ×16, first 2 shown]
	v_lshrrev_b32_e32 v246, 1, v0
	ds_read_b128 v[0:3], v12 offset:33280
	ds_read_b128 v[4:7], v12 offset:33296
	;; [unrolled: 1-line block ×4, first 2 shown]
	v_mov_b32_e32 v248, 0
	s_mov_b64 s[0:1], 0
	s_waitcnt lgkmcnt(0)
	v_dot4c_i32_i8_e32 v248, v162, v12
	v_dot4c_i32_i8_e32 v248, v163, v13
	;; [unrolled: 1-line block ×4, first 2 shown]
	v_mov_b32_e32 v161, 0
	v_dot4c_i32_i8_e32 v161, v158, v4
	v_dot4c_i32_i8_e32 v161, v159, v5
	;; [unrolled: 1-line block ×3, first 2 shown]
	v_mov_b32_e32 v154, 0
	v_dot4c_i32_i8_e32 v154, v156, v0
	v_dot4c_i32_i8_e32 v154, v157, v1
	;; [unrolled: 1-line block ×4, first 2 shown]
	ds_read_b64 v[152:153], v247 offset:43584
	ds_read_b64 v[156:157], v246 offset:43584
	v_mov_b32_e32 v160, 0
	v_dot4c_i32_i8_e32 v160, v166, v8
	v_dot4c_i32_i8_e32 v161, v155, v7
	;; [unrolled: 1-line block ×3, first 2 shown]
	v_mul_lo_u32 v158, v245, v227
	v_dot4c_i32_i8_e32 v160, v164, v10
	v_mul_lo_u32 v162, v161, v226
	v_mad_u64_u32 v[154:155], s[20:21], v154, v227, v[162:163]
	v_mad_u64_u32 v[158:159], s[20:21], v244, v226, v[158:159]
	v_dot4c_i32_i8_e32 v160, v165, v11
	v_cvt_f32_i32_e32 v159, v158
	v_cvt_f32_i32_e32 v158, v154
	s_waitcnt lgkmcnt(0)
	v_mov_b32_e32 v154, v156
	v_mov_b32_e32 v155, v152
	v_mul_lo_u32 v152, v243, v233
	v_mul_lo_u32 v156, v248, v232
	v_mad_u64_u32 v[160:161], s[20:21], v160, v233, v[156:157]
	v_mad_u64_u32 v[162:163], s[20:21], v242, v232, v[152:153]
	v_cvt_f32_i32_e32 v161, v162
	v_cvt_f32_i32_e32 v160, v160
	v_pk_fma_f32 v[158:159], v[154:155], v[158:159], 0 op_sel_hi:[1,1,0]
	v_mov_b32_e32 v152, v157
	v_pk_fma_f32 v[156:157], v[152:153], v[160:161], v[158:159]
	s_nop 0
	v_pk_fma_f32 v[66:67], v[96:97], v[156:157], v[66:67]
	v_mov_b32_e32 v156, 0
	v_dot4c_i32_i8_e32 v156, v142, v12
	v_dot4c_i32_i8_e32 v156, v143, v13
	;; [unrolled: 1-line block ×4, first 2 shown]
	v_mov_b32_e32 v141, 0
	v_dot4c_i32_i8_e32 v141, v134, v4
	v_dot4c_i32_i8_e32 v141, v135, v5
	;; [unrolled: 1-line block ×4, first 2 shown]
	v_mov_b32_e32 v131, 0
	v_dot4c_i32_i8_e32 v131, v132, v0
	v_mov_b32_e32 v140, 0
	v_dot4c_i32_i8_e32 v131, v133, v1
	v_dot4c_i32_i8_e32 v140, v150, v8
	;; [unrolled: 1-line block ×5, first 2 shown]
	v_mul_lo_u32 v128, v241, v225
	v_mul_lo_u32 v130, v141, v224
	v_dot4c_i32_i8_e32 v140, v148, v10
	v_mad_u64_u32 v[130:131], s[20:21], v131, v225, v[130:131]
	v_mad_u64_u32 v[128:129], s[20:21], v240, v224, v[128:129]
	v_dot4c_i32_i8_e32 v140, v149, v11
	v_cvt_f32_i32_e32 v129, v128
	v_cvt_f32_i32_e32 v128, v130
	v_mul_lo_u32 v130, v239, v229
	v_mul_lo_u32 v132, v156, v228
	v_mad_u64_u32 v[132:133], s[20:21], v140, v229, v[132:133]
	v_mad_u64_u32 v[130:131], s[20:21], v238, v228, v[130:131]
	v_cvt_f32_i32_e32 v131, v130
	v_cvt_f32_i32_e32 v130, v132
	v_pk_fma_f32 v[128:129], v[154:155], v[128:129], 0 op_sel_hi:[1,1,0]
	s_nop 0
	v_pk_fma_f32 v[128:129], v[152:153], v[130:131], v[128:129]
	v_mov_b32_e32 v130, 0
	v_dot4c_i32_i8_e32 v130, v126, v4
	v_dot4c_i32_i8_e32 v130, v127, v5
	;; [unrolled: 1-line block ×4, first 2 shown]
	v_mov_b32_e32 v123, 0
	v_pk_fma_f32 v[70:71], v[98:99], v[128:129], v[70:71]
	v_mov_b32_e32 v128, 0
	v_dot4c_i32_i8_e32 v123, v124, v0
	v_dot4c_i32_i8_e32 v128, v138, v12
	v_mov_b32_e32 v129, 0
	v_dot4c_i32_i8_e32 v123, v125, v1
	v_dot4c_i32_i8_e32 v128, v139, v13
	v_dot4c_i32_i8_e32 v129, v146, v8
	v_dot4c_i32_i8_e32 v123, v120, v2
	v_dot4c_i32_i8_e32 v128, v136, v14
	v_dot4c_i32_i8_e32 v129, v147, v9
	v_dot4c_i32_i8_e32 v123, v121, v3
	v_mul_lo_u32 v120, v237, v223
	v_mul_lo_u32 v122, v130, v222
	v_dot4c_i32_i8_e32 v128, v137, v15
	v_dot4c_i32_i8_e32 v129, v144, v10
	v_mad_u64_u32 v[122:123], s[20:21], v123, v223, v[122:123]
	v_mad_u64_u32 v[120:121], s[20:21], v236, v222, v[120:121]
	v_dot4c_i32_i8_e32 v129, v145, v11
	v_cvt_f32_i32_e32 v121, v120
	v_cvt_f32_i32_e32 v120, v122
	v_mul_lo_u32 v122, v235, v231
	v_mul_lo_u32 v124, v128, v230
	v_mad_u64_u32 v[124:125], s[20:21], v129, v231, v[124:125]
	v_mad_u64_u32 v[122:123], s[20:21], v234, v230, v[122:123]
	v_cvt_f32_i32_e32 v123, v122
	v_cvt_f32_i32_e32 v122, v124
	v_pk_fma_f32 v[120:121], v[154:155], v[120:121], 0 op_sel_hi:[1,1,0]
	s_nop 0
	v_pk_fma_f32 v[120:121], v[152:153], v[122:123], v[120:121]
	s_nop 0
	v_pk_fma_f32 v[76:77], v[100:101], v[120:121], v[76:77]
	v_mov_b32_e32 v120, 0
	v_dot4c_i32_i8_e32 v120, v118, v12
	v_mov_b32_e32 v12, 0
	v_dot4c_i32_i8_e32 v12, v114, v8
	;; [unrolled: 2-line block ×4, first 2 shown]
	v_dot4c_i32_i8_e32 v4, v106, v0
	v_dot4c_i32_i8_e32 v8, v108, v6
	;; [unrolled: 1-line block ×9, first 2 shown]
	v_mul_lo_u32 v0, v171, v219
	v_mul_lo_u32 v2, v8, v218
	v_dot4c_i32_i8_e32 v120, v117, v15
	v_dot4c_i32_i8_e32 v12, v112, v10
	v_mad_u64_u32 v[2:3], s[20:21], v4, v219, v[2:3]
	v_mad_u64_u32 v[0:1], s[20:21], v170, v218, v[0:1]
	v_dot4c_i32_i8_e32 v12, v113, v11
	v_cvt_f32_i32_e32 v1, v0
	v_cvt_f32_i32_e32 v0, v2
	v_mul_lo_u32 v2, v169, v221
	v_mul_lo_u32 v4, v120, v220
	v_mad_u64_u32 v[4:5], s[20:21], v12, v221, v[4:5]
	v_mad_u64_u32 v[2:3], s[20:21], v168, v220, v[2:3]
	v_cvt_f32_i32_e32 v3, v2
	v_cvt_f32_i32_e32 v2, v4
	v_pk_fma_f32 v[0:1], v[154:155], v[0:1], 0 op_sel_hi:[1,1,0]
	s_mov_b32 s20, 8
	v_pk_fma_f32 v[0:1], v[152:153], v[2:3], v[0:1]
	s_nop 0
	v_pk_fma_f32 v[82:83], v[102:103], v[0:1], v[82:83]
	s_cbranch_vccnz .LBB155_6
; %bb.7:                                ;   in Loop: Header=BB155_5 Depth=1
	v_add_u32_e32 v14, s18, v176
	v_add_u32_e32 v0, v14, v51
	;; [unrolled: 1-line block ×6, first 2 shown]
	v_mad_i64_i32 v[0:1], s[0:1], v0, 36, v[62:63]
	v_mad_i64_i32 v[2:3], s[0:1], v2, 36, v[62:63]
	;; [unrolled: 1-line block ×4, first 2 shown]
	v_add_u32_e32 v8, v14, v61
	v_add_u32_e32 v10, v14, v172
	;; [unrolled: 1-line block ×4, first 2 shown]
	v_mad_u64_u32 v[96:97], s[0:1], v96, 36, s[2:3]
	s_barrier
	v_mad_i64_i32 v[8:9], s[0:1], v8, 36, v[62:63]
	v_mad_i64_i32 v[10:11], s[0:1], v10, 36, v[62:63]
	;; [unrolled: 1-line block ×4, first 2 shown]
	global_load_dword v96, v[96:97], off
	s_nop 0
	global_load_dword v0, v[0:1], off offset:4
	s_nop 0
	global_load_dword v1, v[2:3], off offset:4
	;; [unrolled: 2-line block ×3, first 2 shown]
	global_load_dword v3, v[6:7], off offset:4
	s_nop 0
	global_load_dword v4, v[8:9], off offset:4
	global_load_dword v5, v[10:11], off offset:4
	;; [unrolled: 1-line block ×4, first 2 shown]
	s_mov_b32 s0, 16
	s_waitcnt vmcnt(8)
	v_cvt_f32_f16_e32 v8, v96
	s_waitcnt vmcnt(7)
	ds_write_b32 v193, v0
	s_waitcnt vmcnt(6)
	ds_write_b32 v194, v1
	;; [unrolled: 2-line block ×8, first 2 shown]
	ds_write_b32 v47, v8
	s_waitcnt lgkmcnt(0)
	s_barrier
	ds_read_b32 v96, v175
	ds_read_b32 v98, v177 offset:128
	ds_read_b32 v100, v179 offset:256
	;; [unrolled: 1-line block ×3, first 2 shown]
	s_waitcnt lgkmcnt(3)
	v_mov_b32_e32 v97, v96
	s_waitcnt lgkmcnt(2)
	v_mov_b32_e32 v99, v98
	;; [unrolled: 2-line block ×4, first 2 shown]
.LBB155_8:                              ;   Parent Loop BB155_5 Depth=1
                                        ; =>  This Inner Loop Header: Depth=2
	s_lshl_b32 s1, s0, 1
	s_and_b32 s1, s1, 16
	v_or_b32_e32 v0, s1, v37
	s_lshl_b32 s19, s0, 3
	v_lshlrev_b32_e32 v12, 2, v0
	v_add_u32_e32 v104, s19, v189
	v_lshrrev_b32_e32 v168, 1, v0
	ds_read_b128 v[0:3], v12 offset:33280
	ds_read_b128 v[4:7], v12 offset:33296
	;; [unrolled: 1-line block ×4, first 2 shown]
	ds_read2_b32 v[154:155], v104 offset0:6 offset1:7
	ds_read2_b32 v[158:159], v104 offset0:4 offset1:5
	;; [unrolled: 1-line block ×3, first 2 shown]
	ds_read2_b32 v[156:157], v104 offset1:1
	ds_read2_b32 v[160:161], v104 offset0:14 offset1:15
	ds_read2_b32 v[162:163], v104 offset0:12 offset1:13
	;; [unrolled: 1-line block ×4, first 2 shown]
	v_add_u32_e32 v104, s19, v190
	ds_read2_b32 v[120:121], v104 offset0:6 offset1:7
	ds_read2_b32 v[126:127], v104 offset0:4 offset1:5
	ds_read2_b32 v[108:109], v104 offset0:2 offset1:3
	ds_read2_b32 v[114:115], v104 offset1:1
	ds_read2_b32 v[132:133], v104 offset0:14 offset1:15
	ds_read2_b32 v[138:139], v104 offset0:12 offset1:13
	;; [unrolled: 1-line block ×4, first 2 shown]
	v_add_u32_e32 v104, s19, v191
	v_add_u32_e32 v146, s19, v192
	ds_read2_b32 v[118:119], v104 offset0:6 offset1:7
	ds_read2_b32 v[124:125], v104 offset0:4 offset1:5
	;; [unrolled: 1-line block ×3, first 2 shown]
	ds_read2_b32 v[112:113], v104 offset1:1
	ds_read2_b32 v[130:131], v104 offset0:14 offset1:15
	ds_read2_b32 v[136:137], v104 offset0:12 offset1:13
	;; [unrolled: 1-line block ×7, first 2 shown]
	ds_read2_b32 v[110:111], v146 offset1:1
	ds_read2_b32 v[128:129], v146 offset0:14 offset1:15
	ds_read2_b32 v[134:135], v146 offset0:12 offset1:13
	;; [unrolled: 1-line block ×4, first 2 shown]
	v_mov_b32_e32 v222, 0
	v_mov_b32_e32 v223, 0
	;; [unrolled: 1-line block ×16, first 2 shown]
	s_waitcnt lgkmcnt(14)
	v_dot4c_i32_i8_e32 v222, v162, v12
	v_dot4c_i32_i8_e32 v223, v166, v8
	;; [unrolled: 1-line block ×8, first 2 shown]
	s_waitcnt lgkmcnt(10)
	v_dot4c_i32_i8_e32 v230, v136, v12
	s_waitcnt lgkmcnt(8)
	v_dot4c_i32_i8_e32 v231, v148, v8
	v_dot4c_i32_i8_e32 v232, v124, v4
	;; [unrolled: 1-line block ×3, first 2 shown]
	s_waitcnt lgkmcnt(2)
	v_dot4c_i32_i8_e32 v233, v134, v12
	s_waitcnt lgkmcnt(0)
	v_dot4c_i32_i8_e32 v234, v146, v8
	v_dot4c_i32_i8_e32 v235, v122, v4
	;; [unrolled: 1-line block ×3, first 2 shown]
	s_lshr_b32 s18, s0, 1
	v_dot4c_i32_i8_e32 v222, v163, v13
	v_dot4c_i32_i8_e32 v223, v167, v9
	;; [unrolled: 1-line block ×16, first 2 shown]
	v_or_b32_e32 v0, s1, v182
	s_add_i32 s18, s18, 0xa200
	v_dot4c_i32_i8_e32 v222, v160, v14
	v_dot4c_i32_i8_e32 v223, v164, v10
	;; [unrolled: 1-line block ×16, first 2 shown]
	v_lshlrev_b32_e32 v12, 2, v0
	v_add3_u32 v170, s18, v212, v213
	v_dot4c_i32_i8_e32 v222, v161, v15
	v_dot4c_i32_i8_e32 v223, v165, v11
	;; [unrolled: 1-line block ×16, first 2 shown]
	v_lshrrev_b32_e32 v239, 1, v0
	ds_read_b128 v[0:3], v12 offset:33280
	ds_read_b128 v[4:7], v12 offset:33296
	;; [unrolled: 1-line block ×4, first 2 shown]
	ds_read_b64 v[168:169], v168 offset:43584
	ds_read_b32 v170, v170
	v_mov_b32_e32 v242, 0
	v_mov_b32_e32 v244, 0
	s_waitcnt lgkmcnt(4)
	v_dot4c_i32_i8_e32 v242, v158, v4
	v_mov_b32_e32 v243, 0
	s_waitcnt lgkmcnt(2)
	v_dot4c_i32_i8_e32 v244, v162, v12
	v_mov_b32_e32 v245, 0
	v_dot4c_i32_i8_e32 v242, v159, v5
	v_dot4c_i32_i8_e32 v243, v156, v0
	;; [unrolled: 1-line block ×6, first 2 shown]
	s_waitcnt lgkmcnt(0)
	v_bfe_i32 v220, v170, 0, 8
	v_dot4c_i32_i8_e32 v244, v160, v14
	v_dot4c_i32_i8_e32 v245, v167, v9
	;; [unrolled: 1-line block ×4, first 2 shown]
	v_bfe_i32 v219, v170, 8, 8
	v_ashrrev_i32_e32 v217, 24, v170
	v_bfe_i32 v218, v170, 16, 8
	v_mul_lo_u32 v170, v224, v220
	v_add3_u32 v221, s18, v214, v209
	v_add3_u32 v225, s18, v215, v210
	;; [unrolled: 1-line block ×3, first 2 shown]
	v_dot4c_i32_i8_e32 v244, v161, v15
	v_dot4c_i32_i8_e32 v245, v164, v10
	;; [unrolled: 1-line block ×3, first 2 shown]
	ds_read_b64 v[240:241], v239 offset:43584
	v_mul_lo_u32 v224, v242, v219
	v_mad_u64_u32 v[170:171], s[18:19], v171, v219, v[170:171]
	v_dot4c_i32_i8_e32 v245, v165, v11
	v_mad_u64_u32 v[242:243], s[18:19], v243, v220, v[224:225]
	v_mov_b32_e32 v171, v168
	v_mul_lo_u32 v168, v223, v218
	v_mul_lo_u32 v224, v244, v217
	v_cvt_f32_i32_e32 v243, v170
	v_cvt_f32_i32_e32 v242, v242
	v_mad_u64_u32 v[244:245], s[18:19], v245, v218, v[224:225]
	v_mad_u64_u32 v[222:223], s[18:19], v222, v217, v[168:169]
	v_cvt_f32_i32_e32 v223, v222
	v_cvt_f32_i32_e32 v222, v244
	s_waitcnt lgkmcnt(0)
	v_mov_b32_e32 v170, v240
	v_pk_fma_f32 v[242:243], v[170:171], v[242:243], 0 op_sel_hi:[1,1,0]
	v_mov_b32_e32 v168, v241
	v_pk_fma_f32 v[222:223], v[168:169], v[222:223], v[242:243]
	v_mov_b32_e32 v239, 0
	v_pk_fma_f32 v[64:65], v[96:97], v[222:223], v[64:65]
	ds_read_b32 v222, v221
	v_dot4c_i32_i8_e32 v239, v126, v4
	v_mov_b32_e32 v241, 0
	v_mov_b32_e32 v242, 0
	v_dot4c_i32_i8_e32 v239, v127, v5
	v_dot4c_i32_i8_e32 v241, v114, v0
	;; [unrolled: 1-line block ×3, first 2 shown]
	v_mov_b32_e32 v243, 0
	v_dot4c_i32_i8_e32 v239, v120, v6
	v_dot4c_i32_i8_e32 v241, v115, v1
	;; [unrolled: 1-line block ×6, first 2 shown]
	s_waitcnt lgkmcnt(0)
	v_bfe_i32 v223, v222, 8, 8
	v_bfe_i32 v224, v222, 0, 8
	v_dot4c_i32_i8_e32 v242, v132, v14
	v_dot4c_i32_i8_e32 v243, v151, v9
	;; [unrolled: 1-line block ×3, first 2 shown]
	v_mul_lo_u32 v238, v238, v224
	v_mul_lo_u32 v240, v239, v223
	v_dot4c_i32_i8_e32 v242, v133, v15
	v_dot4c_i32_i8_e32 v243, v144, v10
	v_ashrrev_i32_e32 v221, 24, v222
	v_bfe_i32 v222, v222, 16, 8
	v_mad_u64_u32 v[240:241], s[18:19], v241, v224, v[240:241]
	v_mad_u64_u32 v[238:239], s[18:19], v228, v223, v[238:239]
	v_dot4c_i32_i8_e32 v243, v145, v11
	v_cvt_f32_i32_e32 v239, v238
	v_cvt_f32_i32_e32 v238, v240
	v_mul_lo_u32 v228, v227, v222
	v_mul_lo_u32 v240, v242, v221
	v_mad_u64_u32 v[240:241], s[18:19], v243, v222, v[240:241]
	v_mad_u64_u32 v[226:227], s[18:19], v226, v221, v[228:229]
	v_cvt_f32_i32_e32 v227, v226
	v_cvt_f32_i32_e32 v226, v240
	v_pk_fma_f32 v[238:239], v[170:171], v[238:239], 0 op_sel_hi:[1,1,0]
	v_mov_b32_e32 v241, 0
	v_mov_b32_e32 v242, 0
	v_pk_fma_f32 v[226:227], v[168:169], v[226:227], v[238:239]
	v_mov_b32_e32 v239, 0
	v_pk_fma_f32 v[84:85], v[98:99], v[226:227], v[84:85]
	ds_read_b32 v226, v225
	v_dot4c_i32_i8_e32 v239, v124, v4
	v_dot4c_i32_i8_e32 v239, v125, v5
	;; [unrolled: 1-line block ×4, first 2 shown]
	v_mov_b32_e32 v243, 0
	v_dot4c_i32_i8_e32 v239, v118, v6
	v_dot4c_i32_i8_e32 v241, v113, v1
	;; [unrolled: 1-line block ×6, first 2 shown]
	s_waitcnt lgkmcnt(0)
	v_bfe_i32 v227, v226, 8, 8
	v_bfe_i32 v228, v226, 0, 8
	v_dot4c_i32_i8_e32 v242, v130, v14
	v_dot4c_i32_i8_e32 v243, v149, v9
	v_dot4c_i32_i8_e32 v241, v107, v3
	v_mul_lo_u32 v238, v237, v228
	v_mul_lo_u32 v240, v239, v227
	v_mov_b32_e32 v237, 0
	v_dot4c_i32_i8_e32 v242, v131, v15
	v_dot4c_i32_i8_e32 v243, v142, v10
	v_ashrrev_i32_e32 v225, 24, v226
	v_bfe_i32 v226, v226, 16, 8
	v_mad_u64_u32 v[240:241], s[18:19], v241, v228, v[240:241]
	v_mad_u64_u32 v[238:239], s[18:19], v232, v227, v[238:239]
	v_dot4c_i32_i8_e32 v237, v134, v12
	v_mov_b32_e32 v12, 0
	v_dot4c_i32_i8_e32 v243, v143, v11
	v_cvt_f32_i32_e32 v239, v238
	v_cvt_f32_i32_e32 v238, v240
	v_mul_lo_u32 v232, v231, v226
	v_mul_lo_u32 v240, v242, v225
	v_dot4c_i32_i8_e32 v12, v146, v8
	v_mov_b32_e32 v8, 0
	v_mad_u64_u32 v[240:241], s[18:19], v243, v226, v[240:241]
	v_mad_u64_u32 v[230:231], s[18:19], v230, v225, v[232:233]
	v_dot4c_i32_i8_e32 v8, v122, v4
	v_mov_b32_e32 v4, 0
	v_cvt_f32_i32_e32 v231, v230
	v_cvt_f32_i32_e32 v230, v240
	v_dot4c_i32_i8_e32 v4, v110, v0
	ds_read_b32 v0, v229
	v_pk_fma_f32 v[238:239], v[170:171], v[238:239], 0 op_sel_hi:[1,1,0]
	v_dot4c_i32_i8_e32 v8, v123, v5
	v_pk_fma_f32 v[230:231], v[168:169], v[230:231], v[238:239]
	v_dot4c_i32_i8_e32 v8, v116, v6
	v_dot4c_i32_i8_e32 v4, v111, v1
	v_pk_fma_f32 v[90:91], v[100:101], v[230:231], v[90:91]
	v_dot4c_i32_i8_e32 v237, v135, v13
	v_dot4c_i32_i8_e32 v8, v117, v7
	;; [unrolled: 1-line block ×3, first 2 shown]
	s_waitcnt lgkmcnt(0)
	v_bfe_i32 v231, v0, 8, 8
	v_bfe_i32 v232, v0, 0, 8
	v_dot4c_i32_i8_e32 v237, v128, v14
	v_dot4c_i32_i8_e32 v12, v147, v9
	;; [unrolled: 1-line block ×3, first 2 shown]
	v_ashrrev_i32_e32 v229, 24, v0
	v_bfe_i32 v230, v0, 16, 8
	v_mul_lo_u32 v0, v236, v232
	v_mul_lo_u32 v2, v8, v231
	v_dot4c_i32_i8_e32 v237, v129, v15
	v_dot4c_i32_i8_e32 v12, v140, v10
	v_mad_u64_u32 v[2:3], s[18:19], v4, v232, v[2:3]
	v_mad_u64_u32 v[0:1], s[18:19], v235, v231, v[0:1]
	v_dot4c_i32_i8_e32 v12, v141, v11
	v_cvt_f32_i32_e32 v1, v0
	v_cvt_f32_i32_e32 v0, v2
	v_mul_lo_u32 v2, v234, v230
	v_mul_lo_u32 v4, v237, v229
	v_mad_u64_u32 v[4:5], s[18:19], v12, v230, v[4:5]
	v_mad_u64_u32 v[2:3], s[18:19], v233, v229, v[2:3]
	v_cvt_f32_i32_e32 v3, v2
	v_cvt_f32_i32_e32 v2, v4
	v_pk_fma_f32 v[0:1], v[170:171], v[0:1], 0 op_sel_hi:[1,1,0]
	v_mov_b32_e32 v245, 0
	v_mov_b32_e32 v250, 0
	v_pk_fma_f32 v[0:1], v[168:169], v[2:3], v[0:1]
	v_mov_b32_e32 v171, 0
	v_pk_fma_f32 v[94:95], v[102:103], v[0:1], v[94:95]
	v_or_b32_e32 v0, s1, v183
	v_lshlrev_b32_e32 v12, 2, v0
	v_lshrrev_b32_e32 v168, 1, v0
	ds_read_b128 v[0:3], v12 offset:33280
	ds_read_b128 v[4:7], v12 offset:33296
	;; [unrolled: 1-line block ×4, first 2 shown]
	v_mov_b32_e32 v170, 0
	v_mov_b32_e32 v241, 0
	;; [unrolled: 1-line block ×13, first 2 shown]
	s_waitcnt lgkmcnt(0)
	v_dot4c_i32_i8_e32 v245, v162, v12
	v_dot4c_i32_i8_e32 v250, v166, v8
	v_dot4c_i32_i8_e32 v171, v158, v4
	v_dot4c_i32_i8_e32 v170, v156, v0
	v_dot4c_i32_i8_e32 v241, v138, v12
	v_dot4c_i32_i8_e32 v242, v150, v8
	v_dot4c_i32_i8_e32 v243, v126, v4
	v_dot4c_i32_i8_e32 v244, v114, v0
	v_dot4c_i32_i8_e32 v237, v136, v12
	v_dot4c_i32_i8_e32 v238, v148, v8
	v_dot4c_i32_i8_e32 v239, v124, v4
	v_dot4c_i32_i8_e32 v240, v112, v0
	v_dot4c_i32_i8_e32 v233, v134, v12
	v_dot4c_i32_i8_e32 v234, v146, v8
	v_dot4c_i32_i8_e32 v235, v122, v4
	v_dot4c_i32_i8_e32 v236, v110, v0
	v_dot4c_i32_i8_e32 v245, v163, v13
	v_dot4c_i32_i8_e32 v250, v167, v9
	v_dot4c_i32_i8_e32 v171, v159, v5
	v_dot4c_i32_i8_e32 v170, v157, v1
	v_dot4c_i32_i8_e32 v241, v139, v13
	v_dot4c_i32_i8_e32 v242, v151, v9
	v_dot4c_i32_i8_e32 v243, v127, v5
	v_dot4c_i32_i8_e32 v244, v115, v1
	v_dot4c_i32_i8_e32 v237, v137, v13
	v_dot4c_i32_i8_e32 v238, v149, v9
	v_dot4c_i32_i8_e32 v239, v125, v5
	v_dot4c_i32_i8_e32 v240, v113, v1
	v_dot4c_i32_i8_e32 v233, v135, v13
	v_dot4c_i32_i8_e32 v234, v147, v9
	v_dot4c_i32_i8_e32 v235, v123, v5
	v_dot4c_i32_i8_e32 v236, v111, v1
	v_or_b32_e32 v0, s1, v184
	v_dot4c_i32_i8_e32 v245, v160, v14
	v_dot4c_i32_i8_e32 v250, v164, v10
	;; [unrolled: 1-line block ×16, first 2 shown]
	v_lshlrev_b32_e32 v12, 2, v0
	v_dot4c_i32_i8_e32 v245, v161, v15
	v_dot4c_i32_i8_e32 v250, v165, v11
	;; [unrolled: 1-line block ×16, first 2 shown]
	v_lshrrev_b32_e32 v246, 1, v0
	ds_read_b128 v[0:3], v12 offset:33280
	ds_read_b128 v[4:7], v12 offset:33296
	;; [unrolled: 1-line block ×4, first 2 shown]
	v_mov_b32_e32 v248, 0
	v_mov_b32_e32 v249, 0
	s_waitcnt lgkmcnt(2)
	v_dot4c_i32_i8_e32 v248, v158, v4
	v_mov_b32_e32 v251, 0
	v_dot4c_i32_i8_e32 v248, v159, v5
	v_dot4c_i32_i8_e32 v249, v156, v0
	ds_read_b64 v[168:169], v168 offset:43584
	ds_read_b64 v[246:247], v246 offset:43584
	s_waitcnt lgkmcnt(2)
	v_dot4c_i32_i8_e32 v251, v162, v12
	v_mov_b32_e32 v252, 0
	v_dot4c_i32_i8_e32 v248, v154, v6
	v_dot4c_i32_i8_e32 v249, v157, v1
	;; [unrolled: 1-line block ×9, first 2 shown]
	v_mul_lo_u32 v170, v170, v220
	v_mul_lo_u32 v248, v248, v219
	v_dot4c_i32_i8_e32 v251, v161, v15
	v_dot4c_i32_i8_e32 v252, v164, v10
	v_mad_u64_u32 v[248:249], s[18:19], v249, v220, v[248:249]
	v_mad_u64_u32 v[170:171], s[18:19], v171, v219, v[170:171]
	v_dot4c_i32_i8_e32 v252, v165, v11
	v_cvt_f32_i32_e32 v249, v170
	s_waitcnt lgkmcnt(0)
	v_mov_b32_e32 v170, v246
	v_mov_b32_e32 v171, v168
	v_mul_lo_u32 v168, v250, v218
	v_mul_lo_u32 v246, v251, v217
	v_cvt_f32_i32_e32 v248, v248
	v_mad_u64_u32 v[250:251], s[18:19], v252, v218, v[246:247]
	v_mad_u64_u32 v[252:253], s[18:19], v245, v217, v[168:169]
	v_cvt_f32_i32_e32 v251, v252
	v_cvt_f32_i32_e32 v250, v250
	v_pk_fma_f32 v[248:249], v[170:171], v[248:249], 0 op_sel_hi:[1,1,0]
	v_mov_b32_e32 v168, v247
	v_mov_b32_e32 v245, 0
	v_pk_fma_f32 v[246:247], v[168:169], v[250:251], v[248:249]
	v_dot4c_i32_i8_e32 v245, v126, v4
	v_pk_fma_f32 v[72:73], v[96:97], v[246:247], v[72:73]
	v_mov_b32_e32 v247, 0
	v_mov_b32_e32 v248, 0
	v_dot4c_i32_i8_e32 v245, v127, v5
	v_dot4c_i32_i8_e32 v247, v114, v0
	;; [unrolled: 1-line block ×3, first 2 shown]
	v_mov_b32_e32 v249, 0
	v_dot4c_i32_i8_e32 v245, v120, v6
	v_dot4c_i32_i8_e32 v247, v115, v1
	;; [unrolled: 1-line block ×9, first 2 shown]
	v_mul_lo_u32 v244, v244, v224
	v_mul_lo_u32 v246, v245, v223
	v_dot4c_i32_i8_e32 v248, v133, v15
	v_dot4c_i32_i8_e32 v249, v144, v10
	v_mad_u64_u32 v[246:247], s[18:19], v247, v224, v[246:247]
	v_mad_u64_u32 v[244:245], s[18:19], v243, v223, v[244:245]
	v_dot4c_i32_i8_e32 v249, v145, v11
	v_cvt_f32_i32_e32 v245, v244
	v_cvt_f32_i32_e32 v244, v246
	v_mul_lo_u32 v242, v242, v222
	v_mul_lo_u32 v246, v248, v221
	v_mad_u64_u32 v[246:247], s[18:19], v249, v222, v[246:247]
	v_mad_u64_u32 v[242:243], s[18:19], v241, v221, v[242:243]
	v_cvt_f32_i32_e32 v243, v242
	v_cvt_f32_i32_e32 v242, v246
	v_mov_b32_e32 v241, 0
	v_dot4c_i32_i8_e32 v241, v124, v4
	v_dot4c_i32_i8_e32 v241, v125, v5
	v_pk_fma_f32 v[244:245], v[170:171], v[244:245], 0 op_sel_hi:[1,1,0]
	v_dot4c_i32_i8_e32 v241, v118, v6
	v_pk_fma_f32 v[242:243], v[168:169], v[242:243], v[244:245]
	v_dot4c_i32_i8_e32 v241, v119, v7
	v_mul_lo_u32 v240, v240, v228
	v_mul_lo_u32 v238, v238, v226
	v_pk_fma_f32 v[78:79], v[98:99], v[242:243], v[78:79]
	v_mov_b32_e32 v244, 0
	v_mul_lo_u32 v242, v241, v227
	v_mad_u64_u32 v[240:241], s[18:19], v239, v227, v[240:241]
	v_mad_u64_u32 v[238:239], s[18:19], v237, v225, v[238:239]
	v_mov_b32_e32 v237, 0
	v_dot4c_i32_i8_e32 v244, v136, v12
	v_mov_b32_e32 v245, 0
	v_dot4c_i32_i8_e32 v237, v134, v12
	;; [unrolled: 2-line block ×3, first 2 shown]
	v_dot4c_i32_i8_e32 v12, v146, v8
	v_mov_b32_e32 v8, 0
	v_dot4c_i32_i8_e32 v8, v122, v4
	v_mov_b32_e32 v4, 0
	v_mov_b32_e32 v243, 0
	v_dot4c_i32_i8_e32 v8, v123, v5
	v_dot4c_i32_i8_e32 v4, v110, v0
	;; [unrolled: 1-line block ×13, first 2 shown]
	v_mul_lo_u32 v0, v236, v232
	v_mul_lo_u32 v2, v8, v231
	v_dot4c_i32_i8_e32 v243, v107, v3
	v_dot4c_i32_i8_e32 v237, v129, v15
	;; [unrolled: 1-line block ×3, first 2 shown]
	v_mad_u64_u32 v[2:3], s[18:19], v4, v232, v[2:3]
	v_mad_u64_u32 v[0:1], s[18:19], v235, v231, v[0:1]
	v_dot4c_i32_i8_e32 v244, v137, v13
	v_dot4c_i32_i8_e32 v12, v141, v11
	v_cvt_f32_i32_e32 v1, v0
	v_cvt_f32_i32_e32 v0, v2
	v_mul_lo_u32 v2, v234, v230
	v_mul_lo_u32 v4, v237, v229
	v_dot4c_i32_i8_e32 v244, v130, v14
	v_dot4c_i32_i8_e32 v245, v149, v9
	v_mad_u64_u32 v[4:5], s[18:19], v12, v230, v[4:5]
	v_mad_u64_u32 v[2:3], s[18:19], v233, v229, v[2:3]
	v_dot4c_i32_i8_e32 v244, v131, v15
	v_dot4c_i32_i8_e32 v245, v142, v10
	v_mad_u64_u32 v[242:243], s[18:19], v243, v228, v[242:243]
	v_cvt_f32_i32_e32 v3, v2
	v_cvt_f32_i32_e32 v2, v4
	v_dot4c_i32_i8_e32 v245, v143, v11
	v_cvt_f32_i32_e32 v241, v240
	v_cvt_f32_i32_e32 v240, v242
	v_mul_lo_u32 v242, v244, v225
	v_mad_u64_u32 v[242:243], s[18:19], v245, v226, v[242:243]
	v_cvt_f32_i32_e32 v239, v238
	v_cvt_f32_i32_e32 v238, v242
	v_pk_fma_f32 v[0:1], v[170:171], v[0:1], 0 op_sel_hi:[1,1,0]
	v_pk_fma_f32 v[240:241], v[170:171], v[240:241], 0 op_sel_hi:[1,1,0]
	v_pk_fma_f32 v[0:1], v[168:169], v[2:3], v[0:1]
	v_pk_fma_f32 v[238:239], v[168:169], v[238:239], v[240:241]
	;; [unrolled: 1-line block ×3, first 2 shown]
	v_or_b32_e32 v0, s1, v185
	v_lshlrev_b32_e32 v12, 2, v0
	v_lshrrev_b32_e32 v168, 1, v0
	ds_read_b128 v[0:3], v12 offset:33280
	ds_read_b128 v[4:7], v12 offset:33296
	;; [unrolled: 1-line block ×4, first 2 shown]
	v_pk_fma_f32 v[86:87], v[100:101], v[238:239], v[86:87]
	v_mov_b32_e32 v245, 0
	v_mov_b32_e32 v250, 0
	;; [unrolled: 1-line block ×16, first 2 shown]
	s_waitcnt lgkmcnt(0)
	v_dot4c_i32_i8_e32 v245, v162, v12
	v_dot4c_i32_i8_e32 v250, v166, v8
	;; [unrolled: 1-line block ×32, first 2 shown]
	v_or_b32_e32 v0, s1, v186
	v_dot4c_i32_i8_e32 v245, v160, v14
	v_dot4c_i32_i8_e32 v250, v164, v10
	;; [unrolled: 1-line block ×16, first 2 shown]
	v_lshlrev_b32_e32 v12, 2, v0
	v_dot4c_i32_i8_e32 v245, v161, v15
	v_dot4c_i32_i8_e32 v250, v165, v11
	;; [unrolled: 1-line block ×16, first 2 shown]
	v_lshrrev_b32_e32 v246, 1, v0
	ds_read_b128 v[0:3], v12 offset:33280
	ds_read_b128 v[4:7], v12 offset:33296
	;; [unrolled: 1-line block ×4, first 2 shown]
	v_mov_b32_e32 v248, 0
	v_mov_b32_e32 v249, 0
	s_waitcnt lgkmcnt(2)
	v_dot4c_i32_i8_e32 v248, v158, v4
	v_mov_b32_e32 v251, 0
	v_dot4c_i32_i8_e32 v248, v159, v5
	v_dot4c_i32_i8_e32 v249, v156, v0
	ds_read_b64 v[168:169], v168 offset:43584
	ds_read_b64 v[246:247], v246 offset:43584
	s_waitcnt lgkmcnt(2)
	v_dot4c_i32_i8_e32 v251, v162, v12
	v_mov_b32_e32 v252, 0
	v_dot4c_i32_i8_e32 v248, v154, v6
	v_dot4c_i32_i8_e32 v249, v157, v1
	;; [unrolled: 1-line block ×9, first 2 shown]
	v_mul_lo_u32 v170, v170, v220
	v_mul_lo_u32 v248, v248, v219
	v_dot4c_i32_i8_e32 v251, v161, v15
	v_dot4c_i32_i8_e32 v252, v164, v10
	v_mad_u64_u32 v[248:249], s[18:19], v249, v220, v[248:249]
	v_mad_u64_u32 v[170:171], s[18:19], v171, v219, v[170:171]
	v_dot4c_i32_i8_e32 v252, v165, v11
	v_cvt_f32_i32_e32 v249, v170
	s_waitcnt lgkmcnt(0)
	v_mov_b32_e32 v170, v246
	v_mov_b32_e32 v171, v168
	v_mul_lo_u32 v168, v250, v218
	v_mul_lo_u32 v246, v251, v217
	v_cvt_f32_i32_e32 v248, v248
	v_mad_u64_u32 v[250:251], s[18:19], v252, v218, v[246:247]
	v_mad_u64_u32 v[252:253], s[18:19], v245, v217, v[168:169]
	v_cvt_f32_i32_e32 v251, v252
	v_cvt_f32_i32_e32 v250, v250
	v_pk_fma_f32 v[248:249], v[170:171], v[248:249], 0 op_sel_hi:[1,1,0]
	v_mov_b32_e32 v168, v247
	v_mov_b32_e32 v245, 0
	v_pk_fma_f32 v[246:247], v[168:169], v[250:251], v[248:249]
	v_dot4c_i32_i8_e32 v245, v126, v4
	v_pk_fma_f32 v[68:69], v[96:97], v[246:247], v[68:69]
	v_mov_b32_e32 v247, 0
	v_mov_b32_e32 v248, 0
	v_dot4c_i32_i8_e32 v245, v127, v5
	v_dot4c_i32_i8_e32 v247, v114, v0
	;; [unrolled: 1-line block ×3, first 2 shown]
	v_mov_b32_e32 v249, 0
	v_dot4c_i32_i8_e32 v245, v120, v6
	v_dot4c_i32_i8_e32 v247, v115, v1
	;; [unrolled: 1-line block ×9, first 2 shown]
	v_mul_lo_u32 v244, v244, v224
	v_mul_lo_u32 v246, v245, v223
	v_dot4c_i32_i8_e32 v248, v133, v15
	v_dot4c_i32_i8_e32 v249, v144, v10
	v_mad_u64_u32 v[246:247], s[18:19], v247, v224, v[246:247]
	v_mad_u64_u32 v[244:245], s[18:19], v243, v223, v[244:245]
	v_dot4c_i32_i8_e32 v249, v145, v11
	v_cvt_f32_i32_e32 v245, v244
	v_cvt_f32_i32_e32 v244, v246
	v_mul_lo_u32 v242, v242, v222
	v_mul_lo_u32 v246, v248, v221
	v_mad_u64_u32 v[246:247], s[18:19], v249, v222, v[246:247]
	v_mad_u64_u32 v[242:243], s[18:19], v241, v221, v[242:243]
	v_cvt_f32_i32_e32 v243, v242
	v_cvt_f32_i32_e32 v242, v246
	v_mov_b32_e32 v241, 0
	v_dot4c_i32_i8_e32 v241, v124, v4
	v_dot4c_i32_i8_e32 v241, v125, v5
	v_pk_fma_f32 v[244:245], v[170:171], v[244:245], 0 op_sel_hi:[1,1,0]
	v_dot4c_i32_i8_e32 v241, v118, v6
	v_pk_fma_f32 v[242:243], v[168:169], v[242:243], v[244:245]
	v_dot4c_i32_i8_e32 v241, v119, v7
	v_mul_lo_u32 v240, v240, v228
	v_mul_lo_u32 v238, v238, v226
	v_pk_fma_f32 v[74:75], v[98:99], v[242:243], v[74:75]
	v_mov_b32_e32 v244, 0
	v_mul_lo_u32 v242, v241, v227
	v_mad_u64_u32 v[240:241], s[18:19], v239, v227, v[240:241]
	v_mad_u64_u32 v[238:239], s[18:19], v237, v225, v[238:239]
	v_mov_b32_e32 v237, 0
	v_dot4c_i32_i8_e32 v244, v136, v12
	v_mov_b32_e32 v245, 0
	v_dot4c_i32_i8_e32 v237, v134, v12
	;; [unrolled: 2-line block ×3, first 2 shown]
	v_dot4c_i32_i8_e32 v12, v146, v8
	v_mov_b32_e32 v8, 0
	v_dot4c_i32_i8_e32 v8, v122, v4
	v_mov_b32_e32 v4, 0
	v_mov_b32_e32 v243, 0
	v_dot4c_i32_i8_e32 v8, v123, v5
	v_dot4c_i32_i8_e32 v4, v110, v0
	v_dot4c_i32_i8_e32 v243, v112, v0
	v_dot4c_i32_i8_e32 v8, v116, v6
	v_dot4c_i32_i8_e32 v4, v111, v1
	v_dot4c_i32_i8_e32 v243, v113, v1
	v_dot4c_i32_i8_e32 v237, v135, v13
	v_dot4c_i32_i8_e32 v8, v117, v7
	v_dot4c_i32_i8_e32 v4, v104, v2
	v_dot4c_i32_i8_e32 v243, v106, v2
	v_dot4c_i32_i8_e32 v237, v128, v14
	v_dot4c_i32_i8_e32 v12, v147, v9
	v_dot4c_i32_i8_e32 v4, v105, v3
	v_mul_lo_u32 v0, v236, v232
	v_mul_lo_u32 v2, v8, v231
	v_dot4c_i32_i8_e32 v243, v107, v3
	v_dot4c_i32_i8_e32 v237, v129, v15
	;; [unrolled: 1-line block ×3, first 2 shown]
	v_mad_u64_u32 v[2:3], s[18:19], v4, v232, v[2:3]
	v_mad_u64_u32 v[0:1], s[18:19], v235, v231, v[0:1]
	v_dot4c_i32_i8_e32 v244, v137, v13
	v_dot4c_i32_i8_e32 v12, v141, v11
	v_cvt_f32_i32_e32 v1, v0
	v_cvt_f32_i32_e32 v0, v2
	v_mul_lo_u32 v2, v234, v230
	v_mul_lo_u32 v4, v237, v229
	v_dot4c_i32_i8_e32 v244, v130, v14
	v_dot4c_i32_i8_e32 v245, v149, v9
	v_mad_u64_u32 v[4:5], s[18:19], v12, v230, v[4:5]
	v_mad_u64_u32 v[2:3], s[18:19], v233, v229, v[2:3]
	v_dot4c_i32_i8_e32 v244, v131, v15
	v_dot4c_i32_i8_e32 v245, v142, v10
	v_mad_u64_u32 v[242:243], s[18:19], v243, v228, v[242:243]
	v_cvt_f32_i32_e32 v3, v2
	v_cvt_f32_i32_e32 v2, v4
	v_dot4c_i32_i8_e32 v245, v143, v11
	v_cvt_f32_i32_e32 v241, v240
	v_cvt_f32_i32_e32 v240, v242
	v_mul_lo_u32 v242, v244, v225
	v_mad_u64_u32 v[242:243], s[18:19], v245, v226, v[242:243]
	v_cvt_f32_i32_e32 v239, v238
	v_cvt_f32_i32_e32 v238, v242
	v_pk_fma_f32 v[0:1], v[170:171], v[0:1], 0 op_sel_hi:[1,1,0]
	v_pk_fma_f32 v[240:241], v[170:171], v[240:241], 0 op_sel_hi:[1,1,0]
	v_pk_fma_f32 v[0:1], v[168:169], v[2:3], v[0:1]
	v_pk_fma_f32 v[238:239], v[168:169], v[238:239], v[240:241]
	;; [unrolled: 1-line block ×3, first 2 shown]
	v_or_b32_e32 v0, s1, v187
	v_lshlrev_b32_e32 v12, 2, v0
	v_lshrrev_b32_e32 v241, 1, v0
	ds_read_b128 v[0:3], v12 offset:33280
	ds_read_b128 v[4:7], v12 offset:33296
	;; [unrolled: 1-line block ×4, first 2 shown]
	v_pk_fma_f32 v[80:81], v[100:101], v[238:239], v[80:81]
	v_mov_b32_e32 v239, 0
	v_mov_b32_e32 v240, 0
	;; [unrolled: 1-line block ×16, first 2 shown]
	s_waitcnt lgkmcnt(0)
	v_dot4c_i32_i8_e32 v239, v162, v12
	v_dot4c_i32_i8_e32 v240, v166, v8
	;; [unrolled: 1-line block ×32, first 2 shown]
	v_or_b32_e32 v0, s1, v188
	v_dot4c_i32_i8_e32 v239, v160, v14
	v_dot4c_i32_i8_e32 v240, v164, v10
	;; [unrolled: 1-line block ×16, first 2 shown]
	v_lshlrev_b32_e32 v12, 2, v0
	v_dot4c_i32_i8_e32 v239, v161, v15
	v_dot4c_i32_i8_e32 v240, v165, v11
	;; [unrolled: 1-line block ×16, first 2 shown]
	v_lshrrev_b32_e32 v246, 1, v0
	ds_read_b128 v[0:3], v12 offset:33280
	ds_read_b128 v[4:7], v12 offset:33296
	;; [unrolled: 1-line block ×4, first 2 shown]
	v_mov_b32_e32 v247, 0
	s_add_i32 s1, s0, 8
	s_cmp_lt_u32 s0, 24
	s_mov_b32 s0, s1
	s_waitcnt lgkmcnt(0)
	v_dot4c_i32_i8_e32 v247, v162, v12
	v_dot4c_i32_i8_e32 v247, v163, v13
	;; [unrolled: 1-line block ×4, first 2 shown]
	v_mov_b32_e32 v161, 0
	v_dot4c_i32_i8_e32 v161, v158, v4
	v_dot4c_i32_i8_e32 v161, v159, v5
	;; [unrolled: 1-line block ×4, first 2 shown]
	v_mov_b32_e32 v155, 0
	v_dot4c_i32_i8_e32 v155, v156, v0
	v_dot4c_i32_i8_e32 v155, v157, v1
	;; [unrolled: 1-line block ×4, first 2 shown]
	ds_read_b64 v[152:153], v241 offset:43584
	ds_read_b64 v[156:157], v246 offset:43584
	v_mov_b32_e32 v160, 0
	v_dot4c_i32_i8_e32 v160, v166, v8
	v_dot4c_i32_i8_e32 v160, v167, v9
	v_mul_lo_u32 v154, v243, v220
	v_mul_lo_u32 v158, v161, v219
	v_dot4c_i32_i8_e32 v160, v164, v10
	v_mad_u64_u32 v[158:159], s[18:19], v155, v220, v[158:159]
	v_mad_u64_u32 v[154:155], s[18:19], v242, v219, v[154:155]
	v_dot4c_i32_i8_e32 v160, v165, v11
	v_cvt_f32_i32_e32 v159, v154
	s_waitcnt lgkmcnt(0)
	v_mov_b32_e32 v154, v156
	v_mov_b32_e32 v155, v152
	v_mul_lo_u32 v152, v240, v218
	v_mul_lo_u32 v156, v247, v217
	v_cvt_f32_i32_e32 v158, v158
	v_mad_u64_u32 v[160:161], s[18:19], v160, v218, v[156:157]
	v_mad_u64_u32 v[162:163], s[18:19], v239, v217, v[152:153]
	v_cvt_f32_i32_e32 v161, v162
	v_cvt_f32_i32_e32 v160, v160
	v_pk_fma_f32 v[158:159], v[154:155], v[158:159], 0 op_sel_hi:[1,1,0]
	v_mov_b32_e32 v152, v157
	v_pk_fma_f32 v[156:157], v[152:153], v[160:161], v[158:159]
	s_nop 0
	v_pk_fma_f32 v[66:67], v[96:97], v[156:157], v[66:67]
	v_mov_b32_e32 v156, 0
	v_dot4c_i32_i8_e32 v156, v138, v12
	v_dot4c_i32_i8_e32 v156, v139, v13
	;; [unrolled: 1-line block ×4, first 2 shown]
	v_mov_b32_e32 v133, 0
	v_dot4c_i32_i8_e32 v133, v126, v4
	v_dot4c_i32_i8_e32 v133, v127, v5
	;; [unrolled: 1-line block ×3, first 2 shown]
	v_mov_b32_e32 v120, 0
	v_dot4c_i32_i8_e32 v120, v114, v0
	v_mov_b32_e32 v132, 0
	v_dot4c_i32_i8_e32 v120, v115, v1
	v_dot4c_i32_i8_e32 v132, v150, v8
	v_dot4c_i32_i8_e32 v133, v121, v7
	v_dot4c_i32_i8_e32 v120, v108, v2
	v_dot4c_i32_i8_e32 v132, v151, v9
	v_dot4c_i32_i8_e32 v120, v109, v3
	v_mul_lo_u32 v108, v238, v224
	v_mul_lo_u32 v114, v133, v223
	v_dot4c_i32_i8_e32 v132, v144, v10
	v_mad_u64_u32 v[114:115], s[18:19], v120, v224, v[114:115]
	v_mad_u64_u32 v[108:109], s[18:19], v237, v223, v[108:109]
	v_dot4c_i32_i8_e32 v132, v145, v11
	v_cvt_f32_i32_e32 v109, v108
	v_cvt_f32_i32_e32 v108, v114
	v_mul_lo_u32 v114, v236, v222
	v_mul_lo_u32 v120, v156, v221
	v_mad_u64_u32 v[120:121], s[18:19], v132, v222, v[120:121]
	v_mad_u64_u32 v[114:115], s[18:19], v233, v221, v[114:115]
	v_cvt_f32_i32_e32 v115, v114
	v_cvt_f32_i32_e32 v114, v120
	v_pk_fma_f32 v[108:109], v[154:155], v[108:109], 0 op_sel_hi:[1,1,0]
	s_nop 0
	v_pk_fma_f32 v[108:109], v[152:153], v[114:115], v[108:109]
	s_nop 0
	v_pk_fma_f32 v[70:71], v[98:99], v[108:109], v[70:71]
	v_mov_b32_e32 v108, 0
	v_dot4c_i32_i8_e32 v108, v124, v4
	v_mov_b32_e32 v109, 0
	v_mov_b32_e32 v114, 0
	v_dot4c_i32_i8_e32 v108, v125, v5
	v_dot4c_i32_i8_e32 v109, v112, v0
	;; [unrolled: 1-line block ×3, first 2 shown]
	v_mov_b32_e32 v115, 0
	v_dot4c_i32_i8_e32 v108, v118, v6
	v_dot4c_i32_i8_e32 v109, v113, v1
	;; [unrolled: 1-line block ×9, first 2 shown]
	v_mul_lo_u32 v106, v235, v228
	v_mul_lo_u32 v108, v108, v227
	v_dot4c_i32_i8_e32 v114, v131, v15
	v_dot4c_i32_i8_e32 v115, v142, v10
	v_mad_u64_u32 v[108:109], s[18:19], v109, v228, v[108:109]
	v_mad_u64_u32 v[106:107], s[18:19], v234, v227, v[106:107]
	v_dot4c_i32_i8_e32 v115, v143, v11
	v_cvt_f32_i32_e32 v107, v106
	v_cvt_f32_i32_e32 v106, v108
	v_mul_lo_u32 v108, v171, v226
	v_mul_lo_u32 v112, v114, v225
	v_mad_u64_u32 v[112:113], s[18:19], v115, v226, v[112:113]
	v_mad_u64_u32 v[108:109], s[18:19], v170, v225, v[108:109]
	v_cvt_f32_i32_e32 v109, v108
	v_cvt_f32_i32_e32 v108, v112
	v_pk_fma_f32 v[106:107], v[154:155], v[106:107], 0 op_sel_hi:[1,1,0]
	s_nop 0
	v_pk_fma_f32 v[106:107], v[152:153], v[108:109], v[106:107]
	s_nop 0
	v_pk_fma_f32 v[76:77], v[100:101], v[106:107], v[76:77]
	v_mov_b32_e32 v106, 0
	v_dot4c_i32_i8_e32 v106, v134, v12
	v_mov_b32_e32 v12, 0
	v_dot4c_i32_i8_e32 v12, v146, v8
	;; [unrolled: 2-line block ×4, first 2 shown]
	v_dot4c_i32_i8_e32 v4, v110, v0
	v_dot4c_i32_i8_e32 v8, v116, v6
	;; [unrolled: 1-line block ×9, first 2 shown]
	v_mul_lo_u32 v0, v245, v232
	v_mul_lo_u32 v2, v8, v231
	v_dot4c_i32_i8_e32 v106, v129, v15
	v_dot4c_i32_i8_e32 v12, v140, v10
	v_mad_u64_u32 v[2:3], s[18:19], v4, v232, v[2:3]
	v_mad_u64_u32 v[0:1], s[18:19], v244, v231, v[0:1]
	v_dot4c_i32_i8_e32 v12, v141, v11
	v_cvt_f32_i32_e32 v1, v0
	v_cvt_f32_i32_e32 v0, v2
	v_mul_lo_u32 v2, v169, v230
	v_mul_lo_u32 v4, v106, v229
	v_mad_u64_u32 v[4:5], s[18:19], v12, v230, v[4:5]
	v_mad_u64_u32 v[2:3], s[18:19], v168, v229, v[2:3]
	v_cvt_f32_i32_e32 v3, v2
	v_cvt_f32_i32_e32 v2, v4
	v_pk_fma_f32 v[0:1], v[154:155], v[0:1], 0 op_sel_hi:[1,1,0]
	s_nop 0
	v_pk_fma_f32 v[0:1], v[152:153], v[2:3], v[0:1]
	s_nop 0
	v_pk_fma_f32 v[82:83], v[102:103], v[0:1], v[82:83]
	s_cbranch_scc1 .LBB155_8
; %bb.9:                                ;   in Loop: Header=BB155_5 Depth=1
	s_add_i32 s7, s7, 1
	s_cmp_eq_u32 s7, s4
	s_barrier
	s_cbranch_scc0 .LBB155_5
; %bb.10:
	v_cvt_pk_f16_f32 v21, v64, v65
	v_cvt_pk_f16_f32 v20, v84, v85
	;; [unrolled: 1-line block ×16, first 2 shown]
	v_mov_b32_e32 v5, v23
.LBB155_11:
	v_cmp_gt_u32_e32 vcc, s8, v25
	s_and_saveexec_b64 s[0:1], vcc
	s_cbranch_execz .LBB155_62
; %bb.12:
	v_add_u32_e32 v0, s6, v17
	v_mul_lo_u32 v17, v25, s10
	v_cmp_gt_u32_e32 vcc, s10, v0
	s_and_saveexec_b64 s[0:1], vcc
	s_cbranch_execz .LBB155_14
; %bb.13:
	v_add_u32_e32 v6, v0, v17
	v_mov_b32_e32 v7, 0
	s_waitcnt lgkmcnt(0)
	v_lshl_add_u64 v[6:7], v[6:7], 1, s[12:13]
	global_store_short_d16_hi v[6:7], v21, off
.LBB155_14:
	s_or_b64 exec, exec, s[0:1]
	v_add_u32_e32 v6, 32, v0
	v_cmp_gt_u32_e64 s[0:1], s10, v6
	s_and_saveexec_b64 s[2:3], s[0:1]
	s_cbranch_execz .LBB155_16
; %bb.15:
	v_add_u32_e32 v22, v6, v17
	v_mov_b32_e32 v23, 0
	s_waitcnt lgkmcnt(0)
	v_lshl_add_u64 v[22:23], v[22:23], 1, s[12:13]
	global_store_short_d16_hi v[22:23], v20, off
.LBB155_16:
	s_or_b64 exec, exec, s[2:3]
	v_add_u32_e32 v7, 64, v0
	v_cmp_gt_u32_e64 s[2:3], s10, v7
	s_and_saveexec_b64 s[4:5], s[2:3]
	;; [unrolled: 12-line block ×3, first 2 shown]
	s_cbranch_execz .LBB155_20
; %bb.19:
	v_add_u32_e32 v22, v8, v17
	v_mov_b32_e32 v23, 0
	s_waitcnt lgkmcnt(0)
	v_lshl_add_u64 v[22:23], v[22:23], 1, s[12:13]
	global_store_short_d16_hi v[22:23], v18, off
.LBB155_20:
	s_or_b64 exec, exec, s[6:7]
	v_add3_u32 v17, v5, s11, 8
	v_cmp_gt_u32_e64 s[6:7], s8, v17
	s_and_b64 exec, exec, s[6:7]
	s_cbranch_execz .LBB155_62
; %bb.21:
	v_mul_lo_u32 v17, v17, s10
	s_and_saveexec_b64 s[6:7], vcc
	s_cbranch_execnz .LBB155_63
; %bb.22:
	s_or_b64 exec, exec, s[6:7]
	s_and_saveexec_b64 s[6:7], s[0:1]
	s_cbranch_execnz .LBB155_64
.LBB155_23:
	s_or_b64 exec, exec, s[6:7]
	s_and_saveexec_b64 s[6:7], s[2:3]
	s_cbranch_execnz .LBB155_65
.LBB155_24:
	s_or_b64 exec, exec, s[6:7]
	s_and_saveexec_b64 s[6:7], s[4:5]
	s_cbranch_execz .LBB155_26
.LBB155_25:
	v_add_u32_e32 v20, v17, v8
	v_mov_b32_e32 v21, 0
	s_waitcnt lgkmcnt(0)
	v_lshl_add_u64 v[20:21], v[20:21], 1, s[12:13]
	global_store_short v[20:21], v18, off
.LBB155_26:
	s_or_b64 exec, exec, s[6:7]
	v_add3_u32 v17, v5, s11, 16
	v_cmp_gt_u32_e64 s[6:7], s8, v17
	s_and_b64 exec, exec, s[6:7]
	s_cbranch_execz .LBB155_62
; %bb.27:
	v_mul_lo_u32 v17, v17, s10
	s_and_saveexec_b64 s[6:7], vcc
	s_cbranch_execnz .LBB155_66
; %bb.28:
	s_or_b64 exec, exec, s[6:7]
	s_and_saveexec_b64 s[6:7], s[0:1]
	s_cbranch_execnz .LBB155_67
.LBB155_29:
	s_or_b64 exec, exec, s[6:7]
	s_and_saveexec_b64 s[6:7], s[2:3]
	s_cbranch_execnz .LBB155_68
.LBB155_30:
	s_or_b64 exec, exec, s[6:7]
	s_and_saveexec_b64 s[6:7], s[4:5]
	s_cbranch_execz .LBB155_32
.LBB155_31:
	v_add_u32_e32 v18, v17, v8
	v_mov_b32_e32 v19, 0
	s_waitcnt lgkmcnt(0)
	v_lshl_add_u64 v[18:19], v[18:19], 1, s[12:13]
	global_store_short_d16_hi v[18:19], v13, off
.LBB155_32:
	s_or_b64 exec, exec, s[6:7]
	v_add3_u32 v17, v5, s11, 24
	v_cmp_gt_u32_e64 s[6:7], s8, v17
	s_and_b64 exec, exec, s[6:7]
	s_cbranch_execz .LBB155_62
; %bb.33:
	v_mul_lo_u32 v17, v17, s10
	s_and_saveexec_b64 s[6:7], vcc
	s_cbranch_execnz .LBB155_69
; %bb.34:
	s_or_b64 exec, exec, s[6:7]
	s_and_saveexec_b64 s[6:7], s[0:1]
	s_cbranch_execnz .LBB155_70
.LBB155_35:
	s_or_b64 exec, exec, s[6:7]
	s_and_saveexec_b64 s[6:7], s[2:3]
	s_cbranch_execnz .LBB155_71
.LBB155_36:
	s_or_b64 exec, exec, s[6:7]
	s_and_saveexec_b64 s[6:7], s[4:5]
	s_cbranch_execz .LBB155_38
.LBB155_37:
	v_add_u32_e32 v14, v17, v8
	v_mov_b32_e32 v15, 0
	s_waitcnt lgkmcnt(0)
	v_lshl_add_u64 v[14:15], v[14:15], 1, s[12:13]
	global_store_short v[14:15], v13, off
.LBB155_38:
	s_or_b64 exec, exec, s[6:7]
	v_add3_u32 v13, v5, s11, 32
	v_cmp_gt_u32_e64 s[6:7], s8, v13
	s_and_b64 exec, exec, s[6:7]
	s_cbranch_execz .LBB155_62
; %bb.39:
	v_mul_lo_u32 v13, v13, s10
	s_and_saveexec_b64 s[6:7], vcc
	s_cbranch_execnz .LBB155_72
; %bb.40:
	s_or_b64 exec, exec, s[6:7]
	s_and_saveexec_b64 s[6:7], s[0:1]
	s_cbranch_execnz .LBB155_73
.LBB155_41:
	s_or_b64 exec, exec, s[6:7]
	s_and_saveexec_b64 s[6:7], s[2:3]
	s_cbranch_execnz .LBB155_74
.LBB155_42:
	s_or_b64 exec, exec, s[6:7]
	s_and_saveexec_b64 s[6:7], s[4:5]
	s_cbranch_execz .LBB155_44
.LBB155_43:
	v_add_u32_e32 v14, v13, v8
	v_mov_b32_e32 v15, 0
	s_waitcnt lgkmcnt(0)
	v_lshl_add_u64 v[14:15], v[14:15], 1, s[12:13]
	global_store_short_d16_hi v[14:15], v9, off
.LBB155_44:
	s_or_b64 exec, exec, s[6:7]
	v_add3_u32 v13, v5, s11, 40
	v_cmp_gt_u32_e64 s[6:7], s8, v13
	s_and_b64 exec, exec, s[6:7]
	s_cbranch_execz .LBB155_62
; %bb.45:
	v_mul_lo_u32 v13, v13, s10
	s_and_saveexec_b64 s[6:7], vcc
	s_cbranch_execnz .LBB155_75
; %bb.46:
	s_or_b64 exec, exec, s[6:7]
	s_and_saveexec_b64 s[6:7], s[0:1]
	s_cbranch_execnz .LBB155_76
.LBB155_47:
	s_or_b64 exec, exec, s[6:7]
	s_and_saveexec_b64 s[6:7], s[2:3]
	s_cbranch_execnz .LBB155_77
.LBB155_48:
	s_or_b64 exec, exec, s[6:7]
	s_and_saveexec_b64 s[6:7], s[4:5]
	s_cbranch_execz .LBB155_50
.LBB155_49:
	v_add_u32_e32 v10, v13, v8
	v_mov_b32_e32 v11, 0
	s_waitcnt lgkmcnt(0)
	v_lshl_add_u64 v[10:11], v[10:11], 1, s[12:13]
	global_store_short v[10:11], v9, off
.LBB155_50:
	s_or_b64 exec, exec, s[6:7]
	v_add3_u32 v9, v5, s11, 48
	v_cmp_gt_u32_e64 s[6:7], s8, v9
	s_and_b64 exec, exec, s[6:7]
	s_cbranch_execz .LBB155_62
; %bb.51:
	v_mul_lo_u32 v9, v9, s10
	s_and_saveexec_b64 s[6:7], vcc
	s_cbranch_execnz .LBB155_78
; %bb.52:
	s_or_b64 exec, exec, s[6:7]
	s_and_saveexec_b64 s[6:7], s[0:1]
	s_cbranch_execnz .LBB155_79
.LBB155_53:
	s_or_b64 exec, exec, s[6:7]
	s_and_saveexec_b64 s[6:7], s[2:3]
	s_cbranch_execnz .LBB155_80
.LBB155_54:
	s_or_b64 exec, exec, s[6:7]
	s_and_saveexec_b64 s[6:7], s[4:5]
	s_cbranch_execz .LBB155_56
.LBB155_55:
	v_add_u32_e32 v10, v9, v8
	v_mov_b32_e32 v11, 0
	s_waitcnt lgkmcnt(0)
	v_lshl_add_u64 v[10:11], v[10:11], 1, s[12:13]
	global_store_short_d16_hi v[10:11], v1, off
.LBB155_56:
	s_or_b64 exec, exec, s[6:7]
	v_add3_u32 v5, v5, s11, 56
	v_cmp_gt_u32_e64 s[6:7], s8, v5
	s_and_b64 exec, exec, s[6:7]
	s_cbranch_execz .LBB155_62
; %bb.57:
	v_mul_lo_u32 v5, v5, s10
	s_and_saveexec_b64 s[6:7], vcc
	s_cbranch_execnz .LBB155_81
; %bb.58:
	s_or_b64 exec, exec, s[6:7]
	s_and_saveexec_b64 s[6:7], s[0:1]
	s_cbranch_execnz .LBB155_82
.LBB155_59:
	s_or_b64 exec, exec, s[6:7]
	s_and_saveexec_b64 s[0:1], s[2:3]
	s_cbranch_execnz .LBB155_83
.LBB155_60:
	s_or_b64 exec, exec, s[0:1]
	s_and_b64 exec, exec, s[4:5]
	s_cbranch_execz .LBB155_62
.LBB155_61:
	v_add_u32_e32 v2, v5, v8
	v_mov_b32_e32 v3, 0
	s_waitcnt lgkmcnt(0)
	v_lshl_add_u64 v[2:3], v[2:3], 1, s[12:13]
	global_store_short v[2:3], v1, off
.LBB155_62:
	s_endpgm
.LBB155_63:
	v_add_u32_e32 v22, v17, v0
	v_mov_b32_e32 v23, 0
	s_waitcnt lgkmcnt(0)
	v_lshl_add_u64 v[22:23], v[22:23], 1, s[12:13]
	global_store_short v[22:23], v21, off
	s_or_b64 exec, exec, s[6:7]
	s_and_saveexec_b64 s[6:7], s[0:1]
	s_cbranch_execz .LBB155_23
.LBB155_64:
	v_add_u32_e32 v22, v17, v6
	v_mov_b32_e32 v23, 0
	s_waitcnt lgkmcnt(0)
	v_lshl_add_u64 v[22:23], v[22:23], 1, s[12:13]
	global_store_short v[22:23], v20, off
	s_or_b64 exec, exec, s[6:7]
	s_and_saveexec_b64 s[6:7], s[2:3]
	s_cbranch_execz .LBB155_24
.LBB155_65:
	v_add_u32_e32 v20, v17, v7
	v_mov_b32_e32 v21, 0
	s_waitcnt lgkmcnt(0)
	v_lshl_add_u64 v[20:21], v[20:21], 1, s[12:13]
	global_store_short v[20:21], v19, off
	s_or_b64 exec, exec, s[6:7]
	s_and_saveexec_b64 s[6:7], s[4:5]
	s_cbranch_execnz .LBB155_25
	s_branch .LBB155_26
.LBB155_66:
	v_add_u32_e32 v18, v17, v0
	v_mov_b32_e32 v19, 0
	s_waitcnt lgkmcnt(0)
	v_lshl_add_u64 v[18:19], v[18:19], 1, s[12:13]
	global_store_short_d16_hi v[18:19], v16, off
	s_or_b64 exec, exec, s[6:7]
	s_and_saveexec_b64 s[6:7], s[0:1]
	s_cbranch_execz .LBB155_29
.LBB155_67:
	v_add_u32_e32 v18, v17, v6
	v_mov_b32_e32 v19, 0
	s_waitcnt lgkmcnt(0)
	v_lshl_add_u64 v[18:19], v[18:19], 1, s[12:13]
	global_store_short_d16_hi v[18:19], v15, off
	s_or_b64 exec, exec, s[6:7]
	s_and_saveexec_b64 s[6:7], s[2:3]
	s_cbranch_execz .LBB155_30
.LBB155_68:
	v_add_u32_e32 v18, v17, v7
	v_mov_b32_e32 v19, 0
	s_waitcnt lgkmcnt(0)
	v_lshl_add_u64 v[18:19], v[18:19], 1, s[12:13]
	global_store_short_d16_hi v[18:19], v14, off
	s_or_b64 exec, exec, s[6:7]
	s_and_saveexec_b64 s[6:7], s[4:5]
	s_cbranch_execnz .LBB155_31
	s_branch .LBB155_32
.LBB155_69:
	v_add_u32_e32 v18, v17, v0
	v_mov_b32_e32 v19, 0
	s_waitcnt lgkmcnt(0)
	v_lshl_add_u64 v[18:19], v[18:19], 1, s[12:13]
	global_store_short v[18:19], v16, off
	s_or_b64 exec, exec, s[6:7]
	s_and_saveexec_b64 s[6:7], s[0:1]
	s_cbranch_execz .LBB155_35
.LBB155_70:
	v_add_u32_e32 v18, v17, v6
	v_mov_b32_e32 v19, 0
	s_waitcnt lgkmcnt(0)
	v_lshl_add_u64 v[18:19], v[18:19], 1, s[12:13]
	global_store_short v[18:19], v15, off
	s_or_b64 exec, exec, s[6:7]
	s_and_saveexec_b64 s[6:7], s[2:3]
	s_cbranch_execz .LBB155_36
.LBB155_71:
	v_add_u32_e32 v18, v17, v7
	v_mov_b32_e32 v19, 0
	s_waitcnt lgkmcnt(0)
	v_lshl_add_u64 v[18:19], v[18:19], 1, s[12:13]
	global_store_short v[18:19], v14, off
	s_or_b64 exec, exec, s[6:7]
	s_and_saveexec_b64 s[6:7], s[4:5]
	s_cbranch_execnz .LBB155_37
	s_branch .LBB155_38
.LBB155_72:
	v_add_u32_e32 v14, v13, v0
	v_mov_b32_e32 v15, 0
	s_waitcnt lgkmcnt(0)
	v_lshl_add_u64 v[14:15], v[14:15], 1, s[12:13]
	global_store_short_d16_hi v[14:15], v12, off
	s_or_b64 exec, exec, s[6:7]
	s_and_saveexec_b64 s[6:7], s[0:1]
	s_cbranch_execz .LBB155_41
.LBB155_73:
	v_add_u32_e32 v14, v13, v6
	v_mov_b32_e32 v15, 0
	s_waitcnt lgkmcnt(0)
	v_lshl_add_u64 v[14:15], v[14:15], 1, s[12:13]
	global_store_short_d16_hi v[14:15], v11, off
	s_or_b64 exec, exec, s[6:7]
	s_and_saveexec_b64 s[6:7], s[2:3]
	s_cbranch_execz .LBB155_42
.LBB155_74:
	v_add_u32_e32 v14, v13, v7
	v_mov_b32_e32 v15, 0
	s_waitcnt lgkmcnt(0)
	v_lshl_add_u64 v[14:15], v[14:15], 1, s[12:13]
	global_store_short_d16_hi v[14:15], v10, off
	s_or_b64 exec, exec, s[6:7]
	s_and_saveexec_b64 s[6:7], s[4:5]
	s_cbranch_execnz .LBB155_43
	s_branch .LBB155_44
.LBB155_75:
	v_add_u32_e32 v14, v13, v0
	v_mov_b32_e32 v15, 0
	s_waitcnt lgkmcnt(0)
	v_lshl_add_u64 v[14:15], v[14:15], 1, s[12:13]
	global_store_short v[14:15], v12, off
	s_or_b64 exec, exec, s[6:7]
	s_and_saveexec_b64 s[6:7], s[0:1]
	s_cbranch_execz .LBB155_47
.LBB155_76:
	v_add_u32_e32 v14, v13, v6
	v_mov_b32_e32 v15, 0
	s_waitcnt lgkmcnt(0)
	v_lshl_add_u64 v[14:15], v[14:15], 1, s[12:13]
	global_store_short v[14:15], v11, off
	s_or_b64 exec, exec, s[6:7]
	s_and_saveexec_b64 s[6:7], s[2:3]
	s_cbranch_execz .LBB155_48
.LBB155_77:
	v_add_u32_e32 v14, v13, v7
	v_mov_b32_e32 v15, 0
	s_waitcnt lgkmcnt(0)
	v_lshl_add_u64 v[14:15], v[14:15], 1, s[12:13]
	global_store_short v[14:15], v10, off
	s_or_b64 exec, exec, s[6:7]
	s_and_saveexec_b64 s[6:7], s[4:5]
	s_cbranch_execnz .LBB155_49
	s_branch .LBB155_50
.LBB155_78:
	v_add_u32_e32 v10, v9, v0
	v_mov_b32_e32 v11, 0
	s_waitcnt lgkmcnt(0)
	v_lshl_add_u64 v[10:11], v[10:11], 1, s[12:13]
	global_store_short_d16_hi v[10:11], v4, off
	s_or_b64 exec, exec, s[6:7]
	s_and_saveexec_b64 s[6:7], s[0:1]
	s_cbranch_execz .LBB155_53
.LBB155_79:
	v_add_u32_e32 v10, v9, v6
	v_mov_b32_e32 v11, 0
	s_waitcnt lgkmcnt(0)
	v_lshl_add_u64 v[10:11], v[10:11], 1, s[12:13]
	global_store_short_d16_hi v[10:11], v3, off
	s_or_b64 exec, exec, s[6:7]
	s_and_saveexec_b64 s[6:7], s[2:3]
	s_cbranch_execz .LBB155_54
.LBB155_80:
	v_add_u32_e32 v10, v9, v7
	v_mov_b32_e32 v11, 0
	s_waitcnt lgkmcnt(0)
	v_lshl_add_u64 v[10:11], v[10:11], 1, s[12:13]
	global_store_short_d16_hi v[10:11], v2, off
	s_or_b64 exec, exec, s[6:7]
	s_and_saveexec_b64 s[6:7], s[4:5]
	s_cbranch_execnz .LBB155_55
	s_branch .LBB155_56
.LBB155_81:
	v_add_u32_e32 v10, v5, v0
	v_mov_b32_e32 v11, 0
	s_waitcnt lgkmcnt(0)
	v_lshl_add_u64 v[10:11], v[10:11], 1, s[12:13]
	global_store_short v[10:11], v4, off
	s_or_b64 exec, exec, s[6:7]
	s_and_saveexec_b64 s[6:7], s[0:1]
	s_cbranch_execz .LBB155_59
.LBB155_82:
	v_add_u32_e32 v10, v5, v6
	v_mov_b32_e32 v11, 0
	s_waitcnt lgkmcnt(0)
	v_lshl_add_u64 v[10:11], v[10:11], 1, s[12:13]
	global_store_short v[10:11], v3, off
	s_or_b64 exec, exec, s[6:7]
	s_and_saveexec_b64 s[0:1], s[2:3]
	s_cbranch_execz .LBB155_60
.LBB155_83:
	v_add_u32_e32 v6, v5, v7
	v_mov_b32_e32 v7, 0
	s_waitcnt lgkmcnt(0)
	v_lshl_add_u64 v[6:7], v[6:7], 1, s[12:13]
	global_store_short v[6:7], v2, off
	s_or_b64 exec, exec, s[0:1]
	s_and_b64 exec, exec, s[4:5]
	s_cbranch_execnz .LBB155_61
	s_branch .LBB155_62
	.section	.rodata,"a",@progbits
	.p2align	6, 0x0
	.amdhsa_kernel _ZL12mul_mat_q6_KIN3c104HalfELb0EEvPKvS3_PT_iiiii
		.amdhsa_group_segment_fixed_size 45136
		.amdhsa_private_segment_fixed_size 0
		.amdhsa_kernarg_size 44
		.amdhsa_user_sgpr_count 2
		.amdhsa_user_sgpr_dispatch_ptr 0
		.amdhsa_user_sgpr_queue_ptr 0
		.amdhsa_user_sgpr_kernarg_segment_ptr 1
		.amdhsa_user_sgpr_dispatch_id 0
		.amdhsa_user_sgpr_kernarg_preload_length 0
		.amdhsa_user_sgpr_kernarg_preload_offset 0
		.amdhsa_user_sgpr_private_segment_size 0
		.amdhsa_uses_dynamic_stack 0
		.amdhsa_enable_private_segment 0
		.amdhsa_system_sgpr_workgroup_id_x 1
		.amdhsa_system_sgpr_workgroup_id_y 1
		.amdhsa_system_sgpr_workgroup_id_z 0
		.amdhsa_system_sgpr_workgroup_info 0
		.amdhsa_system_vgpr_workitem_id 1
		.amdhsa_next_free_vgpr 254
		.amdhsa_next_free_sgpr 96
		.amdhsa_accum_offset 256
		.amdhsa_reserve_vcc 1
		.amdhsa_float_round_mode_32 0
		.amdhsa_float_round_mode_16_64 0
		.amdhsa_float_denorm_mode_32 3
		.amdhsa_float_denorm_mode_16_64 3
		.amdhsa_dx10_clamp 1
		.amdhsa_ieee_mode 1
		.amdhsa_fp16_overflow 0
		.amdhsa_tg_split 0
		.amdhsa_exception_fp_ieee_invalid_op 0
		.amdhsa_exception_fp_denorm_src 0
		.amdhsa_exception_fp_ieee_div_zero 0
		.amdhsa_exception_fp_ieee_overflow 0
		.amdhsa_exception_fp_ieee_underflow 0
		.amdhsa_exception_fp_ieee_inexact 0
		.amdhsa_exception_int_div_zero 0
	.end_amdhsa_kernel
	.section	.text._ZL12mul_mat_q6_KIN3c104HalfELb0EEvPKvS3_PT_iiiii,"axG",@progbits,_ZL12mul_mat_q6_KIN3c104HalfELb0EEvPKvS3_PT_iiiii,comdat
.Lfunc_end155:
	.size	_ZL12mul_mat_q6_KIN3c104HalfELb0EEvPKvS3_PT_iiiii, .Lfunc_end155-_ZL12mul_mat_q6_KIN3c104HalfELb0EEvPKvS3_PT_iiiii
                                        ; -- End function
	.set _ZL12mul_mat_q6_KIN3c104HalfELb0EEvPKvS3_PT_iiiii.num_vgpr, 254
	.set _ZL12mul_mat_q6_KIN3c104HalfELb0EEvPKvS3_PT_iiiii.num_agpr, 0
	.set _ZL12mul_mat_q6_KIN3c104HalfELb0EEvPKvS3_PT_iiiii.numbered_sgpr, 22
	.set _ZL12mul_mat_q6_KIN3c104HalfELb0EEvPKvS3_PT_iiiii.num_named_barrier, 0
	.set _ZL12mul_mat_q6_KIN3c104HalfELb0EEvPKvS3_PT_iiiii.private_seg_size, 0
	.set _ZL12mul_mat_q6_KIN3c104HalfELb0EEvPKvS3_PT_iiiii.uses_vcc, 1
	.set _ZL12mul_mat_q6_KIN3c104HalfELb0EEvPKvS3_PT_iiiii.uses_flat_scratch, 0
	.set _ZL12mul_mat_q6_KIN3c104HalfELb0EEvPKvS3_PT_iiiii.has_dyn_sized_stack, 0
	.set _ZL12mul_mat_q6_KIN3c104HalfELb0EEvPKvS3_PT_iiiii.has_recursion, 0
	.set _ZL12mul_mat_q6_KIN3c104HalfELb0EEvPKvS3_PT_iiiii.has_indirect_call, 0
	.section	.AMDGPU.csdata,"",@progbits
; Kernel info:
; codeLenInByte = 18828
; TotalNumSgprs: 28
; NumVgprs: 254
; NumAgprs: 0
; TotalNumVgprs: 254
; ScratchSize: 0
; MemoryBound: 0
; FloatMode: 240
; IeeeMode: 1
; LDSByteSize: 45136 bytes/workgroup (compile time only)
; SGPRBlocks: 12
; VGPRBlocks: 31
; NumSGPRsForWavesPerEU: 102
; NumVGPRsForWavesPerEU: 254
; AccumOffset: 256
; Occupancy: 2
; WaveLimiterHint : 0
; COMPUTE_PGM_RSRC2:SCRATCH_EN: 0
; COMPUTE_PGM_RSRC2:USER_SGPR: 2
; COMPUTE_PGM_RSRC2:TRAP_HANDLER: 0
; COMPUTE_PGM_RSRC2:TGID_X_EN: 1
; COMPUTE_PGM_RSRC2:TGID_Y_EN: 1
; COMPUTE_PGM_RSRC2:TGID_Z_EN: 0
; COMPUTE_PGM_RSRC2:TIDIG_COMP_CNT: 1
; COMPUTE_PGM_RSRC3_GFX90A:ACCUM_OFFSET: 63
; COMPUTE_PGM_RSRC3_GFX90A:TG_SPLIT: 0
	.section	.text._ZL12mul_mat_q6_KIN3c104HalfELb1EEvPKvS3_PT_iiiii,"axG",@progbits,_ZL12mul_mat_q6_KIN3c104HalfELb1EEvPKvS3_PT_iiiii,comdat
	.globl	_ZL12mul_mat_q6_KIN3c104HalfELb1EEvPKvS3_PT_iiiii ; -- Begin function _ZL12mul_mat_q6_KIN3c104HalfELb1EEvPKvS3_PT_iiiii
	.p2align	8
	.type	_ZL12mul_mat_q6_KIN3c104HalfELb1EEvPKvS3_PT_iiiii,@function
_ZL12mul_mat_q6_KIN3c104HalfELb1EEvPKvS3_PT_iiiii: ; @_ZL12mul_mat_q6_KIN3c104HalfELb1EEvPKvS3_PT_iiiii
; %bb.0:
	s_load_dwordx4 s[8:11], s[0:1], 0x18
	s_load_dword s14, s[0:1], 0x28
	s_lshl_b32 s15, s3, 6
	v_bfe_u32 v24, v0, 10, 10
	s_waitcnt lgkmcnt(0)
	s_cmpk_gt_i32 s8, 0xff
	s_cbranch_scc1 .LBB156_2
; %bb.1:
	v_bfe_u32 v5, v0, 10, 10
	v_and_b32_e32 v6, 0x3ff, v0
	v_add_u32_e32 v7, s15, v5
	s_mov_b64 s[4:5], 0
	s_branch .LBB156_3
.LBB156_2:
	s_mov_b64 s[4:5], -1
                                        ; implicit-def: $vgpr5
                                        ; implicit-def: $vgpr6
                                        ; implicit-def: $vgpr7
.LBB156_3:
	s_load_dwordx2 s[12:13], s[0:1], 0x10
	s_lshl_b32 s6, s2, 7
	s_mov_b32 s7, 0
	v_mov_b32_e32 v1, 0
	s_andn2_b64 vcc, exec, s[4:5]
	v_mov_b32_e32 v9, 0
	v_mov_b32_e32 v13, 0
	;; [unrolled: 1-line block ×15, first 2 shown]
	s_cbranch_vccnz .LBB156_11
; %bb.4:
	s_ashr_i32 s4, s8, 31
	s_load_dwordx4 s[0:3], s[0:1], 0x0
	s_lshr_b32 s4, s4, 24
	s_add_i32 s4, s8, s4
	s_ashr_i32 s5, s11, 31
	s_ashr_i32 s4, s4, 8
	s_lshr_b32 s5, s5, 27
	s_add_i32 s5, s11, s5
	s_mul_i32 s8, s4, s6
	v_lshrrev_b32_e32 v3, 1, v0
	v_and_b32_e32 v4, 7, v0
	s_ashr_i32 s16, s5, 5
	s_mul_hi_i32 s11, s8, 0xd2
	s_mulk_i32 s8, 0xd2
	v_and_b32_e32 v1, 31, v0
	v_and_or_b32 v3, v3, 8, v4
	s_waitcnt lgkmcnt(0)
	s_add_u32 s8, s0, s8
	v_lshlrev_b32_e32 v20, 2, v3
	v_add_u16_e32 v3, -16, v1
	v_cmp_gt_u32_e32 vcc, 16, v1
	s_addc_u32 s11, s1, s11
	s_not_b32 s0, s6
	v_lshlrev_b32_e32 v2, 1, v1
	v_lshlrev_b32_e32 v18, 2, v1
	v_cndmask_b32_e32 v1, v3, v1, vcc
	s_add_i32 s9, s9, s0
	v_cmp_lt_u16_e64 s[0:1], 7, v1
	v_add_u32_e32 v1, 0xe0, v2
	v_cndmask_b32_e32 v1, v1, v2, vcc
	v_and_b32_e32 v1, 0xfe, v1
	v_sub_u32_e32 v1, v2, v1
	v_and_b32_e32 v2, 15, v0
	v_min_i32_e32 v3, s9, v24
	v_cndmask_b32_e64 v27, 0, 2, s[0:1]
	v_mul_lo_u32 v4, v3, s4
	v_add_lshl_u32 v2, v1, v2, 2
	s_movk_i32 s0, 0x104
	scratch_store_dwordx2 off, v[4:5], off  ; 8-byte Folded Spill
	v_mad_u64_u32 v[4:5], s[18:19], v3, s0, v[2:3]
	v_add_u32_e32 v3, 8, v24
	v_min_i32_e32 v1, s9, v3
	v_add_u32_e32 v8, 16, v24
	v_mul_lo_u32 v26, v1, s4
	v_mad_u64_u32 v[28:29], s[18:19], v1, s0, v[2:3]
	v_min_i32_e32 v1, s9, v8
	v_add_u32_e32 v9, 24, v24
	v_mul_lo_u32 v30, v1, s4
	v_mad_u64_u32 v[32:33], s[18:19], v1, s0, v[2:3]
	;; [unrolled: 4-line block ×6, first 2 shown]
	v_min_i32_e32 v1, s9, v13
	v_mul_lo_u32 v50, v1, s4
	v_mad_u64_u32 v[52:53], s[18:19], v1, s0, v[2:3]
	v_add_u32_e32 v1, 64, v24
	v_min_i32_e32 v1, s9, v1
	v_mul_lo_u32 v54, v1, s4
	v_mad_u64_u32 v[56:57], s[18:19], v1, s0, v[2:3]
	v_add_u32_e32 v1, 0x48, v24
	;; [unrolled: 4-line block ×8, first 2 shown]
	v_and_b32_e32 v17, 0x3ff, v0
	v_min_i32_e32 v1, s9, v1
	v_lshlrev_b32_e32 v29, 5, v24
	v_mul_lo_u32 v82, v1, s4
	v_mad_u64_u32 v[84:85], s[18:19], v1, s0, v[2:3]
	v_add_u32_e32 v1, v29, v17
	v_and_b32_e32 v1, 0x7f, v1
	v_min_i32_e32 v1, s9, v1
	v_ashrrev_i32_e32 v2, 31, v1
	v_lshrrev_b32_e32 v2, 27, v2
	v_add_u32_e32 v2, v1, v2
	v_ashrrev_i32_e32 v2, 5, v2
	v_mul_lo_u32 v86, v1, s4
	v_lshlrev_b32_e32 v2, 2, v2
	v_lshlrev_b32_e32 v1, 2, v1
	s_mov_b32 s1, 0xae40
	v_add3_u32 v31, v2, v1, s1
	v_bfe_u32 v1, v0, 2, 8
	v_lshl_add_u32 v1, v24, 3, v1
	scratch_store_dwordx2 off, v[4:5], off offset:8 ; 8-byte Folded Spill
	v_and_b32_e32 v4, 0x7f, v1
	v_min_i32_e32 v4, s9, v4
	v_ashrrev_i32_e32 v5, 31, v4
	v_lshrrev_b32_e32 v5, 29, v5
	v_mul_lo_u32 v90, v4, s4
	v_add_u32_e32 v5, v4, v5
	v_lshlrev_b32_e32 v15, 4, v4
	v_mov_b32_e32 v4, 0x7f
	v_and_b32_e32 v2, 3, v0
	v_ashrrev_i32_e32 v5, 3, v5
	v_bitop3_b32 v4, v1, 64, v4 bitop3:0x6c
	v_lshlrev_b32_e32 v88, 2, v2
	v_lshlrev_b32_e32 v5, 2, v5
	s_mov_b32 s17, 0xa200
	v_min_i32_e32 v4, s9, v4
	v_add3_u32 v14, v5, v88, s17
	v_ashrrev_i32_e32 v5, 31, v4
	v_lshrrev_b32_e32 v5, 29, v5
	v_add_u32_e32 v5, v4, v5
	v_and_b32_e32 v1, 63, v1
	v_ashrrev_i32_e32 v5, 3, v5
	s_add_i32 s9, s10, -1
	v_or_b32_e32 v35, s15, v1
	v_lshlrev_b32_e32 v5, 2, v5
	v_add_u32_e32 v25, s15, v24
	v_min_i32_e32 v35, s9, v35
	v_lshl_or_b32 v1, v1, 4, v88
	v_bfe_u32 v16, v0, 5, 5
	v_mul_lo_u32 v92, v4, s4
	v_add3_u32 v22, v5, v88, s17
	v_lshlrev_b32_e32 v23, 4, v4
	v_cvt_f64_i32_e32 v[4:5], s9
	v_mad_u64_u32 v[94:95], s[18:19], v35, s16, v[2:3]
	v_add_u32_e32 v35, 0xaa40, v1
	v_bfe_u32 v37, v0, 3, 7
	v_cvt_f64_u32_e32 v[0:1], v25
	v_min_f64 v[0:1], v[0:1], v[4:5]
	v_cvt_i32_f64_e32 v0, v[0:1]
	v_mul_lo_u32 v39, s16, v0
	v_add_u32_e32 v0, 8, v25
	v_cvt_f64_u32_e32 v[0:1], v0
	v_min_f64 v[0:1], v[0:1], v[4:5]
	v_cvt_i32_f64_e32 v0, v[0:1]
	v_mul_lo_u32 v41, s16, v0
	v_add_u32_e32 v0, 16, v25
	;; [unrolled: 5-line block ×7, first 2 shown]
	v_cvt_f64_u32_e32 v[0:1], v0
	v_min_f64 v[0:1], v[0:1], v[4:5]
	v_lshlrev_b32_e32 v33, 2, v17
	v_cvt_i32_f64_e32 v0, v[0:1]
	v_lshlrev_b32_e32 v1, 2, v16
	v_add3_u32 v55, v1, v33, s1
	v_add_u32_e32 v1, 32, v17
	v_lshrrev_b32_e32 v57, 3, v1
	v_lshlrev_b32_e32 v4, 2, v1
	v_and_b32_e32 v1, 60, v57
	v_add3_u32 v59, v33, v1, s1
	v_add_u32_e32 v1, 64, v17
	v_lshrrev_b32_e32 v61, 3, v1
	v_lshlrev_b32_e32 v5, 2, v1
	v_and_b32_e32 v1, 60, v61
	v_add3_u32 v63, v33, v1, s1
	v_add_u32_e32 v1, 0x60, v17
	v_lshrrev_b32_e32 v65, 3, v1
	v_lshlrev_b32_e32 v107, 2, v1
	v_and_b32_e32 v1, 60, v65
	v_add3_u32 v67, v33, v1, s1
	v_mov_b32_e32 v1, 0x2080
	v_mov_b32_e32 v19, 0
	v_mad_u32_u24 v85, v17, s0, v1
	v_mov_b32_e32 v1, 0x4100
	v_and_b32_e32 v6, 28, v33
	v_mov_b32_e32 v7, v19
	v_or_b32_e32 v100, 0x8200, v18
	v_lshlrev_b32_e32 v2, 7, v24
	v_lshlrev_b32_e32 v101, 7, v3
	;; [unrolled: 1-line block ×7, first 2 shown]
	v_mul_lo_u32 v53, s16, v0
	v_lshlrev_b32_e32 v0, 7, v13
	v_mad_u32_u24 v87, v17, s0, v1
	v_mov_b32_e32 v1, 0x6180
	v_mov_b32_e32 v98, v19
	;; [unrolled: 1-line block ×3, first 2 shown]
	s_movk_i32 s5, 0xd2
	v_mov_b32_e32 v21, v19
	v_mov_b32_e32 v89, v19
	v_lshlrev_b32_e32 v69, 5, v3
	v_lshlrev_b32_e32 v71, 5, v8
	;; [unrolled: 1-line block ×7, first 2 shown]
	v_mul_u32_u24_e32 v83, 0x104, v17
	v_mad_u32_u24 v91, v17, s0, v1
	v_lshl_add_u64 v[96:97], s[2:3], 0, v[6:7]
	s_mov_b32 s9, 0x30303030
	s_movk_i32 s16, 0xe000
	s_movk_i32 s17, 0x3f00
	v_add_u32_e32 v93, v14, v15
	v_add_u32_e32 v95, v22, v23
	;; [unrolled: 1-line block ×10, first 2 shown]
	v_lshlrev_b32_e32 v214, 2, v4
	v_lshlrev_b32_e32 v215, 2, v5
	;; [unrolled: 1-line block ×3, first 2 shown]
	v_mov_b64_e32 v[106:107], v[98:99]
	v_mov_b64_e32 v[102:103], v[98:99]
	;; [unrolled: 1-line block ×15, first 2 shown]
	scratch_store_dword off, v24, off offset:20 ; 4-byte Folded Spill
	scratch_store_dword off, v25, off offset:24 ; 4-byte Folded Spill
	;; [unrolled: 1-line block ×3, first 2 shown]
.LBB156_5:                              ; =>This Loop Header: Depth=1
                                        ;     Child Loop BB156_6 Depth 2
                                        ;     Child Loop BB156_8 Depth 2
	scratch_load_dwordx2 v[4:5], off, off   ; 8-byte Folded Reload
	s_mul_i32 s0, s7, 0xd2
	s_mul_hi_u32 s1, s7, 0xd2
	s_add_u32 s0, s8, s0
	s_addc_u32 s1, s11, s1
	v_mov_b64_e32 v[0:1], s[0:1]
	v_mad_u64_u32 v[2:3], s[0:1], v16, s5, v[0:1]
	v_mad_i64_i32 v[8:9], s[0:1], v26, s5, v[2:3]
	v_lshl_add_u64 v[10:11], v[8:9], 0, v[18:19]
	s_lshl_b32 s18, s7, 3
	v_add_u32_e32 v222, s18, v94
	s_mov_b32 s20, 0
	s_waitcnt vmcnt(0)
	v_mad_i64_i32 v[4:5], s[0:1], v4, s5, v[2:3]
	v_lshl_add_u64 v[6:7], v[4:5], 0, v[18:19]
	v_lshl_add_u64 v[4:5], v[4:5], 0, v[20:21]
	global_load_dword v12, v[6:7], off
	global_load_dword v13, v[4:5], off offset:128
	s_nop 0
	global_load_dword v10, v[10:11], off
	v_mad_i64_i32 v[6:7], s[0:1], v30, s5, v[2:3]
	v_lshl_add_u64 v[4:5], v[8:9], 0, v[20:21]
	v_lshl_add_u64 v[8:9], v[6:7], 0, v[18:19]
	global_load_dword v11, v[4:5], off offset:128
	s_nop 0
	global_load_dword v8, v[8:9], off
	v_lshl_add_u64 v[4:5], v[6:7], 0, v[20:21]
	global_load_dword v9, v[4:5], off offset:128
	v_mad_i64_i32 v[4:5], s[0:1], v34, s5, v[2:3]
	v_lshl_add_u64 v[6:7], v[4:5], 0, v[18:19]
	v_lshl_add_u64 v[4:5], v[4:5], 0, v[20:21]
	global_load_dword v14, v[6:7], off
	global_load_dword v15, v[4:5], off offset:128
	s_waitcnt vmcnt(7)
	v_lshrrev_b32_e32 v5, 4, v12
	s_waitcnt vmcnt(6)
	v_ashrrev_i32_e32 v6, v27, v13
	v_and_b32_e32 v4, 0xf0f0f0f, v12
	s_waitcnt vmcnt(5)
	v_and_b32_e32 v7, 0xf0f0f0f, v10
	v_lshrrev_b32_e32 v10, 4, v10
	v_and_b32_e32 v5, 0xf0f0f0f, v5
	s_waitcnt vmcnt(4)
	v_ashrrev_i32_e32 v11, v27, v11
	v_lshlrev_b32_e32 v13, 4, v6
	v_and_b32_e32 v10, 0xf0f0f0f, v10
	v_lshlrev_b32_e32 v22, 4, v11
	v_and_or_b32 v4, v13, s9, v4
	v_and_or_b32 v5, v6, s9, v5
	;; [unrolled: 1-line block ×4, first 2 shown]
	v_lshrrev_b32_e32 v10, 16, v4
	v_lshlrev_b16_e32 v11, 8, v4
	v_lshrrev_b32_e32 v13, 16, v5
	v_lshlrev_b16_e32 v22, 8, v5
	v_add_u16_e32 v11, 0xe000, v11
	v_lshlrev_b16_e32 v133, 8, v10
	v_add_u16_e32 v22, 0xe000, v22
	v_lshlrev_b16_e32 v134, 8, v13
	v_lshrrev_b16_e32 v11, 8, v11
	v_add_u16_e32 v133, 0xe000, v133
	v_lshrrev_b16_e32 v22, 8, v22
	v_add_u16_e32 v134, 0xe000, v134
	v_bitop3_b16 v4, v4, v11, s17 bitop3:0xec
	v_lshrrev_b16_e32 v11, 8, v133
	v_bitop3_b16 v5, v5, v22, s17 bitop3:0xec
	v_lshrrev_b16_e32 v22, 8, v134
	v_bitop3_b16 v10, v10, v11, s17 bitop3:0xec
	v_bitop3_b16 v11, v13, v22, s17 bitop3:0xec
	v_add_u16_e32 v4, 0xe000, v4
	v_add_u16_e32 v5, 0xe000, v5
	v_add_u16_sdwa v10, v10, s16 dst_sel:WORD_1 dst_unused:UNUSED_PAD src0_sel:DWORD src1_sel:DWORD
	v_add_u16_sdwa v11, v11, s16 dst_sel:WORD_1 dst_unused:UNUSED_PAD src0_sel:DWORD src1_sel:DWORD
	v_or_b32_e32 v4, v4, v10
	v_or_b32_e32 v5, v5, v11
	scratch_load_dwordx2 v[10:11], off, off offset:8 ; 8-byte Folded Reload
	v_lshrrev_b32_e32 v23, 16, v6
	v_lshlrev_b16_e32 v130, 8, v6
	v_lshrrev_b32_e32 v131, 16, v7
	v_lshlrev_b16_e32 v132, 8, v7
	v_add_u16_e32 v130, 0xe000, v130
	v_lshlrev_b16_e32 v135, 8, v23
	v_add_u16_e32 v132, 0xe000, v132
	v_lshlrev_b16_e32 v136, 8, v131
	v_lshrrev_b16_e32 v130, 8, v130
	v_add_u16_e32 v135, 0xe000, v135
	v_lshrrev_b16_e32 v132, 8, v132
	v_add_u16_e32 v136, 0xe000, v136
	v_bitop3_b16 v6, v6, v130, s17 bitop3:0xec
	v_lshrrev_b16_e32 v130, 8, v135
	v_bitop3_b16 v7, v7, v132, s17 bitop3:0xec
	v_lshrrev_b16_e32 v132, 8, v136
	v_bitop3_b16 v13, v23, v130, s17 bitop3:0xec
	v_bitop3_b16 v22, v131, v132, s17 bitop3:0xec
	v_add_u16_e32 v6, 0xe000, v6
	v_add_u16_e32 v7, 0xe000, v7
	v_add_u16_sdwa v13, v13, s16 dst_sel:WORD_1 dst_unused:UNUSED_PAD src0_sel:DWORD src1_sel:DWORD
	v_add_u16_sdwa v22, v22, s16 dst_sel:WORD_1 dst_unused:UNUSED_PAD src0_sel:DWORD src1_sel:DWORD
	v_or_b32_e32 v6, v6, v13
	v_or_b32_e32 v7, v7, v22
	s_waitcnt vmcnt(3)
	v_ashrrev_i32_e32 v9, v27, v9
	v_and_b32_e32 v12, 0xf0f0f0f, v8
	v_lshrrev_b32_e32 v8, 4, v8
	v_and_b32_e32 v8, 0xf0f0f0f, v8
	v_add_u32_e32 v132, s18, v37
	s_waitcnt vmcnt(0)
	ds_write2_b32 v10, v4, v5 offset1:16
	ds_write2_b32 v28, v6, v7 offset1:16
	v_mad_i64_i32 v[4:5], s[0:1], v38, s5, v[2:3]
	v_lshlrev_b32_e32 v10, 4, v9
	v_lshl_add_u64 v[6:7], v[4:5], 0, v[18:19]
	global_load_dword v11, v[6:7], off
	v_and_or_b32 v6, v10, s9, v12
	v_lshl_add_u64 v[4:5], v[4:5], 0, v[20:21]
	global_load_dword v10, v[4:5], off offset:128
	v_lshlrev_b16_e32 v5, 8, v6
	v_add_u16_e32 v5, 0xe000, v5
	v_lshrrev_b32_e32 v4, 16, v6
	v_lshrrev_b16_e32 v5, 8, v5
	v_bitop3_b16 v5, v6, v5, s17 bitop3:0xec
	v_lshlrev_b16_e32 v6, 8, v4
	v_add_u16_e32 v6, 0xe000, v6
	v_lshrrev_b16_e32 v6, 8, v6
	v_bitop3_b16 v4, v4, v6, s17 bitop3:0xec
	v_add_u16_e32 v5, 0xe000, v5
	v_add_u16_sdwa v4, v4, s16 dst_sel:WORD_1 dst_unused:UNUSED_PAD src0_sel:DWORD src1_sel:DWORD
	s_nop 0
	v_or_b32_e32 v12, v5, v4
	v_and_or_b32 v4, v9, s9, v8
	v_lshlrev_b16_e32 v6, 8, v4
	v_add_u16_e32 v6, 0xe000, v6
	v_lshrrev_b32_e32 v5, 16, v4
	v_lshrrev_b16_e32 v6, 8, v6
	v_bitop3_b16 v4, v4, v6, s17 bitop3:0xec
	v_lshlrev_b16_e32 v6, 8, v5
	v_add_u16_e32 v6, 0xe000, v6
	v_lshrrev_b16_e32 v6, 8, v6
	v_bitop3_b16 v5, v5, v6, s17 bitop3:0xec
	v_add_u16_e32 v4, 0xe000, v4
	v_add_u16_sdwa v5, v5, s16 dst_sel:WORD_1 dst_unused:UNUSED_PAD src0_sel:DWORD src1_sel:DWORD
	s_nop 0
	v_or_b32_e32 v8, v4, v5
	v_mad_i64_i32 v[4:5], s[0:1], v42, s5, v[2:3]
	v_lshl_add_u64 v[6:7], v[4:5], 0, v[18:19]
	v_lshl_add_u64 v[4:5], v[4:5], 0, v[20:21]
	global_load_dword v9, v[6:7], off
	ds_write2_b32 v32, v12, v8 offset1:16
	global_load_dword v8, v[4:5], off offset:128
	v_ashrrev_i32_e32 v6, v27, v15
	v_and_b32_e32 v4, 0xf0f0f0f, v14
	v_lshlrev_b32_e32 v7, 4, v6
	v_and_or_b32 v4, v7, s9, v4
	v_lshlrev_b16_e32 v12, 8, v4
	v_add_u16_e32 v12, 0xe000, v12
	v_lshrrev_b32_e32 v7, 16, v4
	v_lshrrev_b16_e32 v12, 8, v12
	v_bitop3_b16 v4, v4, v12, s17 bitop3:0xec
	v_lshlrev_b16_e32 v12, 8, v7
	v_add_u16_e32 v12, 0xe000, v12
	v_lshrrev_b16_e32 v12, 8, v12
	v_lshrrev_b32_e32 v5, 4, v14
	v_bitop3_b16 v7, v7, v12, s17 bitop3:0xec
	v_and_b32_e32 v5, 0xf0f0f0f, v5
	v_add_u16_e32 v4, 0xe000, v4
	v_add_u16_sdwa v7, v7, s16 dst_sel:WORD_1 dst_unused:UNUSED_PAD src0_sel:DWORD src1_sel:DWORD
	s_nop 0
	v_or_b32_e32 v12, v4, v7
	v_and_or_b32 v4, v6, s9, v5
	v_lshlrev_b16_e32 v5, 8, v4
	v_add_u16_e32 v5, 0xe000, v5
	v_lshrrev_b16_e32 v5, 8, v5
	v_lshrrev_b32_e32 v13, 16, v4
	v_bitop3_b16 v4, v4, v5, s17 bitop3:0xec
	v_add_u16_e32 v14, 0xe000, v4
	v_mad_i64_i32 v[4:5], s[0:1], v46, s5, v[2:3]
	v_lshl_add_u64 v[6:7], v[4:5], 0, v[18:19]
	global_load_dword v15, v[6:7], off
	v_lshl_add_u64 v[4:5], v[4:5], 0, v[20:21]
	global_load_dword v22, v[4:5], off offset:128
	v_lshlrev_b16_e32 v6, 8, v13
	v_add_u16_e32 v4, 0xe000, v6
	v_lshrrev_b16_e32 v4, 8, v4
	v_bitop3_b16 v4, v13, v4, s17 bitop3:0xec
	v_add_u16_sdwa v4, v4, s16 dst_sel:WORD_1 dst_unused:UNUSED_PAD src0_sel:DWORD src1_sel:DWORD
	s_nop 0
	v_or_b32_e32 v4, v14, v4
	ds_write2_b32 v36, v12, v4 offset1:16
	v_mad_i64_i32 v[4:5], s[0:1], v50, s5, v[2:3]
	v_lshl_add_u64 v[6:7], v[4:5], 0, v[18:19]
	v_lshl_add_u64 v[4:5], v[4:5], 0, v[20:21]
	global_load_dword v12, v[6:7], off
	global_load_dword v13, v[4:5], off offset:128
	s_waitcnt vmcnt(6)
	v_ashrrev_i32_e32 v6, v27, v10
	v_and_b32_e32 v4, 0xf0f0f0f, v11
	v_lshlrev_b32_e32 v7, 4, v6
	v_and_or_b32 v4, v7, s9, v4
	v_lshlrev_b16_e32 v10, 8, v4
	v_add_u16_e32 v10, 0xe000, v10
	v_lshrrev_b32_e32 v7, 16, v4
	v_lshrrev_b16_e32 v10, 8, v10
	v_bitop3_b16 v4, v4, v10, s17 bitop3:0xec
	v_lshlrev_b16_e32 v10, 8, v7
	v_add_u16_e32 v10, 0xe000, v10
	v_lshrrev_b32_e32 v5, 4, v11
	v_lshrrev_b16_e32 v10, 8, v10
	v_and_b32_e32 v5, 0xf0f0f0f, v5
	v_bitop3_b16 v7, v7, v10, s17 bitop3:0xec
	v_add_u16_e32 v4, 0xe000, v4
	v_add_u16_sdwa v7, v7, s16 dst_sel:WORD_1 dst_unused:UNUSED_PAD src0_sel:DWORD src1_sel:DWORD
	v_and_or_b32 v5, v6, s9, v5
	v_or_b32_e32 v4, v4, v7
	v_lshlrev_b16_e32 v7, 8, v5
	v_add_u16_e32 v7, 0xe000, v7
	v_lshrrev_b32_e32 v6, 16, v5
	v_lshrrev_b16_e32 v7, 8, v7
	v_bitop3_b16 v5, v5, v7, s17 bitop3:0xec
	v_lshlrev_b16_e32 v7, 8, v6
	v_add_u16_e32 v7, 0xe000, v7
	v_lshrrev_b16_e32 v7, 8, v7
	v_bitop3_b16 v6, v6, v7, s17 bitop3:0xec
	v_add_u16_e32 v5, 0xe000, v5
	v_add_u16_sdwa v6, v6, s16 dst_sel:WORD_1 dst_unused:UNUSED_PAD src0_sel:DWORD src1_sel:DWORD
	s_waitcnt vmcnt(2)
	v_ashrrev_i32_e32 v10, v27, v22
	v_or_b32_e32 v5, v5, v6
	v_ashrrev_i32_e32 v6, v27, v8
	ds_write2_b32 v40, v4, v5 offset1:16
	v_and_b32_e32 v4, 0xf0f0f0f, v9
	v_lshlrev_b32_e32 v7, 4, v6
	v_and_or_b32 v4, v7, s9, v4
	v_lshlrev_b16_e32 v8, 8, v4
	v_add_u16_e32 v8, 0xe000, v8
	v_lshrrev_b32_e32 v7, 16, v4
	v_lshrrev_b16_e32 v8, 8, v8
	v_bitop3_b16 v4, v4, v8, s17 bitop3:0xec
	v_lshlrev_b16_e32 v8, 8, v7
	v_add_u16_e32 v8, 0xe000, v8
	v_lshrrev_b32_e32 v5, 4, v9
	v_lshrrev_b16_e32 v8, 8, v8
	v_and_b32_e32 v5, 0xf0f0f0f, v5
	v_bitop3_b16 v7, v7, v8, s17 bitop3:0xec
	v_add_u16_e32 v4, 0xe000, v4
	v_add_u16_sdwa v7, v7, s16 dst_sel:WORD_1 dst_unused:UNUSED_PAD src0_sel:DWORD src1_sel:DWORD
	v_and_or_b32 v5, v6, s9, v5
	v_or_b32_e32 v4, v4, v7
	v_lshlrev_b16_e32 v7, 8, v5
	v_add_u16_e32 v7, 0xe000, v7
	v_lshrrev_b32_e32 v6, 16, v5
	v_lshrrev_b16_e32 v7, 8, v7
	v_bitop3_b16 v5, v5, v7, s17 bitop3:0xec
	v_lshlrev_b16_e32 v7, 8, v6
	v_add_u16_e32 v7, 0xe000, v7
	v_lshrrev_b16_e32 v7, 8, v7
	v_bitop3_b16 v6, v6, v7, s17 bitop3:0xec
	v_add_u16_e32 v5, 0xe000, v5
	v_add_u16_sdwa v6, v6, s16 dst_sel:WORD_1 dst_unused:UNUSED_PAD src0_sel:DWORD src1_sel:DWORD
	v_and_b32_e32 v8, 0xf0f0f0f, v15
	v_or_b32_e32 v5, v5, v6
	ds_write2_b32 v44, v4, v5 offset1:16
	v_lshrrev_b32_e32 v4, 4, v15
	v_and_b32_e32 v9, 0xf0f0f0f, v4
	v_mad_i64_i32 v[4:5], s[0:1], v54, s5, v[2:3]
	v_lshlrev_b32_e32 v11, 4, v10
	v_lshl_add_u64 v[6:7], v[4:5], 0, v[18:19]
	global_load_dword v14, v[6:7], off
	v_and_or_b32 v6, v11, s9, v8
	v_lshl_add_u64 v[4:5], v[4:5], 0, v[20:21]
	global_load_dword v8, v[4:5], off offset:128
	v_lshlrev_b16_e32 v5, 8, v6
	v_add_u16_e32 v5, 0xe000, v5
	v_lshrrev_b32_e32 v4, 16, v6
	v_lshrrev_b16_e32 v5, 8, v5
	v_bitop3_b16 v5, v6, v5, s17 bitop3:0xec
	v_lshlrev_b16_e32 v6, 8, v4
	v_add_u16_e32 v6, 0xe000, v6
	v_lshrrev_b16_e32 v6, 8, v6
	v_bitop3_b16 v4, v4, v6, s17 bitop3:0xec
	v_add_u16_e32 v5, 0xe000, v5
	v_add_u16_sdwa v4, v4, s16 dst_sel:WORD_1 dst_unused:UNUSED_PAD src0_sel:DWORD src1_sel:DWORD
	s_nop 0
	v_or_b32_e32 v11, v5, v4
	v_and_or_b32 v4, v10, s9, v9
	v_lshlrev_b16_e32 v6, 8, v4
	v_add_u16_e32 v6, 0xe000, v6
	v_lshrrev_b32_e32 v5, 16, v4
	v_lshrrev_b16_e32 v6, 8, v6
	v_bitop3_b16 v4, v4, v6, s17 bitop3:0xec
	v_lshlrev_b16_e32 v6, 8, v5
	v_add_u16_e32 v6, 0xe000, v6
	v_lshrrev_b16_e32 v6, 8, v6
	v_bitop3_b16 v5, v5, v6, s17 bitop3:0xec
	v_add_u16_e32 v4, 0xe000, v4
	v_add_u16_sdwa v5, v5, s16 dst_sel:WORD_1 dst_unused:UNUSED_PAD src0_sel:DWORD src1_sel:DWORD
	s_nop 0
	v_or_b32_e32 v9, v4, v5
	v_mad_i64_i32 v[4:5], s[0:1], v58, s5, v[2:3]
	v_lshl_add_u64 v[6:7], v[4:5], 0, v[18:19]
	v_lshl_add_u64 v[4:5], v[4:5], 0, v[20:21]
	global_load_dword v10, v[6:7], off
	ds_write2_b32 v48, v11, v9 offset1:16
	global_load_dword v9, v[4:5], off offset:128
	s_waitcnt vmcnt(4)
	v_ashrrev_i32_e32 v6, v27, v13
	v_and_b32_e32 v4, 0xf0f0f0f, v12
	v_lshlrev_b32_e32 v7, 4, v6
	v_and_or_b32 v4, v7, s9, v4
	v_lshlrev_b16_e32 v11, 8, v4
	v_add_u16_e32 v11, 0xe000, v11
	v_lshrrev_b32_e32 v7, 16, v4
	v_lshrrev_b16_e32 v11, 8, v11
	v_bitop3_b16 v4, v4, v11, s17 bitop3:0xec
	v_lshlrev_b16_e32 v11, 8, v7
	v_add_u16_e32 v11, 0xe000, v11
	v_lshrrev_b16_e32 v11, 8, v11
	v_lshrrev_b32_e32 v5, 4, v12
	v_bitop3_b16 v7, v7, v11, s17 bitop3:0xec
	v_and_b32_e32 v5, 0xf0f0f0f, v5
	v_add_u16_e32 v4, 0xe000, v4
	v_add_u16_sdwa v7, v7, s16 dst_sel:WORD_1 dst_unused:UNUSED_PAD src0_sel:DWORD src1_sel:DWORD
	s_nop 0
	v_or_b32_e32 v11, v4, v7
	v_and_or_b32 v4, v6, s9, v5
	v_lshlrev_b16_e32 v5, 8, v4
	v_add_u16_e32 v5, 0xe000, v5
	v_lshrrev_b16_e32 v5, 8, v5
	v_lshrrev_b32_e32 v12, 16, v4
	v_bitop3_b16 v4, v4, v5, s17 bitop3:0xec
	v_add_u16_e32 v13, 0xe000, v4
	v_mad_i64_i32 v[4:5], s[0:1], v62, s5, v[2:3]
	v_lshl_add_u64 v[6:7], v[4:5], 0, v[18:19]
	global_load_dword v15, v[6:7], off
	v_lshl_add_u64 v[4:5], v[4:5], 0, v[20:21]
	global_load_dword v22, v[4:5], off offset:128
	v_lshlrev_b16_e32 v6, 8, v12
	v_add_u16_e32 v4, 0xe000, v6
	v_lshrrev_b16_e32 v4, 8, v4
	v_bitop3_b16 v4, v12, v4, s17 bitop3:0xec
	v_add_u16_sdwa v4, v4, s16 dst_sel:WORD_1 dst_unused:UNUSED_PAD src0_sel:DWORD src1_sel:DWORD
	s_nop 0
	v_or_b32_e32 v4, v13, v4
	ds_write2_b32 v52, v11, v4 offset1:16
	v_mad_i64_i32 v[4:5], s[0:1], v66, s5, v[2:3]
	v_lshl_add_u64 v[6:7], v[4:5], 0, v[18:19]
	v_lshl_add_u64 v[4:5], v[4:5], 0, v[20:21]
	global_load_dword v11, v[6:7], off
	global_load_dword v12, v[4:5], off offset:128
	s_waitcnt vmcnt(6)
	v_ashrrev_i32_e32 v6, v27, v8
	v_and_b32_e32 v4, 0xf0f0f0f, v14
	v_lshlrev_b32_e32 v7, 4, v6
	v_and_or_b32 v4, v7, s9, v4
	v_lshlrev_b16_e32 v8, 8, v4
	v_add_u16_e32 v8, 0xe000, v8
	v_lshrrev_b32_e32 v7, 16, v4
	v_lshrrev_b16_e32 v8, 8, v8
	v_bitop3_b16 v4, v4, v8, s17 bitop3:0xec
	v_lshlrev_b16_e32 v8, 8, v7
	v_add_u16_e32 v8, 0xe000, v8
	v_lshrrev_b32_e32 v5, 4, v14
	v_lshrrev_b16_e32 v8, 8, v8
	v_and_b32_e32 v5, 0xf0f0f0f, v5
	v_bitop3_b16 v7, v7, v8, s17 bitop3:0xec
	v_add_u16_e32 v4, 0xe000, v4
	v_add_u16_sdwa v7, v7, s16 dst_sel:WORD_1 dst_unused:UNUSED_PAD src0_sel:DWORD src1_sel:DWORD
	v_and_or_b32 v5, v6, s9, v5
	v_or_b32_e32 v4, v4, v7
	v_lshlrev_b16_e32 v7, 8, v5
	v_add_u16_e32 v7, 0xe000, v7
	v_lshrrev_b32_e32 v6, 16, v5
	v_lshrrev_b16_e32 v7, 8, v7
	v_bitop3_b16 v5, v5, v7, s17 bitop3:0xec
	v_lshlrev_b16_e32 v7, 8, v6
	v_add_u16_e32 v7, 0xe000, v7
	v_lshrrev_b16_e32 v7, 8, v7
	v_bitop3_b16 v6, v6, v7, s17 bitop3:0xec
	v_add_u16_e32 v5, 0xe000, v5
	v_add_u16_sdwa v6, v6, s16 dst_sel:WORD_1 dst_unused:UNUSED_PAD src0_sel:DWORD src1_sel:DWORD
	s_nop 0
	v_or_b32_e32 v5, v5, v6
	ds_write2_b32 v56, v4, v5 offset1:16
	s_waitcnt vmcnt(5)
	v_and_b32_e32 v4, 0xf0f0f0f, v10
	s_waitcnt vmcnt(4)
	v_ashrrev_i32_e32 v6, v27, v9
	v_lshlrev_b32_e32 v7, 4, v6
	v_and_or_b32 v4, v7, s9, v4
	v_lshlrev_b16_e32 v8, 8, v4
	v_add_u16_e32 v8, 0xe000, v8
	v_lshrrev_b32_e32 v7, 16, v4
	v_lshrrev_b16_e32 v8, 8, v8
	v_bitop3_b16 v4, v4, v8, s17 bitop3:0xec
	v_lshlrev_b16_e32 v8, 8, v7
	v_add_u16_e32 v8, 0xe000, v8
	v_lshrrev_b32_e32 v5, 4, v10
	v_lshrrev_b16_e32 v8, 8, v8
	v_and_b32_e32 v5, 0xf0f0f0f, v5
	v_bitop3_b16 v7, v7, v8, s17 bitop3:0xec
	v_add_u16_e32 v4, 0xe000, v4
	v_add_u16_sdwa v7, v7, s16 dst_sel:WORD_1 dst_unused:UNUSED_PAD src0_sel:DWORD src1_sel:DWORD
	v_and_or_b32 v5, v6, s9, v5
	v_or_b32_e32 v4, v4, v7
	v_lshlrev_b16_e32 v7, 8, v5
	v_add_u16_e32 v7, 0xe000, v7
	v_lshrrev_b32_e32 v6, 16, v5
	v_lshrrev_b16_e32 v7, 8, v7
	v_bitop3_b16 v5, v5, v7, s17 bitop3:0xec
	v_lshlrev_b16_e32 v7, 8, v6
	v_add_u16_e32 v7, 0xe000, v7
	v_lshrrev_b16_e32 v7, 8, v7
	v_bitop3_b16 v6, v6, v7, s17 bitop3:0xec
	v_add_u16_e32 v5, 0xe000, v5
	v_add_u16_sdwa v6, v6, s16 dst_sel:WORD_1 dst_unused:UNUSED_PAD src0_sel:DWORD src1_sel:DWORD
	s_waitcnt vmcnt(3)
	v_and_b32_e32 v8, 0xf0f0f0f, v15
	v_or_b32_e32 v5, v5, v6
	ds_write2_b32 v60, v4, v5 offset1:16
	v_lshrrev_b32_e32 v4, 4, v15
	v_and_b32_e32 v9, 0xf0f0f0f, v4
	s_waitcnt vmcnt(2)
	v_ashrrev_i32_e32 v10, v27, v22
	v_mad_i64_i32 v[4:5], s[0:1], v70, s5, v[2:3]
	v_lshlrev_b32_e32 v13, 4, v10
	v_lshl_add_u64 v[6:7], v[4:5], 0, v[18:19]
	global_load_dword v14, v[6:7], off
	v_and_or_b32 v6, v13, s9, v8
	v_lshl_add_u64 v[4:5], v[4:5], 0, v[20:21]
	global_load_dword v13, v[4:5], off offset:128
	v_lshlrev_b16_e32 v5, 8, v6
	v_add_u16_e32 v5, 0xe000, v5
	v_lshrrev_b32_e32 v4, 16, v6
	v_lshrrev_b16_e32 v5, 8, v5
	v_bitop3_b16 v5, v6, v5, s17 bitop3:0xec
	v_lshlrev_b16_e32 v6, 8, v4
	v_add_u16_e32 v6, 0xe000, v6
	v_lshrrev_b16_e32 v6, 8, v6
	v_bitop3_b16 v4, v4, v6, s17 bitop3:0xec
	v_add_u16_e32 v5, 0xe000, v5
	v_add_u16_sdwa v4, v4, s16 dst_sel:WORD_1 dst_unused:UNUSED_PAD src0_sel:DWORD src1_sel:DWORD
	s_nop 0
	v_or_b32_e32 v8, v5, v4
	v_and_or_b32 v4, v10, s9, v9
	v_lshlrev_b16_e32 v6, 8, v4
	v_add_u16_e32 v6, 0xe000, v6
	v_lshrrev_b32_e32 v5, 16, v4
	v_lshrrev_b16_e32 v6, 8, v6
	v_bitop3_b16 v4, v4, v6, s17 bitop3:0xec
	v_lshlrev_b16_e32 v6, 8, v5
	v_add_u16_e32 v6, 0xe000, v6
	v_lshrrev_b16_e32 v6, 8, v6
	v_bitop3_b16 v5, v5, v6, s17 bitop3:0xec
	v_add_u16_e32 v4, 0xe000, v4
	v_add_u16_sdwa v5, v5, s16 dst_sel:WORD_1 dst_unused:UNUSED_PAD src0_sel:DWORD src1_sel:DWORD
	s_nop 0
	v_or_b32_e32 v9, v4, v5
	v_mad_i64_i32 v[4:5], s[0:1], v74, s5, v[2:3]
	v_lshl_add_u64 v[6:7], v[4:5], 0, v[18:19]
	v_lshl_add_u64 v[4:5], v[4:5], 0, v[20:21]
	global_load_dword v10, v[6:7], off
	global_load_dword v15, v[4:5], off offset:128
	s_waitcnt vmcnt(4)
	v_ashrrev_i32_e32 v6, v27, v12
	v_and_b32_e32 v4, 0xf0f0f0f, v11
	v_lshlrev_b32_e32 v7, 4, v6
	v_and_or_b32 v4, v7, s9, v4
	ds_write2_b32 v64, v8, v9 offset1:16
	v_lshlrev_b16_e32 v8, 8, v4
	v_add_u16_e32 v8, 0xe000, v8
	v_lshrrev_b32_e32 v7, 16, v4
	v_lshrrev_b16_e32 v8, 8, v8
	v_bitop3_b16 v4, v4, v8, s17 bitop3:0xec
	v_lshlrev_b16_e32 v8, 8, v7
	v_add_u16_e32 v8, 0xe000, v8
	v_lshrrev_b32_e32 v5, 4, v11
	v_lshrrev_b16_e32 v8, 8, v8
	v_and_b32_e32 v5, 0xf0f0f0f, v5
	v_bitop3_b16 v7, v7, v8, s17 bitop3:0xec
	v_add_u16_e32 v4, 0xe000, v4
	v_add_u16_sdwa v7, v7, s16 dst_sel:WORD_1 dst_unused:UNUSED_PAD src0_sel:DWORD src1_sel:DWORD
	v_and_or_b32 v5, v6, s9, v5
	v_or_b32_e32 v4, v4, v7
	v_lshlrev_b16_e32 v7, 8, v5
	v_add_u16_e32 v7, 0xe000, v7
	v_lshrrev_b32_e32 v6, 16, v5
	v_lshrrev_b16_e32 v7, 8, v7
	v_bitop3_b16 v5, v5, v7, s17 bitop3:0xec
	v_lshlrev_b16_e32 v7, 8, v6
	v_add_u16_e32 v7, 0xe000, v7
	v_lshrrev_b16_e32 v7, 8, v7
	v_bitop3_b16 v6, v6, v7, s17 bitop3:0xec
	v_add_u16_e32 v5, 0xe000, v5
	v_add_u16_sdwa v6, v6, s16 dst_sel:WORD_1 dst_unused:UNUSED_PAD src0_sel:DWORD src1_sel:DWORD
	s_nop 0
	v_or_b32_e32 v5, v5, v6
	ds_write2_b32 v68, v4, v5 offset1:16
	v_mad_i64_i32 v[4:5], s[0:1], v78, s5, v[2:3]
	v_lshl_add_u64 v[6:7], v[4:5], 0, v[18:19]
	v_lshl_add_u64 v[4:5], v[4:5], 0, v[20:21]
	v_mad_i64_i32 v[2:3], s[0:1], v82, s5, v[2:3]
	v_lshl_add_u64 v[8:9], v[2:3], 0, v[18:19]
	v_lshl_add_u64 v[2:3], v[2:3], 0, v[20:21]
	global_load_dword v11, v[6:7], off
	global_load_dword v12, v[4:5], off offset:128
	global_load_dword v22, v[8:9], off
	global_load_dword v23, v[2:3], off offset:128
	s_waitcnt vmcnt(7)
	v_and_b32_e32 v2, 0xf0f0f0f, v14
	v_lshrrev_b32_e32 v3, 4, v14
	v_and_b32_e32 v3, 0xf0f0f0f, v3
	s_waitcnt vmcnt(6)
	v_ashrrev_i32_e32 v4, v27, v13
	v_lshlrev_b32_e32 v5, 4, v4
	v_and_or_b32 v2, v5, s9, v2
	v_lshlrev_b16_e32 v6, 8, v2
	v_add_u16_e32 v6, 0xe000, v6
	v_lshrrev_b32_e32 v5, 16, v2
	v_lshrrev_b16_e32 v6, 8, v6
	v_bitop3_b16 v2, v2, v6, s17 bitop3:0xec
	v_lshlrev_b16_e32 v6, 8, v5
	v_add_u16_e32 v6, 0xe000, v6
	v_lshrrev_b16_e32 v6, 8, v6
	v_bitop3_b16 v5, v5, v6, s17 bitop3:0xec
	v_add_u16_e32 v2, 0xe000, v2
	v_add_u16_sdwa v5, v5, s16 dst_sel:WORD_1 dst_unused:UNUSED_PAD src0_sel:DWORD src1_sel:DWORD
	v_and_or_b32 v3, v4, s9, v3
	v_or_b32_e32 v2, v2, v5
	v_lshlrev_b16_e32 v5, 8, v3
	v_add_u16_e32 v5, 0xe000, v5
	v_lshrrev_b32_e32 v4, 16, v3
	v_lshrrev_b16_e32 v5, 8, v5
	v_bitop3_b16 v3, v3, v5, s17 bitop3:0xec
	v_lshlrev_b16_e32 v5, 8, v4
	v_add_u16_e32 v5, 0xe000, v5
	v_lshrrev_b16_e32 v5, 8, v5
	v_bitop3_b16 v4, v4, v5, s17 bitop3:0xec
	v_add_u16_e32 v3, 0xe000, v3
	v_add_u16_sdwa v4, v4, s16 dst_sel:WORD_1 dst_unused:UNUSED_PAD src0_sel:DWORD src1_sel:DWORD
	v_add_u32_e32 v8, v132, v47
	v_or_b32_e32 v3, v3, v4
	ds_write2_b32 v72, v2, v3 offset1:16
	v_mad_i64_i32 v[8:9], s[0:1], v8, 36, v[96:97]
	s_waitcnt vmcnt(5)
	v_and_b32_e32 v2, 0xf0f0f0f, v10
	s_waitcnt vmcnt(4)
	v_ashrrev_i32_e32 v4, v27, v15
	v_lshlrev_b32_e32 v5, 4, v4
	v_and_or_b32 v2, v5, s9, v2
	v_lshlrev_b16_e32 v6, 8, v2
	v_add_u16_e32 v6, 0xe000, v6
	v_lshrrev_b32_e32 v5, 16, v2
	v_lshrrev_b16_e32 v6, 8, v6
	v_bitop3_b16 v2, v2, v6, s17 bitop3:0xec
	v_lshlrev_b16_e32 v6, 8, v5
	v_add_u16_e32 v6, 0xe000, v6
	v_lshrrev_b16_e32 v6, 8, v6
	v_lshrrev_b32_e32 v3, 4, v10
	v_bitop3_b16 v5, v5, v6, s17 bitop3:0xec
	v_and_b32_e32 v3, 0xf0f0f0f, v3
	v_add_u16_e32 v2, 0xe000, v2
	v_add_u16_sdwa v5, v5, s16 dst_sel:WORD_1 dst_unused:UNUSED_PAD src0_sel:DWORD src1_sel:DWORD
	v_add_u32_e32 v6, v132, v45
	v_or_b32_e32 v10, v2, v5
	v_and_or_b32 v2, v4, s9, v3
	v_lshlrev_b16_e32 v4, 8, v2
	v_add_u16_e32 v4, 0xe000, v4
	v_lshrrev_b16_e32 v4, 8, v4
	v_lshrrev_b32_e32 v3, 16, v2
	v_bitop3_b16 v2, v2, v4, s17 bitop3:0xec
	v_add_u16_e32 v13, 0xe000, v2
	v_lshlrev_b16_e32 v2, 8, v3
	v_add_u16_e32 v2, 0xe000, v2
	v_lshrrev_b16_e32 v2, 8, v2
	v_bitop3_b16 v14, v3, v2, s17 bitop3:0xec
	v_mad_i64_i32 v[2:3], s[0:1], v86, s5, v[0:1]
	v_mad_i64_i32 v[4:5], s[0:1], v90, s5, v[0:1]
	;; [unrolled: 1-line block ×3, first 2 shown]
	v_lshl_add_u64 v[0:1], v[0:1], 0, v[88:89]
	v_lshl_add_u64 v[4:5], v[4:5], 0, v[88:89]
	global_load_ushort v15, v[2:3], off offset:208
	global_load_dword v130, v[4:5], off offset:192
	global_load_dword v131, v[0:1], off offset:192
	v_add_u32_e32 v0, v132, v39
	v_add_u32_e32 v2, v132, v41
	v_mad_i64_i32 v[0:1], s[0:1], v0, 36, v[96:97]
	v_mad_i64_i32 v[2:3], s[0:1], v2, 36, v[96:97]
	v_add_u32_e32 v4, v132, v43
	v_mad_i64_i32 v[4:5], s[0:1], v4, 36, v[96:97]
	v_mad_i64_i32 v[6:7], s[0:1], v6, 36, v[96:97]
	global_load_dword v133, v[0:1], off offset:4
	global_load_dword v134, v[2:3], off offset:4
	;; [unrolled: 1-line block ×4, first 2 shown]
	s_nop 0
	global_load_dword v8, v[8:9], off offset:4
	v_add_u32_e32 v0, v132, v49
	v_add_u32_e32 v2, v132, v51
	v_mad_i64_i32 v[0:1], s[0:1], v0, 36, v[96:97]
	v_mad_i64_i32 v[2:3], s[0:1], v2, 36, v[96:97]
	v_add_u32_e32 v4, v132, v53
	v_mad_u64_u32 v[6:7], s[0:1], v222, 36, s[2:3]
	v_mad_i64_i32 v[4:5], s[0:1], v4, 36, v[96:97]
	global_load_dword v6, v[6:7], off
	s_nop 0
	global_load_dword v0, v[0:1], off offset:4
	s_nop 0
	global_load_dword v1, v[2:3], off offset:4
	;; [unrolled: 2-line block ×3, first 2 shown]
	v_add_u16_sdwa v3, v14, s16 dst_sel:WORD_1 dst_unused:UNUSED_PAD src0_sel:DWORD src1_sel:DWORD
	s_waitcnt vmcnt(14)
	v_ashrrev_i32_e32 v5, v27, v12
	v_or_b32_e32 v3, v13, v3
	ds_write2_b32 v76, v10, v3 offset1:16
	v_and_b32_e32 v3, 0xf0f0f0f, v11
	v_lshlrev_b32_e32 v7, 4, v5
	v_and_or_b32 v3, v7, s9, v3
	v_lshlrev_b16_e32 v9, 8, v3
	v_add_u16_e32 v9, 0xe000, v9
	v_lshrrev_b32_e32 v7, 16, v3
	v_lshrrev_b16_e32 v9, 8, v9
	v_bitop3_b16 v3, v3, v9, s17 bitop3:0xec
	v_lshlrev_b16_e32 v9, 8, v7
	v_add_u16_e32 v9, 0xe000, v9
	v_lshrrev_b32_e32 v4, 4, v11
	v_lshrrev_b16_e32 v9, 8, v9
	v_and_b32_e32 v4, 0xf0f0f0f, v4
	v_bitop3_b16 v7, v7, v9, s17 bitop3:0xec
	v_add_u16_e32 v3, 0xe000, v3
	v_add_u16_sdwa v7, v7, s16 dst_sel:WORD_1 dst_unused:UNUSED_PAD src0_sel:DWORD src1_sel:DWORD
	v_and_or_b32 v4, v5, s9, v4
	v_or_b32_e32 v3, v3, v7
	v_lshlrev_b16_e32 v7, 8, v4
	v_add_u16_e32 v7, 0xe000, v7
	v_lshrrev_b32_e32 v5, 16, v4
	v_lshrrev_b16_e32 v7, 8, v7
	v_bitop3_b16 v4, v4, v7, s17 bitop3:0xec
	v_lshlrev_b16_e32 v7, 8, v5
	v_add_u16_e32 v7, 0xe000, v7
	v_lshrrev_b16_e32 v7, 8, v7
	v_bitop3_b16 v5, v5, v7, s17 bitop3:0xec
	v_add_u16_e32 v4, 0xe000, v4
	v_add_u16_sdwa v5, v5, s16 dst_sel:WORD_1 dst_unused:UNUSED_PAD src0_sel:DWORD src1_sel:DWORD
	s_mov_b64 s[0:1], -1
	v_or_b32_e32 v4, v4, v5
	s_waitcnt vmcnt(12)
	v_ashrrev_i32_e32 v5, v27, v23
	ds_write2_b32 v80, v3, v4 offset1:16
	v_and_b32_e32 v3, 0xf0f0f0f, v22
	v_lshlrev_b32_e32 v7, 4, v5
	v_and_or_b32 v3, v7, s9, v3
	v_lshlrev_b16_e32 v9, 8, v3
	v_add_u16_e32 v9, 0xe000, v9
	v_lshrrev_b32_e32 v7, 16, v3
	v_lshrrev_b16_e32 v9, 8, v9
	v_bitop3_b16 v3, v3, v9, s17 bitop3:0xec
	v_lshlrev_b16_e32 v9, 8, v7
	v_add_u16_e32 v9, 0xe000, v9
	v_lshrrev_b32_e32 v4, 4, v22
	v_lshrrev_b16_e32 v9, 8, v9
	v_and_b32_e32 v4, 0xf0f0f0f, v4
	v_bitop3_b16 v7, v7, v9, s17 bitop3:0xec
	v_add_u16_e32 v3, 0xe000, v3
	v_add_u16_sdwa v7, v7, s16 dst_sel:WORD_1 dst_unused:UNUSED_PAD src0_sel:DWORD src1_sel:DWORD
	v_and_or_b32 v4, v5, s9, v4
	v_or_b32_e32 v3, v3, v7
	v_lshlrev_b16_e32 v7, 8, v4
	v_add_u16_e32 v7, 0xe000, v7
	v_lshrrev_b32_e32 v5, 16, v4
	v_lshrrev_b16_e32 v7, 8, v7
	v_bitop3_b16 v4, v4, v7, s17 bitop3:0xec
	v_lshlrev_b16_e32 v7, 8, v5
	v_add_u16_e32 v7, 0xe000, v7
	v_lshrrev_b16_e32 v7, 8, v7
	v_bitop3_b16 v5, v5, v7, s17 bitop3:0xec
	s_waitcnt vmcnt(11)
	v_cvt_f32_f16_e32 v7, v15
	v_add_u16_e32 v4, 0xe000, v4
	v_add_u16_sdwa v5, v5, s16 dst_sel:WORD_1 dst_unused:UNUSED_PAD src0_sel:DWORD src1_sel:DWORD
	s_nop 0
	v_or_b32_e32 v4, v4, v5
	ds_write2_b32 v84, v3, v4 offset1:16
	ds_write_b32 v31, v7
	s_waitcnt vmcnt(10)
	ds_write_b32 v93, v130
	s_waitcnt vmcnt(9)
	;; [unrolled: 2-line block ×8, first 2 shown]
	v_cvt_f32_f16_e32 v3, v6
	s_waitcnt vmcnt(2)
	ds_write_b32 v211, v0
	s_waitcnt vmcnt(1)
	ds_write_b32 v212, v1
	;; [unrolled: 2-line block ×3, first 2 shown]
	ds_write_b32 v35, v3
	s_waitcnt lgkmcnt(0)
	s_barrier
	ds_read_b32 v130, v55
	ds_read_b32 v132, v59 offset:128
	ds_read_b32 v134, v63 offset:256
	;; [unrolled: 1-line block ×3, first 2 shown]
	s_waitcnt lgkmcnt(3)
	v_mov_b32_e32 v131, v130
	s_waitcnt lgkmcnt(2)
	v_mov_b32_e32 v133, v132
	s_waitcnt lgkmcnt(1)
	v_mov_b32_e32 v135, v134
	s_waitcnt lgkmcnt(0)
	v_mov_b32_e32 v137, v136
.LBB156_6:                              ;   Parent Loop BB156_5 Depth=1
                                        ; =>  This Inner Loop Header: Depth=2
	s_lshl_b32 s19, s20, 1
	v_or_b32_e32 v0, s19, v29
	s_lshr_b32 s21, s20, 1
	s_lshl_b32 s20, s20, 3
	v_lshlrev_b32_e32 v12, 2, v0
	s_add_i32 s21, s21, 0xa200
	v_lshlrev_b32_e32 v217, 2, v37
	v_lshlrev_b32_e32 v218, 2, v33
	v_add_u32_e32 v23, s20, v83
	v_lshrrev_b32_e32 v202, 1, v0
	ds_read_b128 v[0:3], v12 offset:33280
	ds_read_b128 v[4:7], v12 offset:33296
	;; [unrolled: 1-line block ×4, first 2 shown]
	v_add3_u32 v22, s21, v217, v218
	ds_read2_b32 v[188:189], v23 offset0:6 offset1:7
	ds_read2_b32 v[192:193], v23 offset0:4 offset1:5
	ds_read2_b32 v[186:187], v23 offset0:2 offset1:3
	ds_read2_b32 v[190:191], v23 offset1:1
	ds_read_b32 v204, v22
	ds_read2_b32 v[194:195], v23 offset0:14 offset1:15
	ds_read2_b32 v[196:197], v23 offset0:12 offset1:13
	ds_read2_b32 v[198:199], v23 offset0:10 offset1:11
	ds_read2_b32 v[200:201], v23 offset0:8 offset1:9
	v_lshlrev_b32_e32 v219, 2, v57
	v_add_u32_e32 v23, s20, v85
	v_add3_u32 v22, s21, v219, v214
	ds_read2_b32 v[162:163], v23 offset0:6 offset1:7
	ds_read2_b32 v[164:165], v23 offset0:4 offset1:5
	ds_read2_b32 v[156:157], v23 offset0:2 offset1:3
	ds_read2_b32 v[160:161], v23 offset1:1
	ds_read_b32 v234, v22
	ds_read2_b32 v[174:175], v23 offset0:14 offset1:15
	ds_read2_b32 v[176:177], v23 offset0:12 offset1:13
	ds_read2_b32 v[182:183], v23 offset0:10 offset1:11
	ds_read2_b32 v[184:185], v23 offset0:8 offset1:9
	v_lshlrev_b32_e32 v220, 2, v61
	v_add_u32_e32 v23, s20, v87
	;; [unrolled: 12-line block ×3, first 2 shown]
	v_add3_u32 v22, s21, v221, v216
	ds_read2_b32 v[142:143], v23 offset0:6 offset1:7
	ds_read2_b32 v[144:145], v23 offset0:4 offset1:5
	;; [unrolled: 1-line block ×3, first 2 shown]
	ds_read2_b32 v[140:141], v23 offset1:1
	ds_read_b32 v226, v22
	ds_read2_b32 v[166:167], v23 offset0:14 offset1:15
	ds_read2_b32 v[168:169], v23 offset0:12 offset1:13
	;; [unrolled: 1-line block ×4, first 2 shown]
	v_mov_b32_e32 v233, 0
	v_mov_b32_e32 v249, 0
	;; [unrolled: 1-line block ×16, first 2 shown]
	s_waitcnt lgkmcnt(14)
	v_dot4c_i32_i8_e32 v233, v196, v12
	v_dot4c_i32_i8_e32 v249, v200, v8
	;; [unrolled: 1-line block ×8, first 2 shown]
	s_waitcnt lgkmcnt(11)
	v_dot4c_i32_i8_e32 v240, v172, v12
	s_waitcnt lgkmcnt(9)
	v_dot4c_i32_i8_e32 v243, v180, v8
	v_dot4c_i32_i8_e32 v245, v158, v4
	v_dot4c_i32_i8_e32 v246, v152, v0
	s_waitcnt lgkmcnt(2)
	v_dot4c_i32_i8_e32 v239, v168, v12
	s_waitcnt lgkmcnt(0)
	v_dot4c_i32_i8_e32 v241, v148, v8
	v_dot4c_i32_i8_e32 v242, v144, v4
	;; [unrolled: 1-line block ×19, first 2 shown]
	v_or_b32_e32 v0, s19, v69
	v_dot4c_i32_i8_e32 v233, v194, v14
	v_dot4c_i32_i8_e32 v249, v198, v10
	v_dot4c_i32_i8_e32 v205, v188, v6
	v_dot4c_i32_i8_e32 v250, v186, v2
	v_dot4c_i32_i8_e32 v235, v174, v14
	v_dot4c_i32_i8_e32 v236, v182, v10
	v_dot4c_i32_i8_e32 v247, v162, v6
	v_dot4c_i32_i8_e32 v248, v156, v2
	v_dot4c_i32_i8_e32 v240, v170, v14
	v_dot4c_i32_i8_e32 v243, v178, v10
	v_dot4c_i32_i8_e32 v245, v154, v6
	v_dot4c_i32_i8_e32 v246, v150, v2
	v_dot4c_i32_i8_e32 v239, v166, v14
	v_dot4c_i32_i8_e32 v241, v146, v10
	v_dot4c_i32_i8_e32 v242, v142, v6
	v_dot4c_i32_i8_e32 v244, v138, v2
	v_lshlrev_b32_e32 v12, 2, v0
	v_dot4c_i32_i8_e32 v233, v195, v15
	v_dot4c_i32_i8_e32 v249, v199, v11
	;; [unrolled: 1-line block ×16, first 2 shown]
	v_lshrrev_b32_e32 v22, 1, v0
	ds_read_b128 v[0:3], v12 offset:33280
	ds_read_b128 v[4:7], v12 offset:33296
	ds_read_b128 v[8:11], v12 offset:33312
	ds_read_b128 v[12:15], v12 offset:33328
	v_mov_b32_e32 v251, 0
	v_mov_b32_e32 v255, 0
	s_waitcnt lgkmcnt(2)
	v_dot4c_i32_i8_e32 v251, v192, v4
	v_mov_b32_e32 v23, 0
	v_dot4c_i32_i8_e32 v251, v193, v5
	v_dot4c_i32_i8_e32 v255, v190, v0
	ds_read_b64 v[202:203], v202 offset:43584
	ds_read_b64 v[252:253], v22 offset:43584
	s_waitcnt lgkmcnt(2)
	v_dot4c_i32_i8_e32 v23, v196, v12
	v_mov_b32_e32 v254, 0
	v_dot4c_i32_i8_e32 v251, v188, v6
	v_dot4c_i32_i8_e32 v255, v191, v1
	v_bfe_i32 v231, v204, 8, 8
	v_bfe_i32 v232, v204, 0, 8
	v_dot4c_i32_i8_e32 v23, v197, v13
	v_dot4c_i32_i8_e32 v254, v200, v8
	;; [unrolled: 1-line block ×7, first 2 shown]
	v_ashrrev_i32_e32 v237, 24, v204
	v_bfe_i32 v238, v204, 16, 8
	v_mul_lo_u32 v204, v250, v232
	v_mul_lo_u32 v250, v251, v231
	v_dot4c_i32_i8_e32 v23, v195, v15
	v_dot4c_i32_i8_e32 v254, v198, v10
	v_mad_u64_u32 v[250:251], s[20:21], v255, v232, v[250:251]
	v_mad_u64_u32 v[204:205], s[20:21], v205, v231, v[204:205]
	v_dot4c_i32_i8_e32 v254, v199, v11
	v_cvt_f32_i32_e32 v251, v204
	s_waitcnt lgkmcnt(0)
	v_mov_b32_e32 v204, v252
	v_mov_b32_e32 v205, v202
	v_mul_lo_u32 v202, v249, v238
	v_mul_lo_u32 v252, v23, v237
	v_cvt_f32_i32_e32 v250, v250
	v_mad_u64_u32 v[254:255], s[20:21], v254, v238, v[252:253]
	v_mad_u64_u32 v[22:23], s[20:21], v233, v237, v[202:203]
	v_cvt_f32_i32_e32 v23, v22
	v_cvt_f32_i32_e32 v22, v254
	v_pk_fma_f32 v[250:251], v[204:205], v[250:251], 0 op_sel_hi:[1,1,0]
	v_mov_b32_e32 v202, v253
	v_mov_b32_e32 v249, 0
	v_pk_fma_f32 v[22:23], v[202:203], v[22:23], v[250:251]
	v_mov_b32_e32 v250, 0
	v_pk_fma_f32 v[98:99], v[130:131], v[22:23], v[98:99]
	v_mov_b32_e32 v23, 0
	v_dot4c_i32_i8_e32 v23, v164, v4
	v_dot4c_i32_i8_e32 v23, v165, v5
	;; [unrolled: 1-line block ×4, first 2 shown]
	v_mov_b32_e32 v251, 0
	v_dot4c_i32_i8_e32 v23, v162, v6
	v_dot4c_i32_i8_e32 v249, v161, v1
	v_bfe_i32 v228, v234, 8, 8
	v_bfe_i32 v230, v234, 0, 8
	v_dot4c_i32_i8_e32 v250, v177, v13
	v_dot4c_i32_i8_e32 v251, v184, v8
	v_dot4c_i32_i8_e32 v23, v163, v7
	v_dot4c_i32_i8_e32 v249, v156, v2
	v_dot4c_i32_i8_e32 v250, v174, v14
	v_dot4c_i32_i8_e32 v251, v185, v9
	v_dot4c_i32_i8_e32 v249, v157, v3
	v_mul_lo_u32 v22, v248, v230
	v_mul_lo_u32 v248, v23, v228
	v_dot4c_i32_i8_e32 v250, v175, v15
	v_dot4c_i32_i8_e32 v251, v182, v10
	v_ashrrev_i32_e32 v233, 24, v234
	v_bfe_i32 v234, v234, 16, 8
	v_mad_u64_u32 v[248:249], s[20:21], v249, v230, v[248:249]
	v_mad_u64_u32 v[22:23], s[20:21], v247, v228, v[22:23]
	v_dot4c_i32_i8_e32 v251, v183, v11
	v_cvt_f32_i32_e32 v23, v22
	v_cvt_f32_i32_e32 v22, v248
	v_mul_lo_u32 v236, v236, v234
	v_mul_lo_u32 v248, v250, v233
	v_mad_u64_u32 v[248:249], s[20:21], v251, v234, v[248:249]
	v_mad_u64_u32 v[250:251], s[20:21], v235, v233, v[236:237]
	v_cvt_f32_i32_e32 v249, v250
	v_cvt_f32_i32_e32 v248, v248
	v_pk_fma_f32 v[22:23], v[204:205], v[22:23], 0 op_sel_hi:[1,1,0]
	v_mov_b32_e32 v247, 0
	v_dot4c_i32_i8_e32 v247, v152, v0
	v_pk_fma_f32 v[22:23], v[202:203], v[248:249], v[22:23]
	v_mov_b32_e32 v248, 0
	v_pk_fma_f32 v[118:119], v[132:133], v[22:23], v[118:119]
	v_mov_b32_e32 v23, 0
	v_dot4c_i32_i8_e32 v23, v158, v4
	v_dot4c_i32_i8_e32 v23, v159, v5
	;; [unrolled: 1-line block ×3, first 2 shown]
	v_mov_b32_e32 v249, 0
	v_dot4c_i32_i8_e32 v23, v154, v6
	v_dot4c_i32_i8_e32 v247, v153, v1
	v_bfe_i32 v227, v225, 8, 8
	v_bfe_i32 v229, v225, 0, 8
	v_dot4c_i32_i8_e32 v248, v173, v13
	v_dot4c_i32_i8_e32 v249, v180, v8
	;; [unrolled: 1-line block ×7, first 2 shown]
	v_mul_lo_u32 v22, v246, v229
	v_mul_lo_u32 v246, v23, v227
	v_dot4c_i32_i8_e32 v248, v171, v15
	v_dot4c_i32_i8_e32 v249, v178, v10
	v_ashrrev_i32_e32 v235, 24, v225
	v_bfe_i32 v236, v225, 16, 8
	v_mad_u64_u32 v[246:247], s[20:21], v247, v229, v[246:247]
	v_mad_u64_u32 v[22:23], s[20:21], v245, v227, v[22:23]
	v_dot4c_i32_i8_e32 v249, v179, v11
	v_cvt_f32_i32_e32 v23, v22
	v_cvt_f32_i32_e32 v22, v246
	v_mul_lo_u32 v246, v243, v236
	v_mul_lo_u32 v248, v248, v235
	v_mad_u64_u32 v[248:249], s[20:21], v249, v236, v[248:249]
	v_mad_u64_u32 v[246:247], s[20:21], v240, v235, v[246:247]
	v_cvt_f32_i32_e32 v247, v246
	v_cvt_f32_i32_e32 v246, v248
	v_pk_fma_f32 v[22:23], v[204:205], v[22:23], 0 op_sel_hi:[1,1,0]
	v_bfe_i32 v223, v226, 8, 8
	v_bfe_i32 v224, v226, 0, 8
	v_pk_fma_f32 v[22:23], v[202:203], v[246:247], v[22:23]
	v_ashrrev_i32_e32 v225, 24, v226
	v_pk_fma_f32 v[124:125], v[134:135], v[22:23], v[124:125]
	v_mov_b32_e32 v22, 0
	v_dot4c_i32_i8_e32 v22, v168, v12
	v_mov_b32_e32 v12, 0
	v_dot4c_i32_i8_e32 v12, v148, v8
	;; [unrolled: 2-line block ×4, first 2 shown]
	v_dot4c_i32_i8_e32 v4, v140, v0
	v_dot4c_i32_i8_e32 v8, v142, v6
	;; [unrolled: 1-line block ×9, first 2 shown]
	v_mul_lo_u32 v0, v244, v224
	v_mul_lo_u32 v2, v8, v223
	v_dot4c_i32_i8_e32 v22, v167, v15
	v_dot4c_i32_i8_e32 v12, v146, v10
	v_bfe_i32 v226, v226, 16, 8
	v_mad_u64_u32 v[2:3], s[20:21], v4, v224, v[2:3]
	v_mad_u64_u32 v[0:1], s[20:21], v242, v223, v[0:1]
	v_dot4c_i32_i8_e32 v12, v147, v11
	v_cvt_f32_i32_e32 v1, v0
	v_cvt_f32_i32_e32 v0, v2
	v_mul_lo_u32 v2, v241, v226
	v_mul_lo_u32 v4, v22, v225
	v_mad_u64_u32 v[4:5], s[20:21], v12, v226, v[4:5]
	v_mad_u64_u32 v[2:3], s[20:21], v239, v225, v[2:3]
	v_cvt_f32_i32_e32 v3, v2
	v_cvt_f32_i32_e32 v2, v4
	v_pk_fma_f32 v[0:1], v[204:205], v[0:1], 0 op_sel_hi:[1,1,0]
	v_mov_b32_e32 v247, 0
	v_mov_b32_e32 v250, 0
	v_pk_fma_f32 v[0:1], v[202:203], v[2:3], v[0:1]
	v_mov_b32_e32 v205, 0
	v_pk_fma_f32 v[128:129], v[136:137], v[0:1], v[128:129]
	v_or_b32_e32 v0, s19, v71
	v_lshlrev_b32_e32 v12, 2, v0
	v_lshrrev_b32_e32 v202, 1, v0
	ds_read_b128 v[0:3], v12 offset:33280
	ds_read_b128 v[4:7], v12 offset:33296
	;; [unrolled: 1-line block ×4, first 2 shown]
	v_mov_b32_e32 v204, 0
	v_mov_b32_e32 v254, 0
	;; [unrolled: 1-line block ×13, first 2 shown]
	s_waitcnt lgkmcnt(0)
	v_dot4c_i32_i8_e32 v247, v196, v12
	v_dot4c_i32_i8_e32 v250, v200, v8
	;; [unrolled: 1-line block ×32, first 2 shown]
	v_or_b32_e32 v0, s19, v73
	v_dot4c_i32_i8_e32 v247, v194, v14
	v_dot4c_i32_i8_e32 v250, v198, v10
	;; [unrolled: 1-line block ×16, first 2 shown]
	v_lshlrev_b32_e32 v12, 2, v0
	v_dot4c_i32_i8_e32 v247, v195, v15
	v_dot4c_i32_i8_e32 v250, v199, v11
	;; [unrolled: 1-line block ×16, first 2 shown]
	v_lshrrev_b32_e32 v22, 1, v0
	ds_read_b128 v[0:3], v12 offset:33280
	ds_read_b128 v[4:7], v12 offset:33296
	;; [unrolled: 1-line block ×4, first 2 shown]
	v_mov_b32_e32 v248, 0
	v_mov_b32_e32 v249, 0
	s_waitcnt lgkmcnt(2)
	v_dot4c_i32_i8_e32 v248, v192, v4
	v_mov_b32_e32 v251, 0
	v_dot4c_i32_i8_e32 v248, v193, v5
	v_dot4c_i32_i8_e32 v249, v190, v0
	ds_read_b64 v[202:203], v202 offset:43584
	ds_read_b64 v[22:23], v22 offset:43584
	s_waitcnt lgkmcnt(2)
	v_dot4c_i32_i8_e32 v251, v196, v12
	v_mov_b32_e32 v252, 0
	v_dot4c_i32_i8_e32 v248, v188, v6
	v_dot4c_i32_i8_e32 v249, v191, v1
	v_dot4c_i32_i8_e32 v251, v197, v13
	v_dot4c_i32_i8_e32 v252, v200, v8
	v_dot4c_i32_i8_e32 v248, v189, v7
	v_dot4c_i32_i8_e32 v249, v186, v2
	v_dot4c_i32_i8_e32 v251, v194, v14
	v_dot4c_i32_i8_e32 v252, v201, v9
	v_dot4c_i32_i8_e32 v249, v187, v3
	v_mul_lo_u32 v204, v204, v232
	v_mul_lo_u32 v248, v248, v231
	v_dot4c_i32_i8_e32 v251, v195, v15
	v_dot4c_i32_i8_e32 v252, v198, v10
	v_mad_u64_u32 v[248:249], s[20:21], v249, v232, v[248:249]
	v_mad_u64_u32 v[204:205], s[20:21], v205, v231, v[204:205]
	v_dot4c_i32_i8_e32 v252, v199, v11
	v_cvt_f32_i32_e32 v249, v204
	s_waitcnt lgkmcnt(0)
	v_mov_b32_e32 v204, v22
	v_mov_b32_e32 v205, v202
	v_mul_lo_u32 v22, v250, v238
	v_mul_lo_u32 v202, v251, v237
	v_cvt_f32_i32_e32 v248, v248
	v_mad_u64_u32 v[250:251], s[20:21], v252, v238, v[202:203]
	v_mad_u64_u32 v[252:253], s[20:21], v247, v237, v[22:23]
	v_cvt_f32_i32_e32 v251, v252
	v_cvt_f32_i32_e32 v250, v250
	v_pk_fma_f32 v[248:249], v[204:205], v[248:249], 0 op_sel_hi:[1,1,0]
	v_mov_b32_e32 v202, v23
	v_mov_b32_e32 v247, 0
	v_pk_fma_f32 v[22:23], v[202:203], v[250:251], v[248:249]
	v_mov_b32_e32 v249, 0
	v_pk_fma_f32 v[106:107], v[130:131], v[22:23], v[106:107]
	v_mov_b32_e32 v23, 0
	v_dot4c_i32_i8_e32 v23, v164, v4
	v_dot4c_i32_i8_e32 v23, v165, v5
	v_dot4c_i32_i8_e32 v249, v160, v0
	v_dot4c_i32_i8_e32 v247, v176, v12
	v_mov_b32_e32 v251, 0
	v_dot4c_i32_i8_e32 v23, v162, v6
	v_dot4c_i32_i8_e32 v249, v161, v1
	;; [unrolled: 1-line block ×9, first 2 shown]
	v_mul_lo_u32 v22, v17, v230
	v_mul_lo_u32 v248, v23, v228
	v_dot4c_i32_i8_e32 v247, v175, v15
	v_dot4c_i32_i8_e32 v251, v182, v10
	v_mad_u64_u32 v[248:249], s[20:21], v249, v230, v[248:249]
	v_mad_u64_u32 v[22:23], s[20:21], v25, v228, v[22:23]
	v_dot4c_i32_i8_e32 v251, v183, v11
	v_cvt_f32_i32_e32 v23, v22
	v_cvt_f32_i32_e32 v22, v248
	v_mul_lo_u32 v248, v255, v234
	v_mul_lo_u32 v250, v247, v233
	v_mad_u64_u32 v[250:251], s[20:21], v251, v234, v[250:251]
	v_mad_u64_u32 v[248:249], s[20:21], v254, v233, v[248:249]
	v_cvt_f32_i32_e32 v249, v248
	v_cvt_f32_i32_e32 v248, v250
	v_pk_fma_f32 v[22:23], v[204:205], v[22:23], 0 op_sel_hi:[1,1,0]
	v_mov_b32_e32 v247, 0
	v_mov_b32_e32 v17, 0
	v_pk_fma_f32 v[22:23], v[202:203], v[248:249], v[22:23]
	v_dot4c_i32_i8_e32 v247, v152, v0
	v_pk_fma_f32 v[112:113], v[132:133], v[22:23], v[112:113]
	v_mov_b32_e32 v23, 0
	v_dot4c_i32_i8_e32 v23, v158, v4
	v_dot4c_i32_i8_e32 v23, v159, v5
	;; [unrolled: 1-line block ×10, first 2 shown]
	v_mul_lo_u32 v22, v246, v229
	v_mul_lo_u32 v246, v23, v227
	v_dot4c_i32_i8_e32 v17, v171, v15
	v_mad_u64_u32 v[246:247], s[20:21], v247, v229, v[246:247]
	v_mad_u64_u32 v[22:23], s[20:21], v245, v227, v[22:23]
	v_cvt_f32_i32_e32 v23, v22
	v_cvt_f32_i32_e32 v22, v246
	v_mul_lo_u32 v246, v17, v235
	v_mov_b32_e32 v17, 0
	v_mov_b32_e32 v25, 0
	v_dot4c_i32_i8_e32 v17, v168, v12
	v_mov_b32_e32 v12, 0
	v_dot4c_i32_i8_e32 v25, v180, v8
	v_dot4c_i32_i8_e32 v12, v148, v8
	v_mov_b32_e32 v8, 0
	v_dot4c_i32_i8_e32 v8, v144, v4
	v_mov_b32_e32 v4, 0
	v_dot4c_i32_i8_e32 v8, v145, v5
	v_dot4c_i32_i8_e32 v4, v140, v0
	;; [unrolled: 1-line block ×10, first 2 shown]
	v_mul_lo_u32 v0, v242, v224
	v_mul_lo_u32 v2, v8, v223
	v_dot4c_i32_i8_e32 v17, v167, v15
	v_dot4c_i32_i8_e32 v12, v146, v10
	v_mad_u64_u32 v[2:3], s[20:21], v4, v224, v[2:3]
	v_mad_u64_u32 v[0:1], s[20:21], v241, v223, v[0:1]
	v_dot4c_i32_i8_e32 v12, v147, v11
	v_cvt_f32_i32_e32 v1, v0
	v_cvt_f32_i32_e32 v0, v2
	v_mul_lo_u32 v2, v240, v226
	v_mul_lo_u32 v4, v17, v225
	v_dot4c_i32_i8_e32 v25, v181, v9
	v_mad_u64_u32 v[4:5], s[20:21], v12, v226, v[4:5]
	v_mad_u64_u32 v[2:3], s[20:21], v239, v225, v[2:3]
	v_dot4c_i32_i8_e32 v25, v178, v10
	v_cvt_f32_i32_e32 v3, v2
	v_cvt_f32_i32_e32 v2, v4
	v_dot4c_i32_i8_e32 v25, v179, v11
	v_mul_lo_u32 v244, v244, v236
	v_mad_u64_u32 v[244:245], s[20:21], v243, v235, v[244:245]
	s_nop 0
	v_mad_u64_u32 v[246:247], s[20:21], v25, v236, v[246:247]
	v_cvt_f32_i32_e32 v245, v244
	v_cvt_f32_i32_e32 v244, v246
	v_pk_fma_f32 v[0:1], v[204:205], v[0:1], 0 op_sel_hi:[1,1,0]
	v_pk_fma_f32 v[22:23], v[204:205], v[22:23], 0 op_sel_hi:[1,1,0]
	v_pk_fma_f32 v[0:1], v[202:203], v[2:3], v[0:1]
	v_pk_fma_f32 v[22:23], v[202:203], v[244:245], v[22:23]
	;; [unrolled: 1-line block ×3, first 2 shown]
	v_or_b32_e32 v0, s19, v75
	v_lshlrev_b32_e32 v12, 2, v0
	v_lshrrev_b32_e32 v202, 1, v0
	ds_read_b128 v[0:3], v12 offset:33280
	ds_read_b128 v[4:7], v12 offset:33296
	;; [unrolled: 1-line block ×4, first 2 shown]
	v_mov_b32_e32 v17, 0
	v_mov_b32_e32 v25, 0
	;; [unrolled: 1-line block ×16, first 2 shown]
	s_waitcnt lgkmcnt(0)
	v_dot4c_i32_i8_e32 v17, v196, v12
	v_dot4c_i32_i8_e32 v25, v200, v8
	;; [unrolled: 1-line block ×32, first 2 shown]
	v_or_b32_e32 v0, s19, v77
	v_dot4c_i32_i8_e32 v17, v194, v14
	v_dot4c_i32_i8_e32 v25, v198, v10
	;; [unrolled: 1-line block ×16, first 2 shown]
	v_lshlrev_b32_e32 v12, 2, v0
	v_pk_fma_f32 v[120:121], v[134:135], v[22:23], v[120:121]
	v_dot4c_i32_i8_e32 v17, v195, v15
	v_dot4c_i32_i8_e32 v25, v199, v11
	;; [unrolled: 1-line block ×16, first 2 shown]
	v_lshrrev_b32_e32 v22, 1, v0
	ds_read_b128 v[0:3], v12 offset:33280
	ds_read_b128 v[4:7], v12 offset:33296
	;; [unrolled: 1-line block ×4, first 2 shown]
	v_mov_b32_e32 v248, 0
	v_mov_b32_e32 v249, 0
	s_waitcnt lgkmcnt(2)
	v_dot4c_i32_i8_e32 v248, v192, v4
	v_mov_b32_e32 v250, 0
	v_dot4c_i32_i8_e32 v248, v193, v5
	v_dot4c_i32_i8_e32 v249, v190, v0
	ds_read_b64 v[202:203], v202 offset:43584
	ds_read_b64 v[22:23], v22 offset:43584
	s_waitcnt lgkmcnt(2)
	v_dot4c_i32_i8_e32 v250, v196, v12
	v_mov_b32_e32 v251, 0
	v_dot4c_i32_i8_e32 v248, v188, v6
	v_dot4c_i32_i8_e32 v249, v191, v1
	;; [unrolled: 1-line block ×9, first 2 shown]
	v_mul_lo_u32 v204, v204, v232
	v_mul_lo_u32 v248, v248, v231
	v_dot4c_i32_i8_e32 v250, v195, v15
	v_dot4c_i32_i8_e32 v251, v198, v10
	v_mad_u64_u32 v[248:249], s[20:21], v249, v232, v[248:249]
	v_mad_u64_u32 v[204:205], s[20:21], v205, v231, v[204:205]
	v_dot4c_i32_i8_e32 v251, v199, v11
	v_cvt_f32_i32_e32 v249, v204
	s_waitcnt lgkmcnt(0)
	v_mov_b32_e32 v204, v22
	v_mov_b32_e32 v205, v202
	v_mul_lo_u32 v22, v25, v238
	v_mul_lo_u32 v202, v250, v237
	v_cvt_f32_i32_e32 v248, v248
	v_mad_u64_u32 v[250:251], s[20:21], v251, v238, v[202:203]
	v_mad_u64_u32 v[252:253], s[20:21], v17, v237, v[22:23]
	v_cvt_f32_i32_e32 v251, v252
	v_cvt_f32_i32_e32 v250, v250
	v_pk_fma_f32 v[248:249], v[204:205], v[248:249], 0 op_sel_hi:[1,1,0]
	v_mov_b32_e32 v202, v23
	v_mov_b32_e32 v17, 0
	v_pk_fma_f32 v[22:23], v[202:203], v[250:251], v[248:249]
	v_mov_b32_e32 v249, 0
	v_pk_fma_f32 v[102:103], v[130:131], v[22:23], v[102:103]
	v_mov_b32_e32 v23, 0
	v_dot4c_i32_i8_e32 v23, v164, v4
	v_dot4c_i32_i8_e32 v23, v165, v5
	;; [unrolled: 1-line block ×4, first 2 shown]
	v_mov_b32_e32 v25, 0
	v_dot4c_i32_i8_e32 v23, v162, v6
	v_dot4c_i32_i8_e32 v249, v161, v1
	;; [unrolled: 1-line block ×9, first 2 shown]
	v_mul_lo_u32 v22, v24, v230
	v_mul_lo_u32 v248, v23, v228
	v_dot4c_i32_i8_e32 v17, v175, v15
	v_dot4c_i32_i8_e32 v25, v182, v10
	v_mad_u64_u32 v[248:249], s[20:21], v249, v230, v[248:249]
	v_mad_u64_u32 v[22:23], s[20:21], v255, v228, v[22:23]
	v_dot4c_i32_i8_e32 v25, v183, v11
	v_cvt_f32_i32_e32 v23, v22
	v_cvt_f32_i32_e32 v22, v248
	v_mul_lo_u32 v248, v254, v234
	v_mul_lo_u32 v250, v17, v233
	v_mad_u64_u32 v[250:251], s[20:21], v25, v234, v[250:251]
	v_mad_u64_u32 v[248:249], s[20:21], v247, v233, v[248:249]
	v_cvt_f32_i32_e32 v249, v248
	v_cvt_f32_i32_e32 v248, v250
	v_pk_fma_f32 v[22:23], v[204:205], v[22:23], 0 op_sel_hi:[1,1,0]
	v_mov_b32_e32 v25, 0
	v_mov_b32_e32 v17, 0
	v_pk_fma_f32 v[22:23], v[202:203], v[248:249], v[22:23]
	v_dot4c_i32_i8_e32 v25, v152, v0
	v_pk_fma_f32 v[108:109], v[132:133], v[22:23], v[108:109]
	v_mov_b32_e32 v23, 0
	v_dot4c_i32_i8_e32 v23, v158, v4
	v_dot4c_i32_i8_e32 v23, v159, v5
	;; [unrolled: 1-line block ×10, first 2 shown]
	v_mul_lo_u32 v22, v246, v229
	v_mul_lo_u32 v246, v23, v227
	v_dot4c_i32_i8_e32 v17, v171, v15
	v_mad_u64_u32 v[246:247], s[20:21], v25, v229, v[246:247]
	v_mad_u64_u32 v[22:23], s[20:21], v245, v227, v[22:23]
	v_cvt_f32_i32_e32 v23, v22
	v_cvt_f32_i32_e32 v22, v246
	v_mul_lo_u32 v246, v17, v235
	v_mov_b32_e32 v17, 0
	v_mov_b32_e32 v24, 0
	v_dot4c_i32_i8_e32 v17, v168, v12
	v_mov_b32_e32 v12, 0
	v_dot4c_i32_i8_e32 v24, v180, v8
	v_dot4c_i32_i8_e32 v12, v148, v8
	v_mov_b32_e32 v8, 0
	v_dot4c_i32_i8_e32 v8, v144, v4
	v_mov_b32_e32 v4, 0
	v_dot4c_i32_i8_e32 v8, v145, v5
	v_dot4c_i32_i8_e32 v4, v140, v0
	;; [unrolled: 1-line block ×10, first 2 shown]
	v_mul_lo_u32 v0, v242, v224
	v_mul_lo_u32 v2, v8, v223
	v_dot4c_i32_i8_e32 v17, v167, v15
	v_dot4c_i32_i8_e32 v12, v146, v10
	v_mad_u64_u32 v[2:3], s[20:21], v4, v224, v[2:3]
	v_mad_u64_u32 v[0:1], s[20:21], v241, v223, v[0:1]
	v_dot4c_i32_i8_e32 v12, v147, v11
	v_cvt_f32_i32_e32 v1, v0
	v_cvt_f32_i32_e32 v0, v2
	v_mul_lo_u32 v2, v240, v226
	v_mul_lo_u32 v4, v17, v225
	v_mad_u64_u32 v[4:5], s[20:21], v12, v226, v[4:5]
	v_mad_u64_u32 v[2:3], s[20:21], v239, v225, v[2:3]
	v_cvt_f32_i32_e32 v3, v2
	v_cvt_f32_i32_e32 v2, v4
	v_dot4c_i32_i8_e32 v24, v181, v9
	v_pk_fma_f32 v[0:1], v[204:205], v[0:1], 0 op_sel_hi:[1,1,0]
	v_dot4c_i32_i8_e32 v24, v178, v10
	v_pk_fma_f32 v[0:1], v[202:203], v[2:3], v[0:1]
	v_dot4c_i32_i8_e32 v24, v179, v11
	v_mul_lo_u32 v244, v244, v236
	v_pk_fma_f32 v[122:123], v[136:137], v[0:1], v[122:123]
	v_or_b32_e32 v0, s19, v79
	v_mad_u64_u32 v[246:247], s[20:21], v24, v236, v[246:247]
	v_mad_u64_u32 v[244:245], s[20:21], v243, v235, v[244:245]
	v_lshlrev_b32_e32 v12, 2, v0
	v_cvt_f32_i32_e32 v245, v244
	v_cvt_f32_i32_e32 v244, v246
	v_lshrrev_b32_e32 v251, 1, v0
	ds_read_b128 v[0:3], v12 offset:33280
	ds_read_b128 v[4:7], v12 offset:33296
	;; [unrolled: 1-line block ×4, first 2 shown]
	v_pk_fma_f32 v[22:23], v[204:205], v[22:23], 0 op_sel_hi:[1,1,0]
	v_mov_b32_e32 v247, 0
	v_pk_fma_f32 v[22:23], v[202:203], v[244:245], v[22:23]
	v_mov_b32_e32 v248, 0
	v_mov_b32_e32 v249, 0
	;; [unrolled: 1-line block ×15, first 2 shown]
	s_waitcnt lgkmcnt(0)
	v_dot4c_i32_i8_e32 v247, v196, v12
	v_dot4c_i32_i8_e32 v248, v200, v8
	;; [unrolled: 1-line block ×32, first 2 shown]
	v_or_b32_e32 v0, s19, v81
	v_dot4c_i32_i8_e32 v247, v194, v14
	v_dot4c_i32_i8_e32 v248, v198, v10
	;; [unrolled: 1-line block ×16, first 2 shown]
	v_lshlrev_b32_e32 v12, 2, v0
	v_dot4c_i32_i8_e32 v247, v195, v15
	v_dot4c_i32_i8_e32 v248, v199, v11
	;; [unrolled: 1-line block ×16, first 2 shown]
	v_lshrrev_b32_e32 v17, 1, v0
	ds_read_b128 v[0:3], v12 offset:33280
	ds_read_b128 v[4:7], v12 offset:33296
	;; [unrolled: 1-line block ×4, first 2 shown]
	v_mov_b32_e32 v24, 0
	v_pk_fma_f32 v[114:115], v[134:135], v[22:23], v[114:115]
	v_mov_b32_e32 v25, 0
	s_waitcnt lgkmcnt(1)
	v_dot4c_i32_i8_e32 v25, v200, v8
	s_waitcnt lgkmcnt(0)
	v_dot4c_i32_i8_e32 v24, v196, v12
	v_dot4c_i32_i8_e32 v24, v197, v13
	;; [unrolled: 1-line block ×3, first 2 shown]
	v_mov_b32_e32 v194, 0
	v_dot4c_i32_i8_e32 v194, v192, v4
	v_dot4c_i32_i8_e32 v194, v193, v5
	v_dot4c_i32_i8_e32 v194, v188, v6
	v_dot4c_i32_i8_e32 v194, v189, v7
	v_mov_b32_e32 v189, 0
	v_dot4c_i32_i8_e32 v189, v190, v0
	v_dot4c_i32_i8_e32 v189, v191, v1
	;; [unrolled: 1-line block ×4, first 2 shown]
	ds_read_b64 v[186:187], v251 offset:43584
	ds_read_b64 v[22:23], v17 offset:43584
	v_dot4c_i32_i8_e32 v25, v201, v9
	v_mul_lo_u32 v188, v250, v232
	v_mul_lo_u32 v190, v194, v231
	v_dot4c_i32_i8_e32 v24, v195, v15
	v_dot4c_i32_i8_e32 v25, v198, v10
	v_mad_u64_u32 v[190:191], s[20:21], v189, v232, v[190:191]
	v_mad_u64_u32 v[188:189], s[20:21], v249, v231, v[188:189]
	v_dot4c_i32_i8_e32 v25, v199, v11
	v_cvt_f32_i32_e32 v191, v188
	s_waitcnt lgkmcnt(0)
	v_mov_b32_e32 v188, v22
	v_mov_b32_e32 v189, v186
	v_mul_lo_u32 v22, v248, v238
	v_mul_lo_u32 v186, v24, v237
	v_cvt_f32_i32_e32 v190, v190
	v_mad_u64_u32 v[192:193], s[20:21], v25, v238, v[186:187]
	v_mad_u64_u32 v[194:195], s[20:21], v247, v237, v[22:23]
	v_cvt_f32_i32_e32 v193, v194
	v_cvt_f32_i32_e32 v192, v192
	v_pk_fma_f32 v[190:191], v[188:189], v[190:191], 0 op_sel_hi:[1,1,0]
	v_mov_b32_e32 v186, v23
	v_mov_b32_e32 v25, 0
	v_pk_fma_f32 v[22:23], v[186:187], v[192:193], v[190:191]
	v_mov_b32_e32 v17, 0
	v_pk_fma_f32 v[100:101], v[130:131], v[22:23], v[100:101]
	v_mov_b32_e32 v23, 0
	v_dot4c_i32_i8_e32 v23, v164, v4
	v_dot4c_i32_i8_e32 v23, v165, v5
	;; [unrolled: 1-line block ×4, first 2 shown]
	v_mov_b32_e32 v24, 0
	v_dot4c_i32_i8_e32 v23, v162, v6
	v_dot4c_i32_i8_e32 v25, v161, v1
	;; [unrolled: 1-line block ×9, first 2 shown]
	v_mul_lo_u32 v22, v246, v230
	v_mul_lo_u32 v156, v23, v228
	v_dot4c_i32_i8_e32 v17, v175, v15
	v_dot4c_i32_i8_e32 v24, v182, v10
	v_mad_u64_u32 v[156:157], s[20:21], v25, v230, v[156:157]
	v_mad_u64_u32 v[22:23], s[20:21], v245, v228, v[22:23]
	v_dot4c_i32_i8_e32 v24, v183, v11
	v_cvt_f32_i32_e32 v23, v22
	v_cvt_f32_i32_e32 v22, v156
	v_mul_lo_u32 v156, v244, v234
	v_mul_lo_u32 v160, v17, v233
	v_mad_u64_u32 v[160:161], s[20:21], v24, v234, v[160:161]
	v_mad_u64_u32 v[156:157], s[20:21], v243, v233, v[156:157]
	v_cvt_f32_i32_e32 v157, v156
	v_cvt_f32_i32_e32 v156, v160
	v_pk_fma_f32 v[22:23], v[188:189], v[22:23], 0 op_sel_hi:[1,1,0]
	v_mov_b32_e32 v25, 0
	v_mov_b32_e32 v17, 0
	v_pk_fma_f32 v[22:23], v[186:187], v[156:157], v[22:23]
	v_dot4c_i32_i8_e32 v25, v152, v0
	v_pk_fma_f32 v[104:105], v[132:133], v[22:23], v[104:105]
	v_mov_b32_e32 v23, 0
	v_dot4c_i32_i8_e32 v23, v158, v4
	v_dot4c_i32_i8_e32 v23, v159, v5
	;; [unrolled: 1-line block ×3, first 2 shown]
	v_mov_b32_e32 v24, 0
	v_dot4c_i32_i8_e32 v23, v154, v6
	v_dot4c_i32_i8_e32 v25, v153, v1
	;; [unrolled: 1-line block ×9, first 2 shown]
	v_mul_lo_u32 v22, v242, v229
	v_mul_lo_u32 v150, v23, v227
	v_dot4c_i32_i8_e32 v17, v171, v15
	v_dot4c_i32_i8_e32 v24, v178, v10
	v_mad_u64_u32 v[150:151], s[20:21], v25, v229, v[150:151]
	v_mad_u64_u32 v[22:23], s[20:21], v241, v227, v[22:23]
	v_dot4c_i32_i8_e32 v24, v179, v11
	v_cvt_f32_i32_e32 v23, v22
	v_cvt_f32_i32_e32 v22, v150
	v_mul_lo_u32 v150, v240, v236
	v_mul_lo_u32 v152, v17, v235
	v_mad_u64_u32 v[152:153], s[20:21], v24, v236, v[152:153]
	v_mad_u64_u32 v[150:151], s[20:21], v239, v235, v[150:151]
	v_cvt_f32_i32_e32 v151, v150
	v_cvt_f32_i32_e32 v150, v152
	v_pk_fma_f32 v[22:23], v[188:189], v[22:23], 0 op_sel_hi:[1,1,0]
	s_and_b64 vcc, exec, s[0:1]
	s_mov_b64 s[0:1], 0
	v_pk_fma_f32 v[22:23], v[186:187], v[150:151], v[22:23]
	v_mov_b32_e32 v150, 0
	v_dot4c_i32_i8_e32 v150, v168, v12
	v_mov_b32_e32 v12, 0
	v_dot4c_i32_i8_e32 v12, v148, v8
	v_mov_b32_e32 v8, 0
	v_dot4c_i32_i8_e32 v8, v144, v4
	v_mov_b32_e32 v4, 0
	v_dot4c_i32_i8_e32 v8, v145, v5
	v_dot4c_i32_i8_e32 v4, v140, v0
	v_dot4c_i32_i8_e32 v8, v142, v6
	;; [unrolled: 1-line block ×9, first 2 shown]
	v_mul_lo_u32 v0, v205, v224
	v_mul_lo_u32 v2, v8, v223
	v_dot4c_i32_i8_e32 v150, v167, v15
	v_dot4c_i32_i8_e32 v12, v146, v10
	v_mad_u64_u32 v[2:3], s[20:21], v4, v224, v[2:3]
	v_mad_u64_u32 v[0:1], s[20:21], v204, v223, v[0:1]
	v_dot4c_i32_i8_e32 v12, v147, v11
	v_cvt_f32_i32_e32 v1, v0
	v_cvt_f32_i32_e32 v0, v2
	v_mul_lo_u32 v2, v203, v226
	v_mul_lo_u32 v4, v150, v225
	v_mad_u64_u32 v[4:5], s[20:21], v12, v226, v[4:5]
	v_mad_u64_u32 v[2:3], s[20:21], v202, v225, v[2:3]
	v_cvt_f32_i32_e32 v3, v2
	v_cvt_f32_i32_e32 v2, v4
	v_pk_fma_f32 v[0:1], v[188:189], v[0:1], 0 op_sel_hi:[1,1,0]
	v_pk_fma_f32 v[110:111], v[134:135], v[22:23], v[110:111]
	s_mov_b32 s20, 8
	v_pk_fma_f32 v[0:1], v[186:187], v[2:3], v[0:1]
	s_nop 0
	v_pk_fma_f32 v[116:117], v[136:137], v[0:1], v[116:117]
	s_cbranch_vccnz .LBB156_6
; %bb.7:                                ;   in Loop: Header=BB156_5 Depth=1
	v_add_u32_e32 v14, s18, v57
	v_add_u32_e32 v0, v14, v39
	;; [unrolled: 1-line block ×6, first 2 shown]
	v_mad_i64_i32 v[0:1], s[0:1], v0, 36, v[96:97]
	v_mad_i64_i32 v[2:3], s[0:1], v2, 36, v[96:97]
	;; [unrolled: 1-line block ×4, first 2 shown]
	v_add_u32_e32 v8, v14, v47
	v_add_u32_e32 v10, v14, v49
	;; [unrolled: 1-line block ×4, first 2 shown]
	v_mad_u64_u32 v[22:23], s[0:1], v17, 36, s[2:3]
	s_barrier
	v_mad_i64_i32 v[8:9], s[0:1], v8, 36, v[96:97]
	v_mad_i64_i32 v[10:11], s[0:1], v10, 36, v[96:97]
	;; [unrolled: 1-line block ×4, first 2 shown]
	global_load_dword v17, v[22:23], off
	s_nop 0
	global_load_dword v0, v[0:1], off offset:4
	s_nop 0
	global_load_dword v1, v[2:3], off offset:4
	;; [unrolled: 2-line block ×3, first 2 shown]
	global_load_dword v3, v[6:7], off offset:4
	s_nop 0
	global_load_dword v4, v[8:9], off offset:4
	global_load_dword v5, v[10:11], off offset:4
	;; [unrolled: 1-line block ×4, first 2 shown]
	s_mov_b32 s0, 16
	s_waitcnt vmcnt(8)
	v_cvt_f32_f16_e32 v8, v17
	s_waitcnt vmcnt(7)
	ds_write_b32 v206, v0
	s_waitcnt vmcnt(6)
	ds_write_b32 v207, v1
	;; [unrolled: 2-line block ×8, first 2 shown]
	ds_write_b32 v35, v8
	s_waitcnt lgkmcnt(0)
	s_barrier
	ds_read_b32 v130, v55
	ds_read_b32 v132, v59 offset:128
	ds_read_b32 v134, v63 offset:256
	;; [unrolled: 1-line block ×3, first 2 shown]
	s_waitcnt lgkmcnt(3)
	v_mov_b32_e32 v131, v130
	s_waitcnt lgkmcnt(2)
	v_mov_b32_e32 v133, v132
	;; [unrolled: 2-line block ×4, first 2 shown]
.LBB156_8:                              ;   Parent Loop BB156_5 Depth=1
                                        ; =>  This Inner Loop Header: Depth=2
	s_lshl_b32 s1, s0, 1
	s_and_b32 s1, s1, 16
	v_or_b32_e32 v0, s1, v29
	s_lshl_b32 s19, s0, 3
	v_lshlrev_b32_e32 v12, 2, v0
	v_add_u32_e32 v17, s19, v83
	v_add_u32_e32 v22, s19, v85
	v_lshrrev_b32_e32 v202, 1, v0
	ds_read_b128 v[0:3], v12 offset:33280
	ds_read_b128 v[4:7], v12 offset:33296
	;; [unrolled: 1-line block ×4, first 2 shown]
	ds_read2_b32 v[188:189], v17 offset0:6 offset1:7
	ds_read2_b32 v[192:193], v17 offset0:4 offset1:5
	;; [unrolled: 1-line block ×3, first 2 shown]
	ds_read2_b32 v[190:191], v17 offset1:1
	ds_read2_b32 v[194:195], v17 offset0:14 offset1:15
	ds_read2_b32 v[196:197], v17 offset0:12 offset1:13
	;; [unrolled: 1-line block ×7, first 2 shown]
	ds_read2_b32 v[148:149], v22 offset1:1
	ds_read2_b32 v[170:171], v22 offset0:14 offset1:15
	ds_read2_b32 v[172:173], v22 offset0:12 offset1:13
	;; [unrolled: 1-line block ×4, first 2 shown]
	v_add_u32_e32 v22, s19, v87
	ds_read2_b32 v[154:155], v22 offset0:6 offset1:7
	ds_read2_b32 v[156:157], v22 offset0:4 offset1:5
	;; [unrolled: 1-line block ×3, first 2 shown]
	ds_read2_b32 v[144:145], v22 offset1:1
	ds_read2_b32 v[166:167], v22 offset0:14 offset1:15
	ds_read2_b32 v[168:169], v22 offset0:12 offset1:13
	ds_read2_b32 v[178:179], v22 offset0:10 offset1:11
	ds_read2_b32 v[180:181], v22 offset0:8 offset1:9
	v_add_u32_e32 v22, s19, v91
	ds_read2_b32 v[150:151], v22 offset0:6 offset1:7
	ds_read2_b32 v[152:153], v22 offset0:4 offset1:5
	ds_read2_b32 v[138:139], v22 offset0:2 offset1:3
	ds_read2_b32 v[140:141], v22 offset1:1
	ds_read2_b32 v[162:163], v22 offset0:14 offset1:15
	ds_read2_b32 v[164:165], v22 offset0:12 offset1:13
	;; [unrolled: 1-line block ×4, first 2 shown]
	v_mov_b32_e32 v227, 0
	v_mov_b32_e32 v228, 0
	;; [unrolled: 1-line block ×16, first 2 shown]
	s_waitcnt lgkmcnt(14)
	v_dot4c_i32_i8_e32 v227, v196, v12
	v_dot4c_i32_i8_e32 v228, v200, v8
	;; [unrolled: 1-line block ×8, first 2 shown]
	s_waitcnt lgkmcnt(10)
	v_dot4c_i32_i8_e32 v235, v168, v12
	s_waitcnt lgkmcnt(8)
	v_dot4c_i32_i8_e32 v236, v180, v8
	v_dot4c_i32_i8_e32 v237, v156, v4
	;; [unrolled: 1-line block ×3, first 2 shown]
	s_waitcnt lgkmcnt(2)
	v_dot4c_i32_i8_e32 v238, v164, v12
	s_waitcnt lgkmcnt(0)
	v_dot4c_i32_i8_e32 v239, v176, v8
	v_dot4c_i32_i8_e32 v240, v152, v4
	;; [unrolled: 1-line block ×3, first 2 shown]
	s_lshr_b32 s18, s0, 1
	v_dot4c_i32_i8_e32 v227, v197, v13
	v_dot4c_i32_i8_e32 v228, v201, v9
	;; [unrolled: 1-line block ×16, first 2 shown]
	v_or_b32_e32 v0, s1, v69
	s_add_i32 s18, s18, 0xa200
	v_dot4c_i32_i8_e32 v227, v194, v14
	v_dot4c_i32_i8_e32 v228, v198, v10
	;; [unrolled: 1-line block ×16, first 2 shown]
	v_lshlrev_b32_e32 v12, 2, v0
	v_add3_u32 v204, s18, v217, v218
	v_dot4c_i32_i8_e32 v227, v195, v15
	v_dot4c_i32_i8_e32 v228, v199, v11
	;; [unrolled: 1-line block ×16, first 2 shown]
	v_lshrrev_b32_e32 v22, 1, v0
	ds_read_b128 v[0:3], v12 offset:33280
	ds_read_b128 v[4:7], v12 offset:33296
	;; [unrolled: 1-line block ×4, first 2 shown]
	ds_read_b64 v[202:203], v202 offset:43584
	ds_read_b32 v23, v204
	v_mov_b32_e32 v205, 0
	s_waitcnt lgkmcnt(4)
	v_dot4c_i32_i8_e32 v205, v192, v4
	v_mov_b32_e32 v245, 0
	v_mov_b32_e32 v25, 0
	v_dot4c_i32_i8_e32 v205, v193, v5
	v_dot4c_i32_i8_e32 v245, v190, v0
	s_waitcnt lgkmcnt(0)
	v_bfe_i32 v224, v23, 8, 8
	v_bfe_i32 v225, v23, 0, 8
	v_ashrrev_i32_e32 v222, 24, v23
	v_bfe_i32 v223, v23, 16, 8
	ds_read_b64 v[22:23], v22 offset:43584
	v_dot4c_i32_i8_e32 v25, v196, v12
	v_mov_b32_e32 v229, 0
	v_dot4c_i32_i8_e32 v205, v188, v6
	v_dot4c_i32_i8_e32 v245, v191, v1
	;; [unrolled: 1-line block ×9, first 2 shown]
	v_mul_lo_u32 v204, v24, v225
	v_mul_lo_u32 v244, v205, v224
	v_add3_u32 v226, s18, v219, v214
	v_add3_u32 v230, s18, v220, v215
	v_add3_u32 v234, s18, v221, v216
	v_dot4c_i32_i8_e32 v25, v195, v15
	v_dot4c_i32_i8_e32 v229, v198, v10
	v_mad_u64_u32 v[244:245], s[18:19], v245, v225, v[244:245]
	v_mad_u64_u32 v[204:205], s[18:19], v17, v224, v[204:205]
	v_dot4c_i32_i8_e32 v229, v199, v11
	v_cvt_f32_i32_e32 v245, v204
	s_waitcnt lgkmcnt(0)
	v_mov_b32_e32 v204, v22
	v_mov_b32_e32 v205, v202
	v_mul_lo_u32 v22, v228, v223
	v_mul_lo_u32 v202, v25, v222
	v_cvt_f32_i32_e32 v244, v244
	v_mad_u64_u32 v[228:229], s[18:19], v229, v223, v[202:203]
	v_mad_u64_u32 v[246:247], s[18:19], v227, v222, v[22:23]
	v_cvt_f32_i32_e32 v229, v246
	v_cvt_f32_i32_e32 v228, v228
	v_pk_fma_f32 v[244:245], v[204:205], v[244:245], 0 op_sel_hi:[1,1,0]
	v_mov_b32_e32 v202, v23
	v_mov_b32_e32 v25, 0
	v_pk_fma_f32 v[22:23], v[202:203], v[228:229], v[244:245]
	v_mov_b32_e32 v17, 0
	v_pk_fma_f32 v[98:99], v[130:131], v[22:23], v[98:99]
	ds_read_b32 v22, v226
	v_mov_b32_e32 v23, 0
	v_dot4c_i32_i8_e32 v23, v160, v4
	v_dot4c_i32_i8_e32 v23, v161, v5
	;; [unrolled: 1-line block ×4, first 2 shown]
	v_mov_b32_e32 v24, 0
	v_dot4c_i32_i8_e32 v23, v158, v6
	v_dot4c_i32_i8_e32 v25, v149, v1
	v_dot4c_i32_i8_e32 v17, v173, v13
	v_dot4c_i32_i8_e32 v24, v184, v8
	v_dot4c_i32_i8_e32 v23, v159, v7
	v_dot4c_i32_i8_e32 v25, v146, v2
	s_waitcnt lgkmcnt(0)
	v_bfe_i32 v228, v22, 8, 8
	v_bfe_i32 v229, v22, 0, 8
	v_dot4c_i32_i8_e32 v17, v170, v14
	v_dot4c_i32_i8_e32 v24, v185, v9
	;; [unrolled: 1-line block ×3, first 2 shown]
	v_ashrrev_i32_e32 v226, 24, v22
	v_bfe_i32 v227, v22, 16, 8
	v_mul_lo_u32 v22, v243, v229
	v_mul_lo_u32 v244, v23, v228
	v_dot4c_i32_i8_e32 v17, v171, v15
	v_dot4c_i32_i8_e32 v24, v182, v10
	v_mad_u64_u32 v[244:245], s[18:19], v25, v229, v[244:245]
	v_mad_u64_u32 v[22:23], s[18:19], v233, v228, v[22:23]
	v_dot4c_i32_i8_e32 v24, v183, v11
	v_cvt_f32_i32_e32 v23, v22
	v_cvt_f32_i32_e32 v22, v244
	v_mul_lo_u32 v232, v232, v227
	v_mul_lo_u32 v244, v17, v226
	v_mad_u64_u32 v[244:245], s[18:19], v24, v227, v[244:245]
	v_mad_u64_u32 v[232:233], s[18:19], v231, v226, v[232:233]
	v_cvt_f32_i32_e32 v233, v232
	v_cvt_f32_i32_e32 v232, v244
	v_pk_fma_f32 v[22:23], v[204:205], v[22:23], 0 op_sel_hi:[1,1,0]
	v_mov_b32_e32 v25, 0
	v_mov_b32_e32 v17, 0
	v_pk_fma_f32 v[22:23], v[202:203], v[232:233], v[22:23]
	v_dot4c_i32_i8_e32 v25, v144, v0
	v_pk_fma_f32 v[118:119], v[132:133], v[22:23], v[118:119]
	ds_read_b32 v22, v230
	v_mov_b32_e32 v23, 0
	v_dot4c_i32_i8_e32 v23, v156, v4
	v_dot4c_i32_i8_e32 v23, v157, v5
	;; [unrolled: 1-line block ×8, first 2 shown]
	s_waitcnt lgkmcnt(0)
	v_bfe_i32 v232, v22, 8, 8
	v_bfe_i32 v233, v22, 0, 8
	v_dot4c_i32_i8_e32 v17, v166, v14
	v_dot4c_i32_i8_e32 v25, v143, v3
	v_ashrrev_i32_e32 v230, 24, v22
	v_bfe_i32 v231, v22, 16, 8
	v_mul_lo_u32 v22, v242, v233
	v_mul_lo_u32 v242, v23, v232
	v_dot4c_i32_i8_e32 v17, v167, v15
	v_mov_b32_e32 v24, 0
	v_mad_u64_u32 v[242:243], s[18:19], v25, v233, v[242:243]
	v_mad_u64_u32 v[22:23], s[18:19], v237, v232, v[22:23]
	v_dot4c_i32_i8_e32 v24, v180, v8
	v_cvt_f32_i32_e32 v23, v22
	v_cvt_f32_i32_e32 v22, v242
	v_mul_lo_u32 v242, v17, v230
	v_mov_b32_e32 v17, 0
	v_dot4c_i32_i8_e32 v24, v181, v9
	v_dot4c_i32_i8_e32 v17, v164, v12
	v_mov_b32_e32 v12, 0
	v_dot4c_i32_i8_e32 v24, v178, v10
	v_dot4c_i32_i8_e32 v12, v176, v8
	v_mov_b32_e32 v8, 0
	v_dot4c_i32_i8_e32 v24, v179, v11
	v_mul_lo_u32 v236, v236, v231
	v_dot4c_i32_i8_e32 v8, v152, v4
	v_mov_b32_e32 v4, 0
	v_mad_u64_u32 v[242:243], s[18:19], v24, v231, v[242:243]
	v_mad_u64_u32 v[236:237], s[18:19], v235, v230, v[236:237]
	v_dot4c_i32_i8_e32 v4, v140, v0
	ds_read_b32 v0, v234
	v_cvt_f32_i32_e32 v237, v236
	v_cvt_f32_i32_e32 v236, v242
	v_dot4c_i32_i8_e32 v8, v153, v5
	v_pk_fma_f32 v[22:23], v[204:205], v[22:23], 0 op_sel_hi:[1,1,0]
	v_dot4c_i32_i8_e32 v8, v150, v6
	v_dot4c_i32_i8_e32 v4, v141, v1
	v_pk_fma_f32 v[22:23], v[202:203], v[236:237], v[22:23]
	v_dot4c_i32_i8_e32 v17, v165, v13
	v_dot4c_i32_i8_e32 v8, v151, v7
	;; [unrolled: 1-line block ×3, first 2 shown]
	s_waitcnt lgkmcnt(0)
	v_bfe_i32 v236, v0, 8, 8
	v_bfe_i32 v237, v0, 0, 8
	v_dot4c_i32_i8_e32 v17, v162, v14
	v_dot4c_i32_i8_e32 v12, v177, v9
	;; [unrolled: 1-line block ×3, first 2 shown]
	v_ashrrev_i32_e32 v234, 24, v0
	v_bfe_i32 v235, v0, 16, 8
	v_mul_lo_u32 v0, v241, v237
	v_mul_lo_u32 v2, v8, v236
	v_dot4c_i32_i8_e32 v17, v163, v15
	v_dot4c_i32_i8_e32 v12, v174, v10
	v_mad_u64_u32 v[2:3], s[18:19], v4, v237, v[2:3]
	v_mad_u64_u32 v[0:1], s[18:19], v240, v236, v[0:1]
	v_dot4c_i32_i8_e32 v12, v175, v11
	v_cvt_f32_i32_e32 v1, v0
	v_cvt_f32_i32_e32 v0, v2
	v_mul_lo_u32 v2, v239, v235
	v_mul_lo_u32 v4, v17, v234
	v_mad_u64_u32 v[4:5], s[18:19], v12, v235, v[4:5]
	v_mad_u64_u32 v[2:3], s[18:19], v238, v234, v[2:3]
	v_cvt_f32_i32_e32 v3, v2
	v_cvt_f32_i32_e32 v2, v4
	v_pk_fma_f32 v[0:1], v[204:205], v[0:1], 0 op_sel_hi:[1,1,0]
	v_mov_b32_e32 v17, 0
	v_mov_b32_e32 v24, 0
	v_pk_fma_f32 v[0:1], v[202:203], v[2:3], v[0:1]
	v_mov_b32_e32 v25, 0
	v_pk_fma_f32 v[128:129], v[136:137], v[0:1], v[128:129]
	v_or_b32_e32 v0, s1, v71
	v_lshlrev_b32_e32 v12, 2, v0
	v_lshrrev_b32_e32 v202, 1, v0
	ds_read_b128 v[0:3], v12 offset:33280
	ds_read_b128 v[4:7], v12 offset:33296
	;; [unrolled: 1-line block ×4, first 2 shown]
	v_mov_b32_e32 v204, 0
	v_mov_b32_e32 v245, 0
	;; [unrolled: 1-line block ×13, first 2 shown]
	s_waitcnt lgkmcnt(0)
	v_dot4c_i32_i8_e32 v17, v196, v12
	v_dot4c_i32_i8_e32 v24, v200, v8
	;; [unrolled: 1-line block ×32, first 2 shown]
	v_or_b32_e32 v0, s1, v73
	v_dot4c_i32_i8_e32 v17, v194, v14
	v_dot4c_i32_i8_e32 v24, v198, v10
	v_dot4c_i32_i8_e32 v25, v188, v6
	v_dot4c_i32_i8_e32 v204, v186, v2
	v_dot4c_i32_i8_e32 v245, v170, v14
	v_dot4c_i32_i8_e32 v252, v182, v10
	v_dot4c_i32_i8_e32 v253, v158, v6
	v_dot4c_i32_i8_e32 v254, v146, v2
	v_dot4c_i32_i8_e32 v241, v166, v14
	v_dot4c_i32_i8_e32 v243, v178, v10
	v_dot4c_i32_i8_e32 v244, v154, v6
	v_dot4c_i32_i8_e32 v255, v142, v2
	v_dot4c_i32_i8_e32 v238, v162, v14
	v_dot4c_i32_i8_e32 v239, v174, v10
	v_dot4c_i32_i8_e32 v240, v150, v6
	v_dot4c_i32_i8_e32 v242, v138, v2
	v_lshlrev_b32_e32 v12, 2, v0
	v_pk_fma_f32 v[124:125], v[134:135], v[22:23], v[124:125]
	v_dot4c_i32_i8_e32 v17, v195, v15
	v_dot4c_i32_i8_e32 v24, v199, v11
	;; [unrolled: 1-line block ×16, first 2 shown]
	v_lshrrev_b32_e32 v22, 1, v0
	ds_read_b128 v[0:3], v12 offset:33280
	ds_read_b128 v[4:7], v12 offset:33296
	;; [unrolled: 1-line block ×4, first 2 shown]
	v_mov_b32_e32 v205, 0
	v_mov_b32_e32 v247, 0
	s_waitcnt lgkmcnt(2)
	v_dot4c_i32_i8_e32 v205, v192, v4
	v_mov_b32_e32 v248, 0
	v_dot4c_i32_i8_e32 v205, v193, v5
	v_dot4c_i32_i8_e32 v247, v190, v0
	ds_read_b64 v[202:203], v202 offset:43584
	ds_read_b64 v[22:23], v22 offset:43584
	s_waitcnt lgkmcnt(2)
	v_dot4c_i32_i8_e32 v248, v196, v12
	v_mov_b32_e32 v249, 0
	v_dot4c_i32_i8_e32 v205, v188, v6
	v_dot4c_i32_i8_e32 v247, v191, v1
	;; [unrolled: 1-line block ×9, first 2 shown]
	v_mul_lo_u32 v204, v204, v225
	v_mul_lo_u32 v246, v205, v224
	v_dot4c_i32_i8_e32 v248, v195, v15
	v_dot4c_i32_i8_e32 v249, v198, v10
	v_mad_u64_u32 v[246:247], s[18:19], v247, v225, v[246:247]
	v_mad_u64_u32 v[204:205], s[18:19], v25, v224, v[204:205]
	v_dot4c_i32_i8_e32 v249, v199, v11
	v_cvt_f32_i32_e32 v247, v204
	s_waitcnt lgkmcnt(0)
	v_mov_b32_e32 v204, v22
	v_mov_b32_e32 v205, v202
	v_mul_lo_u32 v22, v24, v223
	v_mul_lo_u32 v202, v248, v222
	v_cvt_f32_i32_e32 v246, v246
	v_mad_u64_u32 v[248:249], s[18:19], v249, v223, v[202:203]
	v_mad_u64_u32 v[250:251], s[18:19], v17, v222, v[22:23]
	v_cvt_f32_i32_e32 v249, v250
	v_cvt_f32_i32_e32 v248, v248
	v_pk_fma_f32 v[246:247], v[204:205], v[246:247], 0 op_sel_hi:[1,1,0]
	v_mov_b32_e32 v202, v23
	v_mov_b32_e32 v25, 0
	v_pk_fma_f32 v[22:23], v[202:203], v[248:249], v[246:247]
	v_mov_b32_e32 v17, 0
	v_pk_fma_f32 v[106:107], v[130:131], v[22:23], v[106:107]
	v_mov_b32_e32 v23, 0
	v_dot4c_i32_i8_e32 v23, v160, v4
	v_dot4c_i32_i8_e32 v23, v161, v5
	;; [unrolled: 1-line block ×4, first 2 shown]
	v_mov_b32_e32 v24, 0
	v_dot4c_i32_i8_e32 v23, v158, v6
	v_dot4c_i32_i8_e32 v25, v149, v1
	v_dot4c_i32_i8_e32 v17, v173, v13
	v_dot4c_i32_i8_e32 v24, v184, v8
	v_dot4c_i32_i8_e32 v23, v159, v7
	v_dot4c_i32_i8_e32 v25, v146, v2
	v_dot4c_i32_i8_e32 v17, v170, v14
	v_dot4c_i32_i8_e32 v24, v185, v9
	v_dot4c_i32_i8_e32 v25, v147, v3
	v_mul_lo_u32 v22, v254, v229
	v_mul_lo_u32 v246, v23, v228
	v_dot4c_i32_i8_e32 v17, v171, v15
	v_dot4c_i32_i8_e32 v24, v182, v10
	v_mad_u64_u32 v[246:247], s[18:19], v25, v229, v[246:247]
	v_mad_u64_u32 v[22:23], s[18:19], v253, v228, v[22:23]
	v_dot4c_i32_i8_e32 v24, v183, v11
	v_cvt_f32_i32_e32 v23, v22
	v_cvt_f32_i32_e32 v22, v246
	v_mul_lo_u32 v246, v252, v227
	v_mul_lo_u32 v248, v17, v226
	v_mad_u64_u32 v[248:249], s[18:19], v24, v227, v[248:249]
	v_mad_u64_u32 v[246:247], s[18:19], v245, v226, v[246:247]
	v_cvt_f32_i32_e32 v247, v246
	v_cvt_f32_i32_e32 v246, v248
	v_pk_fma_f32 v[22:23], v[204:205], v[22:23], 0 op_sel_hi:[1,1,0]
	v_mov_b32_e32 v25, 0
	v_mov_b32_e32 v17, 0
	v_pk_fma_f32 v[22:23], v[202:203], v[246:247], v[22:23]
	v_dot4c_i32_i8_e32 v25, v144, v0
	v_pk_fma_f32 v[112:113], v[132:133], v[22:23], v[112:113]
	v_mov_b32_e32 v23, 0
	v_dot4c_i32_i8_e32 v23, v156, v4
	v_dot4c_i32_i8_e32 v23, v157, v5
	;; [unrolled: 1-line block ×10, first 2 shown]
	v_mul_lo_u32 v22, v255, v233
	v_mul_lo_u32 v246, v23, v232
	v_dot4c_i32_i8_e32 v17, v167, v15
	v_mad_u64_u32 v[246:247], s[18:19], v25, v233, v[246:247]
	v_mad_u64_u32 v[22:23], s[18:19], v244, v232, v[22:23]
	v_cvt_f32_i32_e32 v23, v22
	v_cvt_f32_i32_e32 v22, v246
	v_mul_lo_u32 v246, v17, v230
	v_mov_b32_e32 v17, 0
	v_mov_b32_e32 v24, 0
	v_dot4c_i32_i8_e32 v17, v164, v12
	v_mov_b32_e32 v12, 0
	v_dot4c_i32_i8_e32 v24, v180, v8
	v_dot4c_i32_i8_e32 v12, v176, v8
	v_mov_b32_e32 v8, 0
	v_dot4c_i32_i8_e32 v8, v152, v4
	v_mov_b32_e32 v4, 0
	v_dot4c_i32_i8_e32 v8, v153, v5
	v_dot4c_i32_i8_e32 v4, v140, v0
	;; [unrolled: 1-line block ×10, first 2 shown]
	v_mul_lo_u32 v0, v242, v237
	v_mul_lo_u32 v2, v8, v236
	v_dot4c_i32_i8_e32 v17, v163, v15
	v_dot4c_i32_i8_e32 v12, v174, v10
	v_mad_u64_u32 v[2:3], s[18:19], v4, v237, v[2:3]
	v_mad_u64_u32 v[0:1], s[18:19], v240, v236, v[0:1]
	v_dot4c_i32_i8_e32 v12, v175, v11
	v_cvt_f32_i32_e32 v1, v0
	v_cvt_f32_i32_e32 v0, v2
	v_mul_lo_u32 v2, v239, v235
	v_mul_lo_u32 v4, v17, v234
	v_mad_u64_u32 v[4:5], s[18:19], v12, v235, v[4:5]
	v_mad_u64_u32 v[2:3], s[18:19], v238, v234, v[2:3]
	v_cvt_f32_i32_e32 v3, v2
	v_cvt_f32_i32_e32 v2, v4
	v_dot4c_i32_i8_e32 v24, v181, v9
	v_pk_fma_f32 v[0:1], v[204:205], v[0:1], 0 op_sel_hi:[1,1,0]
	v_dot4c_i32_i8_e32 v24, v178, v10
	v_pk_fma_f32 v[0:1], v[202:203], v[2:3], v[0:1]
	v_dot4c_i32_i8_e32 v24, v179, v11
	v_mul_lo_u32 v244, v243, v231
	v_pk_fma_f32 v[126:127], v[136:137], v[0:1], v[126:127]
	v_or_b32_e32 v0, s1, v75
	v_mad_u64_u32 v[246:247], s[18:19], v24, v231, v[246:247]
	v_mad_u64_u32 v[244:245], s[18:19], v241, v230, v[244:245]
	v_lshlrev_b32_e32 v12, 2, v0
	v_cvt_f32_i32_e32 v245, v244
	v_cvt_f32_i32_e32 v244, v246
	v_lshrrev_b32_e32 v17, 1, v0
	ds_read_b128 v[0:3], v12 offset:33280
	ds_read_b128 v[4:7], v12 offset:33296
	;; [unrolled: 1-line block ×4, first 2 shown]
	v_pk_fma_f32 v[22:23], v[204:205], v[22:23], 0 op_sel_hi:[1,1,0]
	v_mov_b32_e32 v24, 0
	v_pk_fma_f32 v[22:23], v[202:203], v[244:245], v[22:23]
	v_mov_b32_e32 v25, 0
	v_mov_b32_e32 v205, 0
	;; [unrolled: 1-line block ×15, first 2 shown]
	s_waitcnt lgkmcnt(0)
	v_dot4c_i32_i8_e32 v24, v196, v12
	v_dot4c_i32_i8_e32 v25, v200, v8
	;; [unrolled: 1-line block ×32, first 2 shown]
	v_or_b32_e32 v0, s1, v77
	v_dot4c_i32_i8_e32 v24, v194, v14
	v_dot4c_i32_i8_e32 v25, v198, v10
	;; [unrolled: 1-line block ×16, first 2 shown]
	v_lshlrev_b32_e32 v12, 2, v0
	v_pk_fma_f32 v[120:121], v[134:135], v[22:23], v[120:121]
	v_dot4c_i32_i8_e32 v24, v195, v15
	v_dot4c_i32_i8_e32 v25, v199, v11
	;; [unrolled: 1-line block ×16, first 2 shown]
	v_lshrrev_b32_e32 v22, 1, v0
	ds_read_b128 v[0:3], v12 offset:33280
	ds_read_b128 v[4:7], v12 offset:33296
	;; [unrolled: 1-line block ×4, first 2 shown]
	v_mov_b32_e32 v246, 0
	v_mov_b32_e32 v247, 0
	s_waitcnt lgkmcnt(2)
	v_dot4c_i32_i8_e32 v246, v192, v4
	v_mov_b32_e32 v248, 0
	v_dot4c_i32_i8_e32 v246, v193, v5
	v_dot4c_i32_i8_e32 v247, v190, v0
	ds_read_b64 v[202:203], v17 offset:43584
	ds_read_b64 v[22:23], v22 offset:43584
	s_waitcnt lgkmcnt(2)
	v_dot4c_i32_i8_e32 v248, v196, v12
	v_mov_b32_e32 v249, 0
	v_dot4c_i32_i8_e32 v246, v188, v6
	v_dot4c_i32_i8_e32 v247, v191, v1
	v_dot4c_i32_i8_e32 v248, v197, v13
	v_dot4c_i32_i8_e32 v249, v200, v8
	v_dot4c_i32_i8_e32 v246, v189, v7
	v_dot4c_i32_i8_e32 v247, v186, v2
	v_dot4c_i32_i8_e32 v248, v194, v14
	v_dot4c_i32_i8_e32 v249, v201, v9
	v_dot4c_i32_i8_e32 v247, v187, v3
	v_mul_lo_u32 v204, v204, v225
	v_mul_lo_u32 v246, v246, v224
	v_dot4c_i32_i8_e32 v248, v195, v15
	v_dot4c_i32_i8_e32 v249, v198, v10
	v_mad_u64_u32 v[246:247], s[18:19], v247, v225, v[246:247]
	v_mad_u64_u32 v[204:205], s[18:19], v205, v224, v[204:205]
	v_dot4c_i32_i8_e32 v249, v199, v11
	v_cvt_f32_i32_e32 v247, v204
	s_waitcnt lgkmcnt(0)
	v_mov_b32_e32 v204, v22
	v_mov_b32_e32 v205, v202
	v_mul_lo_u32 v22, v25, v223
	v_mul_lo_u32 v202, v248, v222
	v_cvt_f32_i32_e32 v246, v246
	v_mad_u64_u32 v[248:249], s[18:19], v249, v223, v[202:203]
	v_mad_u64_u32 v[250:251], s[18:19], v24, v222, v[22:23]
	v_cvt_f32_i32_e32 v249, v250
	v_cvt_f32_i32_e32 v248, v248
	v_pk_fma_f32 v[246:247], v[204:205], v[246:247], 0 op_sel_hi:[1,1,0]
	v_mov_b32_e32 v202, v23
	v_mov_b32_e32 v25, 0
	v_pk_fma_f32 v[22:23], v[202:203], v[248:249], v[246:247]
	v_mov_b32_e32 v17, 0
	v_pk_fma_f32 v[102:103], v[130:131], v[22:23], v[102:103]
	v_mov_b32_e32 v23, 0
	v_dot4c_i32_i8_e32 v23, v160, v4
	v_dot4c_i32_i8_e32 v23, v161, v5
	;; [unrolled: 1-line block ×4, first 2 shown]
	v_mov_b32_e32 v24, 0
	v_dot4c_i32_i8_e32 v23, v158, v6
	v_dot4c_i32_i8_e32 v25, v149, v1
	;; [unrolled: 1-line block ×9, first 2 shown]
	v_mul_lo_u32 v22, v254, v229
	v_mul_lo_u32 v246, v23, v228
	v_dot4c_i32_i8_e32 v17, v171, v15
	v_dot4c_i32_i8_e32 v24, v182, v10
	v_mad_u64_u32 v[246:247], s[18:19], v25, v229, v[246:247]
	v_mad_u64_u32 v[22:23], s[18:19], v253, v228, v[22:23]
	v_dot4c_i32_i8_e32 v24, v183, v11
	v_cvt_f32_i32_e32 v23, v22
	v_cvt_f32_i32_e32 v22, v246
	v_mul_lo_u32 v246, v252, v227
	v_mul_lo_u32 v248, v17, v226
	v_mad_u64_u32 v[248:249], s[18:19], v24, v227, v[248:249]
	v_mad_u64_u32 v[246:247], s[18:19], v245, v226, v[246:247]
	v_cvt_f32_i32_e32 v247, v246
	v_cvt_f32_i32_e32 v246, v248
	v_pk_fma_f32 v[22:23], v[204:205], v[22:23], 0 op_sel_hi:[1,1,0]
	v_mov_b32_e32 v25, 0
	v_mov_b32_e32 v17, 0
	v_pk_fma_f32 v[22:23], v[202:203], v[246:247], v[22:23]
	v_dot4c_i32_i8_e32 v25, v144, v0
	v_pk_fma_f32 v[108:109], v[132:133], v[22:23], v[108:109]
	v_mov_b32_e32 v23, 0
	v_dot4c_i32_i8_e32 v23, v156, v4
	v_dot4c_i32_i8_e32 v23, v157, v5
	;; [unrolled: 1-line block ×10, first 2 shown]
	v_mul_lo_u32 v22, v255, v233
	v_mul_lo_u32 v246, v23, v232
	v_dot4c_i32_i8_e32 v17, v167, v15
	v_mad_u64_u32 v[246:247], s[18:19], v25, v233, v[246:247]
	v_mad_u64_u32 v[22:23], s[18:19], v244, v232, v[22:23]
	v_cvt_f32_i32_e32 v23, v22
	v_cvt_f32_i32_e32 v22, v246
	v_mul_lo_u32 v246, v17, v230
	v_mov_b32_e32 v17, 0
	v_mov_b32_e32 v24, 0
	v_dot4c_i32_i8_e32 v17, v164, v12
	v_mov_b32_e32 v12, 0
	v_dot4c_i32_i8_e32 v24, v180, v8
	v_dot4c_i32_i8_e32 v12, v176, v8
	v_mov_b32_e32 v8, 0
	v_dot4c_i32_i8_e32 v8, v152, v4
	v_mov_b32_e32 v4, 0
	v_dot4c_i32_i8_e32 v8, v153, v5
	v_dot4c_i32_i8_e32 v4, v140, v0
	;; [unrolled: 1-line block ×10, first 2 shown]
	v_mul_lo_u32 v0, v242, v237
	v_mul_lo_u32 v2, v8, v236
	v_dot4c_i32_i8_e32 v17, v163, v15
	v_dot4c_i32_i8_e32 v12, v174, v10
	v_mad_u64_u32 v[2:3], s[18:19], v4, v237, v[2:3]
	v_mad_u64_u32 v[0:1], s[18:19], v240, v236, v[0:1]
	v_dot4c_i32_i8_e32 v12, v175, v11
	v_cvt_f32_i32_e32 v1, v0
	v_cvt_f32_i32_e32 v0, v2
	v_mul_lo_u32 v2, v239, v235
	v_mul_lo_u32 v4, v17, v234
	v_mad_u64_u32 v[4:5], s[18:19], v12, v235, v[4:5]
	v_mad_u64_u32 v[2:3], s[18:19], v238, v234, v[2:3]
	v_cvt_f32_i32_e32 v3, v2
	v_cvt_f32_i32_e32 v2, v4
	v_dot4c_i32_i8_e32 v24, v181, v9
	v_pk_fma_f32 v[0:1], v[204:205], v[0:1], 0 op_sel_hi:[1,1,0]
	v_dot4c_i32_i8_e32 v24, v178, v10
	v_pk_fma_f32 v[0:1], v[202:203], v[2:3], v[0:1]
	v_dot4c_i32_i8_e32 v24, v179, v11
	v_mul_lo_u32 v244, v243, v231
	v_pk_fma_f32 v[122:123], v[136:137], v[0:1], v[122:123]
	v_or_b32_e32 v0, s1, v79
	v_mad_u64_u32 v[246:247], s[18:19], v24, v231, v[246:247]
	v_mad_u64_u32 v[244:245], s[18:19], v241, v230, v[244:245]
	v_lshlrev_b32_e32 v12, 2, v0
	v_cvt_f32_i32_e32 v245, v244
	v_cvt_f32_i32_e32 v244, v246
	v_lshrrev_b32_e32 v246, 1, v0
	ds_read_b128 v[0:3], v12 offset:33280
	ds_read_b128 v[4:7], v12 offset:33296
	;; [unrolled: 1-line block ×4, first 2 shown]
	v_pk_fma_f32 v[22:23], v[204:205], v[22:23], 0 op_sel_hi:[1,1,0]
	v_mov_b32_e32 v247, 0
	v_pk_fma_f32 v[22:23], v[202:203], v[244:245], v[22:23]
	v_mov_b32_e32 v244, 0
	v_mov_b32_e32 v245, 0
	;; [unrolled: 1-line block ×15, first 2 shown]
	s_waitcnt lgkmcnt(0)
	v_dot4c_i32_i8_e32 v244, v196, v12
	v_dot4c_i32_i8_e32 v245, v200, v8
	;; [unrolled: 1-line block ×32, first 2 shown]
	v_or_b32_e32 v0, s1, v81
	v_dot4c_i32_i8_e32 v244, v194, v14
	v_dot4c_i32_i8_e32 v245, v198, v10
	;; [unrolled: 1-line block ×16, first 2 shown]
	v_lshlrev_b32_e32 v12, 2, v0
	v_dot4c_i32_i8_e32 v244, v195, v15
	v_dot4c_i32_i8_e32 v245, v199, v11
	;; [unrolled: 1-line block ×16, first 2 shown]
	v_lshrrev_b32_e32 v17, 1, v0
	ds_read_b128 v[0:3], v12 offset:33280
	ds_read_b128 v[4:7], v12 offset:33296
	;; [unrolled: 1-line block ×4, first 2 shown]
	v_mov_b32_e32 v24, 0
	v_pk_fma_f32 v[114:115], v[134:135], v[22:23], v[114:115]
	v_mov_b32_e32 v25, 0
	s_waitcnt lgkmcnt(1)
	v_dot4c_i32_i8_e32 v25, v200, v8
	s_waitcnt lgkmcnt(0)
	v_dot4c_i32_i8_e32 v24, v196, v12
	v_dot4c_i32_i8_e32 v24, v197, v13
	;; [unrolled: 1-line block ×3, first 2 shown]
	v_mov_b32_e32 v194, 0
	v_dot4c_i32_i8_e32 v194, v192, v4
	v_dot4c_i32_i8_e32 v194, v193, v5
	;; [unrolled: 1-line block ×4, first 2 shown]
	v_mov_b32_e32 v189, 0
	v_dot4c_i32_i8_e32 v189, v190, v0
	v_dot4c_i32_i8_e32 v189, v191, v1
	;; [unrolled: 1-line block ×4, first 2 shown]
	ds_read_b64 v[186:187], v246 offset:43584
	ds_read_b64 v[22:23], v17 offset:43584
	v_dot4c_i32_i8_e32 v25, v201, v9
	v_mul_lo_u32 v188, v248, v225
	v_mul_lo_u32 v190, v194, v224
	v_dot4c_i32_i8_e32 v24, v195, v15
	v_dot4c_i32_i8_e32 v25, v198, v10
	v_mad_u64_u32 v[190:191], s[18:19], v189, v225, v[190:191]
	v_mad_u64_u32 v[188:189], s[18:19], v247, v224, v[188:189]
	v_dot4c_i32_i8_e32 v25, v199, v11
	v_cvt_f32_i32_e32 v191, v188
	s_waitcnt lgkmcnt(0)
	v_mov_b32_e32 v188, v22
	v_mov_b32_e32 v189, v186
	v_mul_lo_u32 v22, v245, v223
	v_mul_lo_u32 v186, v24, v222
	v_cvt_f32_i32_e32 v190, v190
	v_mad_u64_u32 v[192:193], s[18:19], v25, v223, v[186:187]
	v_mad_u64_u32 v[194:195], s[18:19], v244, v222, v[22:23]
	v_cvt_f32_i32_e32 v193, v194
	v_cvt_f32_i32_e32 v192, v192
	v_pk_fma_f32 v[190:191], v[188:189], v[190:191], 0 op_sel_hi:[1,1,0]
	v_mov_b32_e32 v186, v23
	v_mov_b32_e32 v25, 0
	v_pk_fma_f32 v[22:23], v[186:187], v[192:193], v[190:191]
	v_mov_b32_e32 v17, 0
	v_pk_fma_f32 v[100:101], v[130:131], v[22:23], v[100:101]
	v_mov_b32_e32 v23, 0
	v_dot4c_i32_i8_e32 v23, v160, v4
	v_dot4c_i32_i8_e32 v23, v161, v5
	;; [unrolled: 1-line block ×4, first 2 shown]
	v_mov_b32_e32 v24, 0
	v_dot4c_i32_i8_e32 v23, v158, v6
	v_dot4c_i32_i8_e32 v25, v149, v1
	;; [unrolled: 1-line block ×9, first 2 shown]
	v_mul_lo_u32 v22, v243, v229
	v_mul_lo_u32 v146, v23, v228
	v_dot4c_i32_i8_e32 v17, v171, v15
	v_dot4c_i32_i8_e32 v24, v182, v10
	v_mad_u64_u32 v[146:147], s[18:19], v25, v229, v[146:147]
	v_mad_u64_u32 v[22:23], s[18:19], v242, v228, v[22:23]
	v_dot4c_i32_i8_e32 v24, v183, v11
	v_cvt_f32_i32_e32 v23, v22
	v_cvt_f32_i32_e32 v22, v146
	v_mul_lo_u32 v146, v241, v227
	v_mul_lo_u32 v148, v17, v226
	v_mov_b32_e32 v17, 0
	v_mad_u64_u32 v[148:149], s[18:19], v24, v227, v[148:149]
	v_mad_u64_u32 v[146:147], s[18:19], v238, v226, v[146:147]
	v_dot4c_i32_i8_e32 v17, v168, v12
	v_cvt_f32_i32_e32 v147, v146
	v_cvt_f32_i32_e32 v146, v148
	v_dot4c_i32_i8_e32 v17, v169, v13
	v_dot4c_i32_i8_e32 v17, v166, v14
	;; [unrolled: 1-line block ×3, first 2 shown]
	v_mov_b32_e32 v25, 0
	v_pk_fma_f32 v[22:23], v[188:189], v[22:23], 0 op_sel_hi:[1,1,0]
	v_dot4c_i32_i8_e32 v25, v144, v0
	v_mul_lo_u32 v144, v17, v230
	v_mov_b32_e32 v17, 0
	v_pk_fma_f32 v[22:23], v[186:187], v[146:147], v[22:23]
	v_mov_b32_e32 v24, 0
	v_dot4c_i32_i8_e32 v17, v164, v12
	v_mov_b32_e32 v12, 0
	v_pk_fma_f32 v[104:105], v[132:133], v[22:23], v[104:105]
	v_dot4c_i32_i8_e32 v24, v180, v8
	v_mov_b32_e32 v23, 0
	v_dot4c_i32_i8_e32 v12, v176, v8
	v_mov_b32_e32 v8, 0
	v_dot4c_i32_i8_e32 v23, v156, v4
	v_dot4c_i32_i8_e32 v8, v152, v4
	v_mov_b32_e32 v4, 0
	v_dot4c_i32_i8_e32 v23, v157, v5
	v_dot4c_i32_i8_e32 v8, v153, v5
	;; [unrolled: 1-line block ×14, first 2 shown]
	v_mul_lo_u32 v22, v240, v233
	v_mul_lo_u32 v142, v23, v232
	v_dot4c_i32_i8_e32 v17, v162, v14
	v_dot4c_i32_i8_e32 v12, v177, v9
	v_dot4c_i32_i8_e32 v4, v139, v3
	v_mul_lo_u32 v0, v250, v237
	v_mul_lo_u32 v2, v8, v236
	v_dot4c_i32_i8_e32 v24, v178, v10
	v_mad_u64_u32 v[142:143], s[18:19], v25, v233, v[142:143]
	v_mad_u64_u32 v[22:23], s[18:19], v239, v232, v[22:23]
	v_dot4c_i32_i8_e32 v17, v163, v15
	v_dot4c_i32_i8_e32 v12, v174, v10
	v_mad_u64_u32 v[2:3], s[18:19], v4, v237, v[2:3]
	v_mad_u64_u32 v[0:1], s[18:19], v249, v236, v[0:1]
	v_dot4c_i32_i8_e32 v24, v179, v11
	v_cvt_f32_i32_e32 v23, v22
	v_cvt_f32_i32_e32 v22, v142
	v_mul_lo_u32 v142, v205, v231
	v_dot4c_i32_i8_e32 v12, v175, v11
	v_cvt_f32_i32_e32 v1, v0
	v_cvt_f32_i32_e32 v0, v2
	v_mul_lo_u32 v2, v203, v235
	v_mul_lo_u32 v4, v17, v234
	v_mad_u64_u32 v[144:145], s[18:19], v24, v231, v[144:145]
	v_mad_u64_u32 v[142:143], s[18:19], v204, v230, v[142:143]
	;; [unrolled: 1-line block ×4, first 2 shown]
	v_cvt_f32_i32_e32 v143, v142
	v_cvt_f32_i32_e32 v142, v144
	;; [unrolled: 1-line block ×4, first 2 shown]
	v_pk_fma_f32 v[22:23], v[188:189], v[22:23], 0 op_sel_hi:[1,1,0]
	v_pk_fma_f32 v[0:1], v[188:189], v[0:1], 0 op_sel_hi:[1,1,0]
	v_pk_fma_f32 v[22:23], v[186:187], v[142:143], v[22:23]
	v_pk_fma_f32 v[0:1], v[186:187], v[2:3], v[0:1]
	s_add_i32 s1, s0, 8
	v_pk_fma_f32 v[110:111], v[134:135], v[22:23], v[110:111]
	v_pk_fma_f32 v[116:117], v[136:137], v[0:1], v[116:117]
	s_cmp_lt_u32 s0, 24
	s_mov_b32 s0, s1
	s_cbranch_scc1 .LBB156_8
; %bb.9:                                ;   in Loop: Header=BB156_5 Depth=1
	s_add_i32 s7, s7, 1
	s_cmp_eq_u32 s7, s4
	s_barrier
	s_cbranch_scc0 .LBB156_5
; %bb.10:
	scratch_load_dword v5, off, off offset:20 ; 4-byte Folded Reload
	scratch_load_dword v6, off, off offset:16 ; 4-byte Folded Reload
	;; [unrolled: 1-line block ×3, first 2 shown]
	v_cvt_pk_f16_f32 v21, v98, v99
	v_cvt_pk_f16_f32 v20, v118, v119
	;; [unrolled: 1-line block ×16, first 2 shown]
.LBB156_11:
	s_waitcnt vmcnt(0)
	v_cmp_gt_u32_e32 vcc, s10, v7
	s_and_saveexec_b64 s[0:1], vcc
	s_cbranch_execz .LBB156_62
; %bb.12:
	v_add_u32_e32 v0, s6, v6
	v_mul_lo_u32 v17, v7, s14
	v_cmp_gt_u32_e32 vcc, s14, v0
	s_and_saveexec_b64 s[0:1], vcc
	s_cbranch_execz .LBB156_14
; %bb.13:
	v_add_u32_e32 v6, v0, v17
	v_mov_b32_e32 v7, 0
	s_waitcnt lgkmcnt(0)
	v_lshl_add_u64 v[6:7], v[6:7], 1, s[12:13]
	global_store_short_d16_hi v[6:7], v21, off
.LBB156_14:
	s_or_b64 exec, exec, s[0:1]
	v_add_u32_e32 v6, 32, v0
	v_cmp_gt_u32_e64 s[0:1], s14, v6
	s_and_saveexec_b64 s[2:3], s[0:1]
	s_cbranch_execz .LBB156_16
; %bb.15:
	v_add_u32_e32 v22, v6, v17
	v_mov_b32_e32 v23, 0
	s_waitcnt lgkmcnt(0)
	v_lshl_add_u64 v[22:23], v[22:23], 1, s[12:13]
	global_store_short_d16_hi v[22:23], v20, off
.LBB156_16:
	s_or_b64 exec, exec, s[2:3]
	v_add_u32_e32 v7, 64, v0
	v_cmp_gt_u32_e64 s[2:3], s14, v7
	s_and_saveexec_b64 s[4:5], s[2:3]
	s_cbranch_execz .LBB156_18
; %bb.17:
	v_add_u32_e32 v22, v7, v17
	v_mov_b32_e32 v23, 0
	s_waitcnt lgkmcnt(0)
	v_lshl_add_u64 v[22:23], v[22:23], 1, s[12:13]
	global_store_short_d16_hi v[22:23], v19, off
.LBB156_18:
	s_or_b64 exec, exec, s[4:5]
	v_add_u32_e32 v8, 0x60, v0
	v_cmp_gt_u32_e64 s[4:5], s14, v8
	s_and_saveexec_b64 s[6:7], s[4:5]
	s_cbranch_execz .LBB156_20
; %bb.19:
	v_add_u32_e32 v22, v8, v17
	v_mov_b32_e32 v23, 0
	s_waitcnt lgkmcnt(0)
	v_lshl_add_u64 v[22:23], v[22:23], 1, s[12:13]
	global_store_short_d16_hi v[22:23], v18, off
.LBB156_20:
	s_or_b64 exec, exec, s[6:7]
	v_add3_u32 v17, v5, s15, 8
	v_cmp_gt_u32_e64 s[6:7], s10, v17
	s_and_b64 exec, exec, s[6:7]
	s_cbranch_execz .LBB156_62
; %bb.21:
	v_mul_lo_u32 v17, v17, s14
	s_and_saveexec_b64 s[6:7], vcc
	s_cbranch_execnz .LBB156_63
; %bb.22:
	s_or_b64 exec, exec, s[6:7]
	s_and_saveexec_b64 s[6:7], s[0:1]
	s_cbranch_execnz .LBB156_64
.LBB156_23:
	s_or_b64 exec, exec, s[6:7]
	s_and_saveexec_b64 s[6:7], s[2:3]
	s_cbranch_execnz .LBB156_65
.LBB156_24:
	s_or_b64 exec, exec, s[6:7]
	s_and_saveexec_b64 s[6:7], s[4:5]
	s_cbranch_execz .LBB156_26
.LBB156_25:
	v_add_u32_e32 v20, v17, v8
	v_mov_b32_e32 v21, 0
	s_waitcnt lgkmcnt(0)
	v_lshl_add_u64 v[20:21], v[20:21], 1, s[12:13]
	global_store_short v[20:21], v18, off
.LBB156_26:
	s_or_b64 exec, exec, s[6:7]
	v_add3_u32 v17, v5, s15, 16
	v_cmp_gt_u32_e64 s[6:7], s10, v17
	s_and_b64 exec, exec, s[6:7]
	s_cbranch_execz .LBB156_62
; %bb.27:
	v_mul_lo_u32 v17, v17, s14
	s_and_saveexec_b64 s[6:7], vcc
	s_cbranch_execnz .LBB156_66
; %bb.28:
	s_or_b64 exec, exec, s[6:7]
	s_and_saveexec_b64 s[6:7], s[0:1]
	s_cbranch_execnz .LBB156_67
.LBB156_29:
	s_or_b64 exec, exec, s[6:7]
	s_and_saveexec_b64 s[6:7], s[2:3]
	s_cbranch_execnz .LBB156_68
.LBB156_30:
	s_or_b64 exec, exec, s[6:7]
	s_and_saveexec_b64 s[6:7], s[4:5]
	s_cbranch_execz .LBB156_32
.LBB156_31:
	v_add_u32_e32 v18, v17, v8
	v_mov_b32_e32 v19, 0
	s_waitcnt lgkmcnt(0)
	v_lshl_add_u64 v[18:19], v[18:19], 1, s[12:13]
	global_store_short_d16_hi v[18:19], v13, off
.LBB156_32:
	s_or_b64 exec, exec, s[6:7]
	v_add3_u32 v17, v5, s15, 24
	v_cmp_gt_u32_e64 s[6:7], s10, v17
	s_and_b64 exec, exec, s[6:7]
	s_cbranch_execz .LBB156_62
; %bb.33:
	v_mul_lo_u32 v17, v17, s14
	s_and_saveexec_b64 s[6:7], vcc
	s_cbranch_execnz .LBB156_69
; %bb.34:
	s_or_b64 exec, exec, s[6:7]
	s_and_saveexec_b64 s[6:7], s[0:1]
	s_cbranch_execnz .LBB156_70
.LBB156_35:
	s_or_b64 exec, exec, s[6:7]
	s_and_saveexec_b64 s[6:7], s[2:3]
	s_cbranch_execnz .LBB156_71
.LBB156_36:
	s_or_b64 exec, exec, s[6:7]
	s_and_saveexec_b64 s[6:7], s[4:5]
	s_cbranch_execz .LBB156_38
.LBB156_37:
	v_add_u32_e32 v14, v17, v8
	v_mov_b32_e32 v15, 0
	s_waitcnt lgkmcnt(0)
	v_lshl_add_u64 v[14:15], v[14:15], 1, s[12:13]
	global_store_short v[14:15], v13, off
.LBB156_38:
	s_or_b64 exec, exec, s[6:7]
	v_add3_u32 v13, v5, s15, 32
	v_cmp_gt_u32_e64 s[6:7], s10, v13
	s_and_b64 exec, exec, s[6:7]
	s_cbranch_execz .LBB156_62
; %bb.39:
	v_mul_lo_u32 v13, v13, s14
	s_and_saveexec_b64 s[6:7], vcc
	s_cbranch_execnz .LBB156_72
; %bb.40:
	s_or_b64 exec, exec, s[6:7]
	s_and_saveexec_b64 s[6:7], s[0:1]
	s_cbranch_execnz .LBB156_73
.LBB156_41:
	s_or_b64 exec, exec, s[6:7]
	s_and_saveexec_b64 s[6:7], s[2:3]
	s_cbranch_execnz .LBB156_74
.LBB156_42:
	s_or_b64 exec, exec, s[6:7]
	s_and_saveexec_b64 s[6:7], s[4:5]
	s_cbranch_execz .LBB156_44
.LBB156_43:
	v_add_u32_e32 v14, v13, v8
	v_mov_b32_e32 v15, 0
	s_waitcnt lgkmcnt(0)
	v_lshl_add_u64 v[14:15], v[14:15], 1, s[12:13]
	global_store_short_d16_hi v[14:15], v9, off
.LBB156_44:
	s_or_b64 exec, exec, s[6:7]
	v_add3_u32 v13, v5, s15, 40
	v_cmp_gt_u32_e64 s[6:7], s10, v13
	s_and_b64 exec, exec, s[6:7]
	s_cbranch_execz .LBB156_62
; %bb.45:
	v_mul_lo_u32 v13, v13, s14
	s_and_saveexec_b64 s[6:7], vcc
	s_cbranch_execnz .LBB156_75
; %bb.46:
	s_or_b64 exec, exec, s[6:7]
	s_and_saveexec_b64 s[6:7], s[0:1]
	s_cbranch_execnz .LBB156_76
.LBB156_47:
	s_or_b64 exec, exec, s[6:7]
	s_and_saveexec_b64 s[6:7], s[2:3]
	s_cbranch_execnz .LBB156_77
.LBB156_48:
	s_or_b64 exec, exec, s[6:7]
	s_and_saveexec_b64 s[6:7], s[4:5]
	s_cbranch_execz .LBB156_50
.LBB156_49:
	v_add_u32_e32 v10, v13, v8
	v_mov_b32_e32 v11, 0
	s_waitcnt lgkmcnt(0)
	v_lshl_add_u64 v[10:11], v[10:11], 1, s[12:13]
	global_store_short v[10:11], v9, off
.LBB156_50:
	s_or_b64 exec, exec, s[6:7]
	v_add3_u32 v9, v5, s15, 48
	v_cmp_gt_u32_e64 s[6:7], s10, v9
	s_and_b64 exec, exec, s[6:7]
	s_cbranch_execz .LBB156_62
; %bb.51:
	v_mul_lo_u32 v9, v9, s14
	s_and_saveexec_b64 s[6:7], vcc
	s_cbranch_execnz .LBB156_78
; %bb.52:
	s_or_b64 exec, exec, s[6:7]
	s_and_saveexec_b64 s[6:7], s[0:1]
	s_cbranch_execnz .LBB156_79
.LBB156_53:
	s_or_b64 exec, exec, s[6:7]
	s_and_saveexec_b64 s[6:7], s[2:3]
	s_cbranch_execnz .LBB156_80
.LBB156_54:
	s_or_b64 exec, exec, s[6:7]
	s_and_saveexec_b64 s[6:7], s[4:5]
	s_cbranch_execz .LBB156_56
.LBB156_55:
	v_add_u32_e32 v10, v9, v8
	v_mov_b32_e32 v11, 0
	s_waitcnt lgkmcnt(0)
	v_lshl_add_u64 v[10:11], v[10:11], 1, s[12:13]
	global_store_short_d16_hi v[10:11], v1, off
.LBB156_56:
	s_or_b64 exec, exec, s[6:7]
	v_add3_u32 v5, v5, s15, 56
	v_cmp_gt_u32_e64 s[6:7], s10, v5
	s_and_b64 exec, exec, s[6:7]
	s_cbranch_execz .LBB156_62
; %bb.57:
	v_mul_lo_u32 v5, v5, s14
	s_and_saveexec_b64 s[6:7], vcc
	s_cbranch_execnz .LBB156_81
; %bb.58:
	s_or_b64 exec, exec, s[6:7]
	s_and_saveexec_b64 s[6:7], s[0:1]
	s_cbranch_execnz .LBB156_82
.LBB156_59:
	s_or_b64 exec, exec, s[6:7]
	s_and_saveexec_b64 s[0:1], s[2:3]
	s_cbranch_execnz .LBB156_83
.LBB156_60:
	s_or_b64 exec, exec, s[0:1]
	s_and_b64 exec, exec, s[4:5]
	s_cbranch_execz .LBB156_62
.LBB156_61:
	v_add_u32_e32 v2, v5, v8
	v_mov_b32_e32 v3, 0
	s_waitcnt lgkmcnt(0)
	v_lshl_add_u64 v[2:3], v[2:3], 1, s[12:13]
	global_store_short v[2:3], v1, off
.LBB156_62:
	s_endpgm
.LBB156_63:
	v_add_u32_e32 v22, v17, v0
	v_mov_b32_e32 v23, 0
	s_waitcnt lgkmcnt(0)
	v_lshl_add_u64 v[22:23], v[22:23], 1, s[12:13]
	global_store_short v[22:23], v21, off
	s_or_b64 exec, exec, s[6:7]
	s_and_saveexec_b64 s[6:7], s[0:1]
	s_cbranch_execz .LBB156_23
.LBB156_64:
	v_add_u32_e32 v22, v17, v6
	v_mov_b32_e32 v23, 0
	s_waitcnt lgkmcnt(0)
	v_lshl_add_u64 v[22:23], v[22:23], 1, s[12:13]
	global_store_short v[22:23], v20, off
	s_or_b64 exec, exec, s[6:7]
	s_and_saveexec_b64 s[6:7], s[2:3]
	s_cbranch_execz .LBB156_24
.LBB156_65:
	v_add_u32_e32 v20, v17, v7
	v_mov_b32_e32 v21, 0
	s_waitcnt lgkmcnt(0)
	v_lshl_add_u64 v[20:21], v[20:21], 1, s[12:13]
	global_store_short v[20:21], v19, off
	s_or_b64 exec, exec, s[6:7]
	s_and_saveexec_b64 s[6:7], s[4:5]
	s_cbranch_execnz .LBB156_25
	s_branch .LBB156_26
.LBB156_66:
	v_add_u32_e32 v18, v17, v0
	v_mov_b32_e32 v19, 0
	s_waitcnt lgkmcnt(0)
	v_lshl_add_u64 v[18:19], v[18:19], 1, s[12:13]
	global_store_short_d16_hi v[18:19], v16, off
	s_or_b64 exec, exec, s[6:7]
	s_and_saveexec_b64 s[6:7], s[0:1]
	s_cbranch_execz .LBB156_29
.LBB156_67:
	v_add_u32_e32 v18, v17, v6
	v_mov_b32_e32 v19, 0
	s_waitcnt lgkmcnt(0)
	v_lshl_add_u64 v[18:19], v[18:19], 1, s[12:13]
	global_store_short_d16_hi v[18:19], v15, off
	s_or_b64 exec, exec, s[6:7]
	s_and_saveexec_b64 s[6:7], s[2:3]
	s_cbranch_execz .LBB156_30
.LBB156_68:
	v_add_u32_e32 v18, v17, v7
	v_mov_b32_e32 v19, 0
	s_waitcnt lgkmcnt(0)
	v_lshl_add_u64 v[18:19], v[18:19], 1, s[12:13]
	global_store_short_d16_hi v[18:19], v14, off
	s_or_b64 exec, exec, s[6:7]
	s_and_saveexec_b64 s[6:7], s[4:5]
	s_cbranch_execnz .LBB156_31
	s_branch .LBB156_32
.LBB156_69:
	v_add_u32_e32 v18, v17, v0
	v_mov_b32_e32 v19, 0
	s_waitcnt lgkmcnt(0)
	v_lshl_add_u64 v[18:19], v[18:19], 1, s[12:13]
	global_store_short v[18:19], v16, off
	s_or_b64 exec, exec, s[6:7]
	s_and_saveexec_b64 s[6:7], s[0:1]
	s_cbranch_execz .LBB156_35
.LBB156_70:
	v_add_u32_e32 v18, v17, v6
	v_mov_b32_e32 v19, 0
	s_waitcnt lgkmcnt(0)
	v_lshl_add_u64 v[18:19], v[18:19], 1, s[12:13]
	global_store_short v[18:19], v15, off
	s_or_b64 exec, exec, s[6:7]
	s_and_saveexec_b64 s[6:7], s[2:3]
	s_cbranch_execz .LBB156_36
.LBB156_71:
	v_add_u32_e32 v18, v17, v7
	v_mov_b32_e32 v19, 0
	s_waitcnt lgkmcnt(0)
	v_lshl_add_u64 v[18:19], v[18:19], 1, s[12:13]
	global_store_short v[18:19], v14, off
	s_or_b64 exec, exec, s[6:7]
	s_and_saveexec_b64 s[6:7], s[4:5]
	s_cbranch_execnz .LBB156_37
	s_branch .LBB156_38
.LBB156_72:
	v_add_u32_e32 v14, v13, v0
	v_mov_b32_e32 v15, 0
	s_waitcnt lgkmcnt(0)
	v_lshl_add_u64 v[14:15], v[14:15], 1, s[12:13]
	global_store_short_d16_hi v[14:15], v12, off
	s_or_b64 exec, exec, s[6:7]
	s_and_saveexec_b64 s[6:7], s[0:1]
	s_cbranch_execz .LBB156_41
.LBB156_73:
	v_add_u32_e32 v14, v13, v6
	v_mov_b32_e32 v15, 0
	s_waitcnt lgkmcnt(0)
	v_lshl_add_u64 v[14:15], v[14:15], 1, s[12:13]
	global_store_short_d16_hi v[14:15], v11, off
	s_or_b64 exec, exec, s[6:7]
	s_and_saveexec_b64 s[6:7], s[2:3]
	s_cbranch_execz .LBB156_42
.LBB156_74:
	v_add_u32_e32 v14, v13, v7
	v_mov_b32_e32 v15, 0
	s_waitcnt lgkmcnt(0)
	v_lshl_add_u64 v[14:15], v[14:15], 1, s[12:13]
	global_store_short_d16_hi v[14:15], v10, off
	s_or_b64 exec, exec, s[6:7]
	s_and_saveexec_b64 s[6:7], s[4:5]
	s_cbranch_execnz .LBB156_43
	s_branch .LBB156_44
.LBB156_75:
	v_add_u32_e32 v14, v13, v0
	v_mov_b32_e32 v15, 0
	s_waitcnt lgkmcnt(0)
	v_lshl_add_u64 v[14:15], v[14:15], 1, s[12:13]
	global_store_short v[14:15], v12, off
	s_or_b64 exec, exec, s[6:7]
	s_and_saveexec_b64 s[6:7], s[0:1]
	s_cbranch_execz .LBB156_47
.LBB156_76:
	v_add_u32_e32 v14, v13, v6
	v_mov_b32_e32 v15, 0
	s_waitcnt lgkmcnt(0)
	v_lshl_add_u64 v[14:15], v[14:15], 1, s[12:13]
	global_store_short v[14:15], v11, off
	s_or_b64 exec, exec, s[6:7]
	s_and_saveexec_b64 s[6:7], s[2:3]
	s_cbranch_execz .LBB156_48
.LBB156_77:
	v_add_u32_e32 v14, v13, v7
	v_mov_b32_e32 v15, 0
	s_waitcnt lgkmcnt(0)
	v_lshl_add_u64 v[14:15], v[14:15], 1, s[12:13]
	global_store_short v[14:15], v10, off
	s_or_b64 exec, exec, s[6:7]
	s_and_saveexec_b64 s[6:7], s[4:5]
	s_cbranch_execnz .LBB156_49
	s_branch .LBB156_50
.LBB156_78:
	v_add_u32_e32 v10, v9, v0
	v_mov_b32_e32 v11, 0
	s_waitcnt lgkmcnt(0)
	v_lshl_add_u64 v[10:11], v[10:11], 1, s[12:13]
	global_store_short_d16_hi v[10:11], v4, off
	s_or_b64 exec, exec, s[6:7]
	s_and_saveexec_b64 s[6:7], s[0:1]
	s_cbranch_execz .LBB156_53
.LBB156_79:
	v_add_u32_e32 v10, v9, v6
	v_mov_b32_e32 v11, 0
	s_waitcnt lgkmcnt(0)
	v_lshl_add_u64 v[10:11], v[10:11], 1, s[12:13]
	global_store_short_d16_hi v[10:11], v3, off
	s_or_b64 exec, exec, s[6:7]
	s_and_saveexec_b64 s[6:7], s[2:3]
	s_cbranch_execz .LBB156_54
.LBB156_80:
	v_add_u32_e32 v10, v9, v7
	v_mov_b32_e32 v11, 0
	s_waitcnt lgkmcnt(0)
	v_lshl_add_u64 v[10:11], v[10:11], 1, s[12:13]
	global_store_short_d16_hi v[10:11], v2, off
	s_or_b64 exec, exec, s[6:7]
	s_and_saveexec_b64 s[6:7], s[4:5]
	s_cbranch_execnz .LBB156_55
	s_branch .LBB156_56
.LBB156_81:
	v_add_u32_e32 v10, v5, v0
	v_mov_b32_e32 v11, 0
	s_waitcnt lgkmcnt(0)
	v_lshl_add_u64 v[10:11], v[10:11], 1, s[12:13]
	global_store_short v[10:11], v4, off
	s_or_b64 exec, exec, s[6:7]
	s_and_saveexec_b64 s[6:7], s[0:1]
	s_cbranch_execz .LBB156_59
.LBB156_82:
	v_add_u32_e32 v10, v5, v6
	v_mov_b32_e32 v11, 0
	s_waitcnt lgkmcnt(0)
	v_lshl_add_u64 v[10:11], v[10:11], 1, s[12:13]
	global_store_short v[10:11], v3, off
	s_or_b64 exec, exec, s[6:7]
	s_and_saveexec_b64 s[0:1], s[2:3]
	s_cbranch_execz .LBB156_60
.LBB156_83:
	v_add_u32_e32 v6, v5, v7
	v_mov_b32_e32 v7, 0
	s_waitcnt lgkmcnt(0)
	v_lshl_add_u64 v[6:7], v[6:7], 1, s[12:13]
	global_store_short v[6:7], v2, off
	s_or_b64 exec, exec, s[0:1]
	s_and_b64 exec, exec, s[4:5]
	s_cbranch_execnz .LBB156_61
	s_branch .LBB156_62
	.section	.rodata,"a",@progbits
	.p2align	6, 0x0
	.amdhsa_kernel _ZL12mul_mat_q6_KIN3c104HalfELb1EEvPKvS3_PT_iiiii
		.amdhsa_group_segment_fixed_size 45136
		.amdhsa_private_segment_fixed_size 32
		.amdhsa_kernarg_size 44
		.amdhsa_user_sgpr_count 2
		.amdhsa_user_sgpr_dispatch_ptr 0
		.amdhsa_user_sgpr_queue_ptr 0
		.amdhsa_user_sgpr_kernarg_segment_ptr 1
		.amdhsa_user_sgpr_dispatch_id 0
		.amdhsa_user_sgpr_kernarg_preload_length 0
		.amdhsa_user_sgpr_kernarg_preload_offset 0
		.amdhsa_user_sgpr_private_segment_size 0
		.amdhsa_uses_dynamic_stack 0
		.amdhsa_enable_private_segment 1
		.amdhsa_system_sgpr_workgroup_id_x 1
		.amdhsa_system_sgpr_workgroup_id_y 1
		.amdhsa_system_sgpr_workgroup_id_z 0
		.amdhsa_system_sgpr_workgroup_info 0
		.amdhsa_system_vgpr_workitem_id 1
		.amdhsa_next_free_vgpr 256
		.amdhsa_next_free_sgpr 96
		.amdhsa_accum_offset 256
		.amdhsa_reserve_vcc 1
		.amdhsa_float_round_mode_32 0
		.amdhsa_float_round_mode_16_64 0
		.amdhsa_float_denorm_mode_32 3
		.amdhsa_float_denorm_mode_16_64 3
		.amdhsa_dx10_clamp 1
		.amdhsa_ieee_mode 1
		.amdhsa_fp16_overflow 0
		.amdhsa_tg_split 0
		.amdhsa_exception_fp_ieee_invalid_op 0
		.amdhsa_exception_fp_denorm_src 0
		.amdhsa_exception_fp_ieee_div_zero 0
		.amdhsa_exception_fp_ieee_overflow 0
		.amdhsa_exception_fp_ieee_underflow 0
		.amdhsa_exception_fp_ieee_inexact 0
		.amdhsa_exception_int_div_zero 0
	.end_amdhsa_kernel
	.section	.text._ZL12mul_mat_q6_KIN3c104HalfELb1EEvPKvS3_PT_iiiii,"axG",@progbits,_ZL12mul_mat_q6_KIN3c104HalfELb1EEvPKvS3_PT_iiiii,comdat
.Lfunc_end156:
	.size	_ZL12mul_mat_q6_KIN3c104HalfELb1EEvPKvS3_PT_iiiii, .Lfunc_end156-_ZL12mul_mat_q6_KIN3c104HalfELb1EEvPKvS3_PT_iiiii
                                        ; -- End function
	.set _ZL12mul_mat_q6_KIN3c104HalfELb1EEvPKvS3_PT_iiiii.num_vgpr, 256
	.set _ZL12mul_mat_q6_KIN3c104HalfELb1EEvPKvS3_PT_iiiii.num_agpr, 0
	.set _ZL12mul_mat_q6_KIN3c104HalfELb1EEvPKvS3_PT_iiiii.numbered_sgpr, 22
	.set _ZL12mul_mat_q6_KIN3c104HalfELb1EEvPKvS3_PT_iiiii.num_named_barrier, 0
	.set _ZL12mul_mat_q6_KIN3c104HalfELb1EEvPKvS3_PT_iiiii.private_seg_size, 32
	.set _ZL12mul_mat_q6_KIN3c104HalfELb1EEvPKvS3_PT_iiiii.uses_vcc, 1
	.set _ZL12mul_mat_q6_KIN3c104HalfELb1EEvPKvS3_PT_iiiii.uses_flat_scratch, 0
	.set _ZL12mul_mat_q6_KIN3c104HalfELb1EEvPKvS3_PT_iiiii.has_dyn_sized_stack, 0
	.set _ZL12mul_mat_q6_KIN3c104HalfELb1EEvPKvS3_PT_iiiii.has_recursion, 0
	.set _ZL12mul_mat_q6_KIN3c104HalfELb1EEvPKvS3_PT_iiiii.has_indirect_call, 0
	.section	.AMDGPU.csdata,"",@progbits
; Kernel info:
; codeLenInByte = 19112
; TotalNumSgprs: 28
; NumVgprs: 256
; NumAgprs: 0
; TotalNumVgprs: 256
; ScratchSize: 32
; MemoryBound: 0
; FloatMode: 240
; IeeeMode: 1
; LDSByteSize: 45136 bytes/workgroup (compile time only)
; SGPRBlocks: 12
; VGPRBlocks: 31
; NumSGPRsForWavesPerEU: 102
; NumVGPRsForWavesPerEU: 256
; AccumOffset: 256
; Occupancy: 2
; WaveLimiterHint : 0
; COMPUTE_PGM_RSRC2:SCRATCH_EN: 1
; COMPUTE_PGM_RSRC2:USER_SGPR: 2
; COMPUTE_PGM_RSRC2:TRAP_HANDLER: 0
; COMPUTE_PGM_RSRC2:TGID_X_EN: 1
; COMPUTE_PGM_RSRC2:TGID_Y_EN: 1
; COMPUTE_PGM_RSRC2:TGID_Z_EN: 0
; COMPUTE_PGM_RSRC2:TIDIG_COMP_CNT: 1
; COMPUTE_PGM_RSRC3_GFX90A:ACCUM_OFFSET: 63
; COMPUTE_PGM_RSRC3_GFX90A:TG_SPLIT: 0
	.section	.text._ZL12mul_mat_q4_0IN3c108BFloat16ELb0EEvPKvS3_PT_iiiii,"axG",@progbits,_ZL12mul_mat_q4_0IN3c108BFloat16ELb0EEvPKvS3_PT_iiiii,comdat
	.globl	_ZL12mul_mat_q4_0IN3c108BFloat16ELb0EEvPKvS3_PT_iiiii ; -- Begin function _ZL12mul_mat_q4_0IN3c108BFloat16ELb0EEvPKvS3_PT_iiiii
	.p2align	8
	.type	_ZL12mul_mat_q4_0IN3c108BFloat16ELb0EEvPKvS3_PT_iiiii,@function
_ZL12mul_mat_q4_0IN3c108BFloat16ELb0EEvPKvS3_PT_iiiii: ; @_ZL12mul_mat_q4_0IN3c108BFloat16ELb0EEvPKvS3_PT_iiiii
; %bb.0:
	s_load_dword s7, s[0:1], 0x18
	s_load_dwordx4 s[8:11], s[0:1], 0x20
	s_waitcnt lgkmcnt(0)
	s_lshl_b32 s11, s3, 6
	v_bfe_u32 v83, v0, 10, 10
	s_cmp_gt_i32 s7, 31
	s_cbranch_scc1 .LBB157_4
; %bb.1:
	v_bfe_u32 v1, v0, 10, 10
	v_and_b32_e32 v79, 0x3ff, v0
	v_add_u32_e32 v87, s11, v1
	s_load_dwordx2 s[12:13], s[0:1], 0x10
	s_lshl_b32 s6, s2, 7
	s_cbranch_execz .LBB157_5
; %bb.2:
	v_mov_b32_e32 v52, 0
	v_mov_b32_e32 v53, v52
	v_mov_b64_e32 v[60:61], v[52:53]
	v_mov_b64_e32 v[68:69], v[52:53]
	;; [unrolled: 1-line block ×15, first 2 shown]
	v_cmp_gt_u32_e32 vcc, s8, v87
	s_and_saveexec_b64 s[0:1], vcc
	s_cbranch_execnz .LBB157_15
.LBB157_3:
	s_endpgm
.LBB157_4:
                                        ; implicit-def: $vgpr1
                                        ; implicit-def: $vgpr79
                                        ; implicit-def: $vgpr87
	s_load_dwordx2 s[12:13], s[0:1], 0x10
	s_lshl_b32 s6, s2, 7
.LBB157_5:
	s_ashr_i32 s4, s7, 31
	s_load_dwordx4 s[0:3], s[0:1], 0x0
	s_lshr_b32 s4, s4, 27
	s_ashr_i32 s5, s9, 31
	s_add_i32 s4, s7, s4
	s_lshr_b32 s5, s5, 27
	s_ashr_i32 s7, s4, 5
	s_add_i32 s5, s9, s5
	s_ashr_i32 s15, s5, 5
	s_mul_i32 s5, s7, s6
	v_bfe_u32 v129, v0, 3, 7
	s_mul_hi_i32 s14, s5, 18
	s_mul_i32 s5, s5, 18
	v_and_b32_e32 v112, 7, v0
	v_lshl_add_u32 v2, v83, 2, v129
	s_waitcnt lgkmcnt(0)
	s_add_u32 s9, s0, s5
	v_and_b32_e32 v3, 0x7fc, v2
	v_lshlrev_b32_e32 v4, 2, v112
	s_movk_i32 s5, 0x6200
	v_add3_u32 v8, v3, v4, s5
	v_add_u32_e32 v3, 32, v2
	v_and_b32_e32 v79, 0x3ff, v0
	v_mul_lo_u32 v114, s7, v2
	v_lshlrev_b32_e32 v9, 5, v2
	v_and_b32_e32 v5, 0xffc, v3
	v_lshlrev_b32_e32 v11, 5, v3
	v_add_u32_e32 v3, 64, v2
	v_add_u32_e32 v2, 0x60, v2
	v_lshlrev_b32_e32 v1, 2, v79
	s_movk_i32 s0, 0x84
	v_add3_u32 v10, v5, v4, s5
	v_and_b32_e32 v5, 0xffc, v3
	v_lshlrev_b32_e32 v13, 5, v3
	v_and_b32_e32 v3, 0xffc, v2
	v_bfe_u32 v78, v0, 2, 8
	v_and_b32_e32 v80, 12, v1
	v_mad_u32_u24 v89, v83, s0, v1
	v_add3_u32 v12, v5, v4, s5
	v_add3_u32 v14, v3, v4, s5
	v_and_b32_e32 v6, 31, v0
	v_and_b32_e32 v4, 28, v1
	v_mov_b32_e32 v1, 0x4200
	v_lshl_or_b32 v1, v6, 2, v1
	v_lshl_add_u32 v6, v83, 3, v78
	v_and_b32_e32 v7, 63, v6
	s_addc_u32 s1, s1, s14
	s_and_b32 s17, s4, 0xffffffe0
	s_add_i32 s4, s8, -1
	v_or_b32_e32 v16, s11, v7
	v_and_b32_e32 v6, 3, v0
	v_min_i32_e32 v16, s4, v16
	v_lshlrev_b32_e32 v15, 5, v2
	v_cvt_f64_i32_e32 v[2:3], s4
	v_mad_u64_u32 v[116:117], s[4:5], v16, s15, v[6:7]
	v_lshlrev_b32_e32 v6, 2, v6
	v_add_u32_e32 v87, s11, v83
	v_lshl_or_b32 v6, v7, 4, v6
	v_add_u32_e32 v117, 0x7280, v6
	v_cvt_f64_u32_e32 v[6:7], v87
	v_min_f64 v[6:7], v[6:7], v[2:3]
	v_cvt_i32_f64_e32 v6, v[6:7]
	v_mul_lo_u32 v131, s15, v6
	v_add_u32_e32 v6, 8, v87
	v_cvt_f64_u32_e32 v[6:7], v6
	v_min_f64 v[6:7], v[6:7], v[2:3]
	v_cvt_i32_f64_e32 v6, v[6:7]
	v_mul_lo_u32 v133, s15, v6
	;; [unrolled: 5-line block ×4, first 2 shown]
	v_add_u32_e32 v6, 32, v87
	v_cvt_f64_u32_e32 v[6:7], v6
	v_min_f64 v[6:7], v[6:7], v[2:3]
	v_mul_lo_u32 v82, s7, v83
	s_lshl_b32 s16, s7, 3
	v_cvt_i32_f64_e32 v6, v[6:7]
	v_add_u32_e32 v86, s16, v82
	v_mul_lo_u32 v152, s15, v6
	v_add_u32_e32 v6, 40, v87
	v_add_u32_e32 v88, s16, v86
	v_cvt_f64_u32_e32 v[6:7], v6
	v_add_u32_e32 v90, s16, v88
	v_min_f64 v[6:7], v[6:7], v[2:3]
	v_add_u32_e32 v92, s16, v90
	v_cvt_i32_f64_e32 v6, v[6:7]
	v_add_u32_e32 v94, s16, v92
	v_mul_lo_u32 v153, s15, v6
	v_add_u32_e32 v6, 48, v87
	v_add_u32_e32 v96, s16, v94
	v_cvt_f64_u32_e32 v[6:7], v6
	v_add_u32_e32 v98, s16, v96
	v_min_f64 v[6:7], v[6:7], v[2:3]
	v_add_u32_e32 v102, s16, v98
	v_cvt_i32_f64_e32 v6, v[6:7]
	v_add_u32_e32 v104, s16, v102
	v_mul_lo_u32 v154, s15, v6
	v_add_u32_e32 v6, 56, v87
	v_add_u32_e32 v108, s16, v104
	v_cvt_f64_u32_e32 v[6:7], v6
	v_mov_b32_e32 v81, 0
	v_add_u32_e32 v110, s16, v108
	v_min_f64 v[2:3], v[6:7], v[2:3]
	v_mov_b32_e32 v5, v81
	v_cvt_i32_f64_e32 v2, v[2:3]
	v_add_u32_e32 v3, 32, v79
	v_add_u32_e32 v6, 64, v79
	;; [unrolled: 1-line block ×4, first 2 shown]
	v_lshlrev_b32_e32 v16, 7, v83
	v_lshrrev_b32_e32 v157, 3, v3
	v_lshl_add_u64 v[118:119], s[2:3], 0, v[4:5]
	v_lshlrev_b32_e32 v4, 5, v79
	v_and_b32_e32 v5, 0x1fc, v7
	v_and_b32_e32 v6, 0x1fc, v6
	v_and_b32_e32 v3, 0x1fc, v3
	v_and_b32_e32 v0, 0xfc, v0
	v_add_u32_e32 v122, s16, v120
	v_add_u32_e32 v128, s17, v114
	v_add_u32_e32 v17, 0x400, v16
	v_add_u32_e32 v18, 0x800, v16
	v_add_u32_e32 v19, 0xc00, v16
	v_add_u32_e32 v20, 0x1000, v16
	v_add_u32_e32 v21, 0x1400, v16
	v_add_u32_e32 v22, 0x1800, v16
	v_mul_lo_u32 v155, s15, v2
	v_add_u32_e32 v2, 0x1c00, v16
	v_add_u32_e32 v5, v4, v5
	;; [unrolled: 1-line block ×5, first 2 shown]
	v_mov_b32_e32 v4, 0x7280
	v_mov_b32_e32 v106, v81
	;; [unrolled: 1-line block ×3, first 2 shown]
	v_add_u32_e32 v124, s16, v122
	v_add_u32_e32 v130, s17, v128
	;; [unrolled: 1-line block ×17, first 2 shown]
	s_add_i32 s14, s7, 3
	v_mul_u32_u24_e32 v156, 0x84, v79
	v_add_u32_e32 v158, 0x6e00, v5
	v_add_u32_e32 v159, 0x6a00, v6
	;; [unrolled: 1-line block ×5, first 2 shown]
	v_lshl_add_u32 v163, v83, 4, v4
	v_add_u32_e32 v164, v10, v11
	v_add_u32_e32 v165, 0x4200, v16
	;; [unrolled: 1-line block ×3, first 2 shown]
	v_mad_u32_u24 v167, v79, s0, 64
	v_add_u32_e32 v168, 0x6e10, v5
	v_add_u32_e32 v169, 0x6a10, v6
	;; [unrolled: 1-line block ×4, first 2 shown]
	s_mov_b32 s15, 0
	v_add_u32_e32 v172, v14, v15
	v_add_u32_e32 v173, v1, v16
	;; [unrolled: 1-line block ×9, first 2 shown]
	s_mov_b32 s0, 0x41000000
	v_add_u32_e32 v126, s16, v124
	v_add_u32_e32 v132, s17, v130
	v_mov_b64_e32 v[74:75], v[106:107]
	v_mov_b64_e32 v[66:67], v[106:107]
	;; [unrolled: 1-line block ×15, first 2 shown]
	s_branch .LBB157_7
.LBB157_6:                              ;   in Loop: Header=BB157_7 Depth=1
	s_add_i32 s15, s15, 8
	s_add_i32 s14, s14, -8
	s_cmp_ge_i32 s15, s7
	s_cbranch_scc1 .LBB157_14
.LBB157_7:                              ; =>This Loop Header: Depth=1
                                        ;     Child Loop BB157_9 Depth 2
                                        ;     Child Loop BB157_12 Depth 2
	s_mul_i32 s4, s15, 18
	s_mul_hi_u32 s5, s15, 18
	s_add_u32 s4, s9, s4
	s_addc_u32 s5, s1, s5
	v_mad_u64_u32 v[0:1], s[16:17], v78, 18, s[4:5]
	v_mad_u64_u32 v[2:3], s[16:17], v82, 18, v[0:1]
	v_lshl_add_u64 v[2:3], v[2:3], 0, v[80:81]
	global_load_dword v2, v[2:3], off offset:2
	s_cmp_gt_u32 s14, 3
	s_waitcnt vmcnt(0)
	ds_write_b32 v89, v2
	v_mad_u64_u32 v[2:3], s[16:17], v86, 18, v[0:1]
	v_lshl_add_u64 v[2:3], v[2:3], 0, v[80:81]
	global_load_dword v2, v[2:3], off offset:2
	s_waitcnt vmcnt(0)
	ds_write_b32 v91, v2
	v_mad_u64_u32 v[2:3], s[16:17], v88, 18, v[0:1]
	v_lshl_add_u64 v[2:3], v[2:3], 0, v[80:81]
	global_load_dword v2, v[2:3], off offset:2
	;; [unrolled: 5-line block ×13, first 2 shown]
	s_waitcnt vmcnt(0)
	ds_write_b32 v123, v2
	v_mad_u64_u32 v[2:3], s[16:17], v124, 18, v[0:1]
	v_mad_u64_u32 v[0:1], s[16:17], v126, 18, v[0:1]
	v_lshl_add_u64 v[2:3], v[2:3], 0, v[80:81]
	v_lshl_add_u64 v[0:1], v[0:1], 0, v[80:81]
	global_load_dword v2, v[2:3], off offset:2
	s_nop 0
	global_load_dword v0, v[0:1], off offset:2
	s_waitcnt vmcnt(1)
	ds_write_b32 v125, v2
	s_waitcnt vmcnt(0)
	ds_write_b32 v127, v0
	v_mad_u64_u32 v[0:1], s[4:5], v112, 18, s[4:5]
	v_mad_u64_u32 v[2:3], s[4:5], v114, 18, v[0:1]
	global_load_ushort v2, v[2:3], off
	s_waitcnt vmcnt(0)
	v_cvt_f32_f16_e32 v2, v2
	ds_write_b32 v162, v2
	v_mad_u64_u32 v[2:3], s[4:5], v128, 18, v[0:1]
	global_load_ushort v2, v[2:3], off
	s_waitcnt vmcnt(0)
	v_cvt_f32_f16_e32 v2, v2
	ds_write_b32 v164, v2
	v_mad_u64_u32 v[2:3], s[4:5], v130, 18, v[0:1]
	v_mad_u64_u32 v[0:1], s[4:5], v132, 18, v[0:1]
	global_load_ushort v2, v[2:3], off
	s_nop 0
	global_load_ushort v0, v[0:1], off
	s_waitcnt vmcnt(1)
	v_cvt_f32_f16_e32 v2, v2
	s_waitcnt vmcnt(0)
	v_cvt_f32_f16_e32 v0, v0
	ds_write_b32 v166, v2
	ds_write_b32 v172, v0
	s_cbranch_scc0 .LBB157_6
; %bb.8:                                ;   in Loop: Header=BB157_7 Depth=1
	v_add_u32_e32 v2, s15, v129
	v_add_u32_e32 v0, v2, v131
	v_mad_i64_i32 v[0:1], s[4:5], v0, 36, v[118:119]
	global_load_dword v0, v[0:1], off offset:4
	v_add_u32_e32 v181, s15, v116
	v_mov_b32_e32 v182, v165
	v_mov_b32_e32 v183, v163
	;; [unrolled: 1-line block ×7, first 2 shown]
	s_waitcnt vmcnt(0)
	ds_write_b32 v173, v0
	v_add_u32_e32 v0, v2, v133
	v_mad_i64_i32 v[0:1], s[4:5], v0, 36, v[118:119]
	global_load_dword v0, v[0:1], off offset:4
	s_waitcnt vmcnt(0)
	ds_write_b32 v174, v0
	v_add_u32_e32 v0, v2, v150
	v_mad_i64_i32 v[0:1], s[4:5], v0, 36, v[118:119]
	global_load_dword v0, v[0:1], off offset:4
	;; [unrolled: 5-line block ×7, first 2 shown]
	s_waitcnt vmcnt(0)
	ds_write_b32 v180, v0
	v_mad_u64_u32 v[0:1], s[4:5], v181, 36, s[2:3]
	global_load_dword v0, v[0:1], off
	s_mov_b32 s4, -4
	s_waitcnt vmcnt(0)
	ds_write_b32 v117, v0
	s_waitcnt lgkmcnt(0)
	s_barrier
.LBB157_9:                              ;   Parent Loop BB157_7 Depth=1
                                        ; =>  This Inner Loop Header: Depth=2
	ds_read_b128 v[32:35], v182
	ds_read_b128 v[0:3], v182 offset:16
	ds_read2_b32 v[134:135], v188 offset0:2 offset1:3
	ds_read2_b32 v[136:137], v188 offset1:1
	v_add_u32_e32 v138, 0x1080, v188
	v_add_u32_e32 v139, 0x1088, v188
	;; [unrolled: 1-line block ×6, first 2 shown]
	ds_read_b128 v[36:39], v182 offset:1024
	ds_read_b128 v[4:7], v182 offset:1040
	;; [unrolled: 1-line block ×11, first 2 shown]
	ds_read2_b32 v[144:145], v183 offset1:32
	ds_read2_b32 v[146:147], v183 offset0:64 offset1:96
	ds_read2_b32 v[148:149], v183 offset0:128 offset1:160
	;; [unrolled: 1-line block ×3, first 2 shown]
	ds_read2_b32 v[210:211], v138 offset1:1
	ds_read2_b32 v[212:213], v139 offset1:1
	;; [unrolled: 1-line block ×6, first 2 shown]
	v_mov_b32_e32 v189, 0
	v_mov_b32_e32 v190, 0
	;; [unrolled: 1-line block ×17, first 2 shown]
	s_waitcnt lgkmcnt(14)
	v_and_b32_e32 v215, 0xf0f0f0f, v136
	v_lshrrev_b32_e32 v222, 4, v136
	v_lshrrev_b32_e32 v227, 4, v137
	s_waitcnt lgkmcnt(5)
	v_and_b32_e32 v230, 0xf0f0f0f, v210
	v_lshrrev_b32_e32 v231, 4, v210
	s_waitcnt lgkmcnt(3)
	v_and_b32_e32 v234, 0xf0f0f0f, v216
	v_lshrrev_b32_e32 v235, 4, v216
	v_lshrrev_b32_e32 v237, 4, v217
	s_waitcnt lgkmcnt(1)
	v_and_b32_e32 v239, 0xf0f0f0f, v220
	v_lshrrev_b32_e32 v220, 4, v220
	v_and_b32_e32 v228, 0xf0f0f0f, v134
	v_lshrrev_b32_e32 v229, 4, v134
	v_cvt_f32_f16_e32 v140, v144
	v_cvt_f32_f16_sdwa v142, v144 dst_sel:DWORD dst_unused:UNUSED_PAD src0_sel:WORD_1
	v_cvt_f32_f16_e32 v138, v146
	v_cvt_f32_f16_sdwa v144, v146 dst_sel:DWORD dst_unused:UNUSED_PAD src0_sel:WORD_1
	;; [unrolled: 2-line block ×4, first 2 shown]
	v_dot4c_i32_i8_e32 v189, v215, v32
	v_and_b32_e32 v207, 0xf0f0f0f, v213
	v_and_b32_e32 v208, 0xf0f0f0f, v219
	v_dot4c_i32_i8_e32 v193, v215, v36
	v_dot4c_i32_i8_e32 v198, v215, v44
	;; [unrolled: 1-line block ×7, first 2 shown]
	s_waitcnt lgkmcnt(0)
	v_and_b32_e32 v241, 0xf0f0f0f, v224
	v_lshrrev_b32_e32 v215, 4, v213
	v_lshrrev_b32_e32 v213, 4, v224
	;; [unrolled: 1-line block ×3, first 2 shown]
	v_and_b32_e32 v219, 0xf0f0f0f, v222
	v_and_b32_e32 v224, 0xf0f0f0f, v227
	;; [unrolled: 1-line block ×3, first 2 shown]
	v_dot4c_i32_i8_e32 v190, v230, v32
	v_and_b32_e32 v231, 0xf0f0f0f, v235
	v_dot4c_i32_i8_e32 v191, v234, v32
	v_and_b32_e32 v235, 0xf0f0f0f, v237
	v_and_b32_e32 v237, 0xf0f0f0f, v220
	v_dot4c_i32_i8_e32 v192, v239, v32
	v_dot4c_i32_i8_e32 v194, v230, v36
	;; [unrolled: 1-line block ×7, first 2 shown]
	v_and_b32_e32 v226, 0xf0f0f0f, v137
	v_and_b32_e32 v232, 0xf0f0f0f, v211
	v_lshrrev_b32_e32 v211, 4, v211
	v_and_b32_e32 v236, 0xf0f0f0f, v217
	v_and_b32_e32 v240, 0xf0f0f0f, v221
	v_lshrrev_b32_e32 v221, 4, v221
	v_dot4c_i32_i8_e32 v189, v219, v0
	v_dot4c_i32_i8_e32 v190, v227, v0
	;; [unrolled: 1-line block ×12, first 2 shown]
	v_and_b32_e32 v223, 0xf0f0f0f, v135
	v_lshrrev_b32_e32 v214, 4, v135
	v_cvt_f32_f16_e32 v141, v145
	v_cvt_f32_f16_sdwa v143, v145 dst_sel:DWORD dst_unused:UNUSED_PAD src0_sel:WORD_1
	v_cvt_f32_f16_e32 v139, v147
	v_cvt_f32_f16_sdwa v145, v147 dst_sel:DWORD dst_unused:UNUSED_PAD src0_sel:WORD_1
	;; [unrolled: 2-line block ×4, first 2 shown]
	v_and_b32_e32 v209, 0xf0f0f0f, v225
	v_lshrrev_b32_e32 v217, 4, v225
	v_and_b32_e32 v225, 0xf0f0f0f, v229
	v_and_b32_e32 v229, 0xf0f0f0f, v211
	;; [unrolled: 1-line block ×3, first 2 shown]
	v_dot4c_i32_i8_e32 v189, v226, v33
	v_dot4c_i32_i8_e32 v190, v232, v33
	;; [unrolled: 1-line block ×12, first 2 shown]
	v_and_b32_e32 v233, 0xf0f0f0f, v212
	v_lshrrev_b32_e32 v212, 4, v212
	v_and_b32_e32 v238, 0xf0f0f0f, v218
	v_lshrrev_b32_e32 v218, 4, v218
	v_dot4c_i32_i8_e32 v189, v224, v1
	v_dot4c_i32_i8_e32 v190, v229, v1
	;; [unrolled: 1-line block ×12, first 2 shown]
	v_and_b32_e32 v211, 0xf0f0f0f, v212
	v_and_b32_e32 v212, 0xf0f0f0f, v218
	;; [unrolled: 1-line block ×3, first 2 shown]
	v_dot4c_i32_i8_e32 v189, v228, v34
	v_dot4c_i32_i8_e32 v190, v233, v34
	;; [unrolled: 1-line block ×28, first 2 shown]
	ds_read_b128 v[32:35], v182 offset:5136
	v_dot4c_i32_i8_e32 v193, v223, v39
	v_dot4c_i32_i8_e32 v194, v207, v39
	;; [unrolled: 1-line block ×4, first 2 shown]
	ds_read_b128 v[36:39], v182 offset:6160
	v_dot4c_i32_i8_e32 v198, v223, v47
	v_dot4c_i32_i8_e32 v197, v207, v47
	;; [unrolled: 1-line block ×4, first 2 shown]
	ds_read_b128 v[44:47], v182 offset:7184
	ds_read_b32 v2, v184
	ds_read_b32 v4, v185
	;; [unrolled: 1-line block ×3, first 2 shown]
	v_mov_b32_e32 v202, 0
	v_mov_b32_e32 v218, 0
	;; [unrolled: 1-line block ×4, first 2 shown]
	v_dot4c_i32_i8_e32 v201, v219, v12
	v_dot4c_i32_i8_e32 v203, v219, v20
	s_waitcnt lgkmcnt(5)
	v_dot4c_i32_i8_e32 v204, v219, v32
	s_waitcnt lgkmcnt(4)
	v_dot4c_i32_i8_e32 v205, v219, v36
	s_waitcnt lgkmcnt(3)
	v_dot4c_i32_i8_e32 v206, v219, v44
	v_mov_b32_e32 v1, 0
	v_dot4c_i32_i8_e32 v202, v230, v16
	v_dot4c_i32_i8_e32 v218, v234, v16
	v_mov_b32_e32 v9, 0
	v_mov_b32_e32 v219, 0
	v_dot4c_i32_i8_e32 v221, v239, v16
	v_mov_b32_e32 v16, 0
	v_mov_b32_e32 v222, 0
	v_dot4c_i32_i8_e32 v210, v230, v24
	v_dot4c_i32_i8_e32 v1, v230, v28
	v_mov_b32_e32 v5, 0
	v_mov_b32_e32 v8, 0
	v_dot4c_i32_i8_e32 v9, v234, v24
	;; [unrolled: 4-line block ×4, first 2 shown]
	v_dot4c_i32_i8_e32 v8, v230, v48
	v_dot4c_i32_i8_e32 v10, v234, v40
	;; [unrolled: 1-line block ×90, first 2 shown]
	v_and_b32_e32 v17, 0xf0f0f0f, v214
	v_dot4c_i32_i8_e32 v202, v211, v14
	v_dot4c_i32_i8_e32 v218, v212, v14
	;; [unrolled: 1-line block ×15, first 2 shown]
	v_and_b32_e32 v25, 0xf0f0f0f, v215
	v_and_b32_e32 v29, 0xf0f0f0f, v216
	;; [unrolled: 1-line block ×3, first 2 shown]
	v_dot4c_i32_i8_e32 v202, v207, v19
	v_dot4c_i32_i8_e32 v218, v208, v19
	;; [unrolled: 1-line block ×29, first 2 shown]
	v_cvt_f32_i32_e32 v19, v193
	v_cvt_f32_i32_e32 v18, v189
	v_dot4c_i32_i8_e32 v197, v25, v11
	v_dot4c_i32_i8_e32 v199, v29, v11
	v_dot4c_i32_i8_e32 v200, v30, v11
	v_cvt_f32_i32_e32 v27, v201
	v_cvt_f32_i32_e32 v26, v198
	v_dot4c_i32_i8_e32 v202, v25, v15
	v_dot4c_i32_i8_e32 v218, v29, v15
	v_dot4c_i32_i8_e32 v221, v30, v15
	v_dot4c_i32_i8_e32 v210, v25, v23
	v_dot4c_i32_i8_e32 v9, v29, v23
	v_dot4c_i32_i8_e32 v16, v30, v23
	v_cvt_f32_i32_e32 v15, v204
	v_cvt_f32_i32_e32 v14, v203
	v_dot4c_i32_i8_e32 v1, v25, v35
	v_dot4c_i32_i8_e32 v219, v29, v35
	v_dot4c_i32_i8_e32 v222, v30, v35
	;; [unrolled: 8-line block ×3, first 2 shown]
	ds_read_b32 v0, v187
	v_cvt_f32_i32_e32 v31, v194
	v_cvt_f32_i32_e32 v30, v190
	;; [unrolled: 1-line block ×24, first 2 shown]
	v_pk_mul_f32 v[12:13], v[142:143], s[0:1] op_sel_hi:[1,0]
	v_pk_mul_f32 v[20:21], v[144:145], s[0:1] op_sel_hi:[1,0]
	;; [unrolled: 1-line block ×4, first 2 shown]
	v_pk_fma_f32 v[18:19], v[140:141], v[18:19], v[12:13] neg_lo:[0,0,1] neg_hi:[0,0,1]
	v_pk_fma_f32 v[26:27], v[26:27], v[138:139], v[20:21] neg_lo:[0,0,1] neg_hi:[0,0,1]
	;; [unrolled: 1-line block ×4, first 2 shown]
	s_add_i32 s4, s4, 4
	s_waitcnt lgkmcnt(3)
	v_pk_fma_f32 v[106:107], v[2:3], v[18:19], v[106:107] op_sel_hi:[0,1,1]
	v_pk_fma_f32 v[18:19], v[140:141], v[30:31], v[12:13] neg_lo:[0,0,1] neg_hi:[0,0,1]
	v_pk_fma_f32 v[28:29], v[140:141], v[34:35], v[12:13] neg_lo:[0,0,1] neg_hi:[0,0,1]
	v_pk_fma_f32 v[12:13], v[140:141], v[38:39], v[12:13] neg_lo:[0,0,1] neg_hi:[0,0,1]
	v_pk_fma_f32 v[74:75], v[2:3], v[26:27], v[74:75] op_sel_hi:[0,1,1]
	v_pk_fma_f32 v[26:27], v[40:41], v[138:139], v[20:21] neg_lo:[0,0,1] neg_hi:[0,0,1]
	v_pk_fma_f32 v[30:31], v[42:43], v[138:139], v[20:21] neg_lo:[0,0,1] neg_hi:[0,0,1]
	v_pk_fma_f32 v[20:21], v[44:45], v[138:139], v[20:21] neg_lo:[0,0,1] neg_hi:[0,0,1]
	;; [unrolled: 4-line block ×4, first 2 shown]
	v_add_u32_e32 v188, 16, v188
	v_add_u32_e32 v187, 4, v187
	;; [unrolled: 1-line block ×7, first 2 shown]
	s_cmp_lt_u32 s4, 12
	s_waitcnt lgkmcnt(2)
	v_pk_fma_f32 v[100:101], v[4:5], v[18:19], v[100:101] op_sel_hi:[0,1,1]
	s_waitcnt lgkmcnt(1)
	v_pk_fma_f32 v[84:85], v[6:7], v[28:29], v[84:85] op_sel_hi:[0,1,1]
	;; [unrolled: 2-line block ×3, first 2 shown]
	v_pk_fma_f32 v[72:73], v[4:5], v[26:27], v[72:73] op_sel_hi:[0,1,1]
	v_pk_fma_f32 v[70:71], v[6:7], v[30:31], v[70:71] op_sel_hi:[0,1,1]
	;; [unrolled: 1-line block ×9, first 2 shown]
	s_cbranch_scc1 .LBB157_9
; %bb.10:                               ;   in Loop: Header=BB157_7 Depth=1
	s_and_b32 s4, s14, -4
	s_cmp_eq_u32 s4, 4
	s_barrier
	s_cbranch_scc1 .LBB157_6
; %bb.11:                               ;   in Loop: Header=BB157_7 Depth=1
	v_add_u32_e32 v14, s15, v157
	v_add_u32_e32 v0, v14, v131
	;; [unrolled: 1-line block ×6, first 2 shown]
	v_mad_i64_i32 v[0:1], s[4:5], v0, 36, v[118:119]
	v_mad_i64_i32 v[2:3], s[4:5], v2, 36, v[118:119]
	;; [unrolled: 1-line block ×4, first 2 shown]
	v_add_u32_e32 v8, v14, v152
	v_add_u32_e32 v10, v14, v153
	;; [unrolled: 1-line block ×4, first 2 shown]
	v_mad_u64_u32 v[16:17], s[4:5], v16, 36, s[2:3]
	v_mad_i64_i32 v[8:9], s[4:5], v8, 36, v[118:119]
	v_mad_i64_i32 v[10:11], s[4:5], v10, 36, v[118:119]
	;; [unrolled: 1-line block ×4, first 2 shown]
	global_load_dword v16, v[16:17], off
	s_nop 0
	global_load_dword v0, v[0:1], off offset:4
	s_nop 0
	global_load_dword v1, v[2:3], off offset:4
	;; [unrolled: 2-line block ×3, first 2 shown]
	global_load_dword v3, v[6:7], off offset:4
	s_nop 0
	global_load_dword v4, v[8:9], off offset:4
	global_load_dword v5, v[10:11], off offset:4
                                        ; kill: killed $vgpr8_vgpr9
                                        ; kill: killed $vgpr10_vgpr11
	global_load_dword v6, v[12:13], off offset:4
	global_load_dword v7, v[14:15], off offset:4
	s_mov_b32 s4, 12
	v_mov_b32_e32 v9, v163
	v_mov_b32_e32 v11, v165
	;; [unrolled: 1-line block ×7, first 2 shown]
	s_waitcnt vmcnt(8)
	ds_write_b32 v117, v16
	s_waitcnt vmcnt(7)
	ds_write_b32 v173, v0
	;; [unrolled: 2-line block ×9, first 2 shown]
	s_waitcnt lgkmcnt(0)
	s_barrier
.LBB157_12:                             ;   Parent Loop BB157_7 Depth=1
                                        ; =>  This Inner Loop Header: Depth=2
	ds_read_b128 v[0:3], v11
	ds_read_b128 v[4:7], v11 offset:16
	ds_read2_b32 v[16:17], v9 offset1:32
	ds_read_b32 v8, v13
	ds_read2_b32 v[22:23], v20 offset1:1
	ds_read2_b32 v[32:33], v20 offset0:2 offset1:3
	v_add_u32_e32 v12, 0x1080, v20
	v_add_u32_e32 v14, 0x2100, v20
	v_mov_b32_e32 v140, 0
	s_waitcnt lgkmcnt(1)
	v_lshrrev_b32_e32 v10, 4, v22
	v_and_b32_e32 v21, 0xf0f0f0f, v22
	v_and_b32_e32 v22, 0xf0f0f0f, v10
	v_lshrrev_b32_e32 v10, 4, v23
	v_and_b32_e32 v26, 0xf0f0f0f, v10
	s_waitcnt lgkmcnt(0)
	v_lshrrev_b32_e32 v10, 4, v32
	v_and_b32_e32 v30, 0xf0f0f0f, v10
	v_lshrrev_b32_e32 v10, 4, v33
	v_and_b32_e32 v29, 0xf0f0f0f, v32
	v_and_b32_e32 v32, 0xf0f0f0f, v10
	ds_read_b32 v10, v15
	ds_read2_b32 v[34:35], v12 offset1:1
	v_and_b32_e32 v25, 0xf0f0f0f, v23
	v_and_b32_e32 v31, 0xf0f0f0f, v33
	v_mov_b32_e32 v142, 0
	v_mov_b32_e32 v143, 0
	s_waitcnt lgkmcnt(0)
	v_lshrrev_b32_e32 v12, 4, v34
	v_and_b32_e32 v24, 0xf0f0f0f, v12
	v_lshrrev_b32_e32 v12, 4, v35
	v_and_b32_e32 v28, 0xf0f0f0f, v12
	v_add_u32_e32 v12, 0x1088, v20
	ds_read2_b32 v[38:39], v12 offset1:1
	v_and_b32_e32 v27, 0xf0f0f0f, v35
	v_and_b32_e32 v23, 0xf0f0f0f, v34
	v_mov_b32_e32 v144, 0
	v_dot4c_i32_i8_e32 v140, v21, v0
	s_waitcnt lgkmcnt(0)
	v_lshrrev_b32_e32 v12, 4, v38
	v_and_b32_e32 v36, 0xf0f0f0f, v12
	v_lshrrev_b32_e32 v12, 4, v39
	v_and_b32_e32 v35, 0xf0f0f0f, v38
	v_and_b32_e32 v38, 0xf0f0f0f, v12
	ds_read_b32 v12, v18
	ds_read2_b32 v[40:41], v14 offset1:1
	v_and_b32_e32 v37, 0xf0f0f0f, v39
	v_dot4c_i32_i8_e32 v142, v23, v0
	v_dot4c_i32_i8_e32 v140, v22, v4
	;; [unrolled: 1-line block ×3, first 2 shown]
	s_waitcnt lgkmcnt(0)
	v_lshrrev_b32_e32 v14, 4, v40
	v_and_b32_e32 v34, 0xf0f0f0f, v14
	v_lshrrev_b32_e32 v14, 4, v41
	v_and_b32_e32 v33, 0xf0f0f0f, v40
	v_and_b32_e32 v40, 0xf0f0f0f, v14
	v_add_u32_e32 v14, 0x2108, v20
	ds_read2_b32 v[44:45], v14 offset1:1
	v_and_b32_e32 v39, 0xf0f0f0f, v41
	v_dot4c_i32_i8_e32 v143, v33, v0
	v_dot4c_i32_i8_e32 v143, v34, v4
	;; [unrolled: 1-line block ×3, first 2 shown]
	s_waitcnt lgkmcnt(0)
	v_lshrrev_b32_e32 v14, 4, v44
	v_and_b32_e32 v42, 0xf0f0f0f, v14
	v_lshrrev_b32_e32 v14, 4, v45
	v_and_b32_e32 v41, 0xf0f0f0f, v44
	v_and_b32_e32 v43, 0xf0f0f0f, v45
	;; [unrolled: 1-line block ×3, first 2 shown]
	v_add_u32_e32 v45, 0x3180, v20
	ds_read_b32 v14, v19
	ds_read2_b32 v[46:47], v45 offset1:1
	v_dot4c_i32_i8_e32 v142, v27, v1
	v_dot4c_i32_i8_e32 v143, v39, v1
	;; [unrolled: 1-line block ×4, first 2 shown]
	s_waitcnt lgkmcnt(0)
	v_and_b32_e32 v45, 0xf0f0f0f, v46
	v_lshrrev_b32_e32 v46, 4, v46
	v_and_b32_e32 v46, 0xf0f0f0f, v46
	v_dot4c_i32_i8_e32 v144, v45, v0
	v_dot4c_i32_i8_e32 v144, v46, v4
	v_and_b32_e32 v0, 0xf0f0f0f, v47
	v_dot4c_i32_i8_e32 v144, v0, v1
	v_add_u32_e32 v1, 0x3188, v20
	ds_read2_b32 v[48:49], v1 offset1:1
	v_lshrrev_b32_e32 v4, 4, v47
	v_and_b32_e32 v4, 0xf0f0f0f, v4
	v_dot4c_i32_i8_e32 v143, v40, v5
	v_dot4c_i32_i8_e32 v144, v4, v5
	s_waitcnt lgkmcnt(0)
	v_and_b32_e32 v1, 0xf0f0f0f, v48
	v_lshrrev_b32_e32 v5, 4, v48
	v_dot4c_i32_i8_e32 v140, v29, v2
	v_dot4c_i32_i8_e32 v142, v35, v2
	;; [unrolled: 1-line block ×3, first 2 shown]
	v_and_b32_e32 v5, 0xf0f0f0f, v5
	v_dot4c_i32_i8_e32 v144, v1, v2
	v_dot4c_i32_i8_e32 v140, v30, v6
	;; [unrolled: 1-line block ×5, first 2 shown]
	v_and_b32_e32 v2, 0xf0f0f0f, v49
	v_lshrrev_b32_e32 v6, 4, v49
	ds_read_b128 v[48:51], v11 offset:1024
	ds_read_b128 v[134:137], v11 offset:1040
	v_dot4c_i32_i8_e32 v140, v31, v3
	v_dot4c_i32_i8_e32 v142, v37, v3
	;; [unrolled: 1-line block ×4, first 2 shown]
	v_mov_b32_e32 v3, 0
	s_waitcnt lgkmcnt(1)
	v_dot4c_i32_i8_e32 v3, v21, v48
	s_waitcnt lgkmcnt(0)
	v_dot4c_i32_i8_e32 v3, v22, v134
	v_dot4c_i32_i8_e32 v3, v25, v49
	;; [unrolled: 1-line block ×8, first 2 shown]
	v_cvt_f32_f16_e32 v139, v17
	v_cvt_f32_f16_e32 v138, v16
	v_cvt_f32_i32_e32 v141, v3
	v_mov_b32_e32 v3, 0
	v_dot4c_i32_i8_e32 v3, v23, v48
	v_dot4c_i32_i8_e32 v3, v24, v134
	v_cvt_f32_f16_sdwa v17, v17 dst_sel:DWORD dst_unused:UNUSED_PAD src0_sel:WORD_1
	v_cvt_f32_f16_sdwa v16, v16 dst_sel:DWORD dst_unused:UNUSED_PAD src0_sel:WORD_1
	v_dot4c_i32_i8_e32 v3, v27, v49
	v_cvt_f32_i32_e32 v140, v140
	v_dot4c_i32_i8_e32 v3, v28, v135
	v_dot4c_i32_i8_e32 v3, v35, v50
	;; [unrolled: 1-line block ×3, first 2 shown]
	v_pk_mul_f32 v[16:17], v[16:17], s[0:1] op_sel_hi:[1,0]
	v_dot4c_i32_i8_e32 v3, v37, v51
	v_pk_fma_f32 v[140:141], v[138:139], v[140:141], v[16:17] neg_lo:[0,0,1] neg_hi:[0,0,1]
	v_dot4c_i32_i8_e32 v3, v38, v137
	v_pk_fma_f32 v[106:107], v[8:9], v[140:141], v[106:107] op_sel_hi:[0,1,1]
	v_dot4c_i32_i8_e32 v142, v38, v7
	v_and_b32_e32 v6, 0xf0f0f0f, v6
	v_cvt_f32_i32_e32 v141, v3
	v_mov_b32_e32 v3, 0
	v_dot4c_i32_i8_e32 v3, v33, v48
	v_dot4c_i32_i8_e32 v3, v34, v134
	v_dot4c_i32_i8_e32 v3, v39, v49
	v_cvt_f32_i32_e32 v140, v142
	v_dot4c_i32_i8_e32 v3, v40, v135
	v_dot4c_i32_i8_e32 v3, v41, v50
	;; [unrolled: 1-line block ×4, first 2 shown]
	v_pk_fma_f32 v[140:141], v[138:139], v[140:141], v[16:17] neg_lo:[0,0,1] neg_hi:[0,0,1]
	v_dot4c_i32_i8_e32 v3, v44, v137
	v_pk_fma_f32 v[100:101], v[10:11], v[140:141], v[100:101] op_sel_hi:[0,1,1]
	v_dot4c_i32_i8_e32 v143, v44, v7
	v_dot4c_i32_i8_e32 v144, v6, v7
	v_cvt_f32_i32_e32 v141, v3
	v_mov_b32_e32 v3, 0
	v_dot4c_i32_i8_e32 v3, v45, v48
	v_dot4c_i32_i8_e32 v3, v46, v134
	;; [unrolled: 1-line block ×8, first 2 shown]
	v_cvt_f32_i32_e32 v140, v143
	v_cvt_f32_i32_e32 v48, v144
	v_mov_b32_e32 v7, 0
	v_cvt_f32_i32_e32 v49, v3
	v_pk_fma_f32 v[140:141], v[138:139], v[140:141], v[16:17] neg_lo:[0,0,1] neg_hi:[0,0,1]
	v_mov_b32_e32 v3, 0
	v_mov_b32_e32 v47, 0
	v_pk_fma_f32 v[16:17], v[138:139], v[48:49], v[16:17] neg_lo:[0,0,1] neg_hi:[0,0,1]
	v_mov_b32_e32 v142, 0
	v_pk_fma_f32 v[76:77], v[14:15], v[16:17], v[76:77] op_sel_hi:[0,1,1]
	ds_read_b128 v[48:51], v11 offset:2048
	ds_read_b128 v[134:137], v11 offset:2064
	ds_read2_b32 v[16:17], v9 offset0:64 offset1:96
	v_pk_fma_f32 v[84:85], v[12:13], v[140:141], v[84:85] op_sel_hi:[0,1,1]
	v_mov_b32_e32 v140, 0
	s_waitcnt lgkmcnt(2)
	v_dot4c_i32_i8_e32 v3, v21, v48
	v_dot4c_i32_i8_e32 v7, v23, v48
	;; [unrolled: 1-line block ×4, first 2 shown]
	s_waitcnt lgkmcnt(1)
	v_dot4c_i32_i8_e32 v3, v22, v134
	v_dot4c_i32_i8_e32 v7, v24, v134
	;; [unrolled: 1-line block ×28, first 2 shown]
	ds_read_b128 v[48:51], v11 offset:3072
	ds_read_b128 v[134:137], v11 offset:3088
	s_waitcnt lgkmcnt(2)
	v_cvt_f32_f16_e32 v139, v17
	v_cvt_f32_f16_e32 v138, v16
	v_cvt_f32_f16_sdwa v17, v17 dst_sel:DWORD dst_unused:UNUSED_PAD src0_sel:WORD_1
	s_waitcnt lgkmcnt(1)
	v_dot4c_i32_i8_e32 v140, v21, v48
	s_waitcnt lgkmcnt(0)
	v_dot4c_i32_i8_e32 v140, v22, v134
	v_dot4c_i32_i8_e32 v140, v25, v49
	;; [unrolled: 1-line block ×7, first 2 shown]
	v_cvt_f32_f16_sdwa v16, v16 dst_sel:DWORD dst_unused:UNUSED_PAD src0_sel:WORD_1
	s_add_i32 s4, s4, 4
	v_add_u32_e32 v20, 16, v20
	v_cvt_f32_i32_e32 v141, v140
	v_cvt_f32_i32_e32 v140, v3
	v_mov_b32_e32 v3, 0
	v_dot4c_i32_i8_e32 v3, v23, v48
	v_dot4c_i32_i8_e32 v3, v24, v134
	v_dot4c_i32_i8_e32 v3, v27, v49
	v_dot4c_i32_i8_e32 v3, v28, v135
	v_dot4c_i32_i8_e32 v3, v35, v50
	v_dot4c_i32_i8_e32 v3, v36, v136
	v_pk_mul_f32 v[16:17], v[16:17], s[0:1] op_sel_hi:[1,0]
	v_dot4c_i32_i8_e32 v3, v37, v51
	v_pk_fma_f32 v[140:141], v[140:141], v[138:139], v[16:17] neg_lo:[0,0,1] neg_hi:[0,0,1]
	v_dot4c_i32_i8_e32 v3, v38, v137
	v_pk_fma_f32 v[74:75], v[8:9], v[140:141], v[74:75] op_sel_hi:[0,1,1]
	v_cvt_f32_i32_e32 v140, v7
	v_mov_b32_e32 v7, 0
	v_cvt_f32_i32_e32 v141, v3
	v_mov_b32_e32 v3, 0
	v_dot4c_i32_i8_e32 v3, v33, v48
	v_dot4c_i32_i8_e32 v3, v34, v134
	;; [unrolled: 1-line block ×7, first 2 shown]
	v_pk_fma_f32 v[140:141], v[140:141], v[138:139], v[16:17] neg_lo:[0,0,1] neg_hi:[0,0,1]
	v_dot4c_i32_i8_e32 v3, v44, v137
	v_pk_fma_f32 v[72:73], v[10:11], v[140:141], v[72:73] op_sel_hi:[0,1,1]
	v_cvt_f32_i32_e32 v140, v47
	v_mov_b32_e32 v47, 0
	v_cvt_f32_i32_e32 v141, v3
	v_mov_b32_e32 v3, 0
	v_dot4c_i32_i8_e32 v3, v45, v48
	v_dot4c_i32_i8_e32 v3, v46, v134
	;; [unrolled: 1-line block ×8, first 2 shown]
	v_cvt_f32_i32_e32 v48, v142
	v_pk_fma_f32 v[140:141], v[140:141], v[138:139], v[16:17] neg_lo:[0,0,1] neg_hi:[0,0,1]
	v_mov_b32_e32 v142, 0
	v_cvt_f32_i32_e32 v49, v3
	v_mov_b32_e32 v3, 0
	v_pk_fma_f32 v[70:71], v[12:13], v[140:141], v[70:71] op_sel_hi:[0,1,1]
	v_mov_b32_e32 v140, 0
	v_pk_fma_f32 v[16:17], v[48:49], v[138:139], v[16:17] neg_lo:[0,0,1] neg_hi:[0,0,1]
	v_add_u32_e32 v19, 4, v19
	v_pk_fma_f32 v[68:69], v[14:15], v[16:17], v[68:69] op_sel_hi:[0,1,1]
	ds_read_b128 v[48:51], v11 offset:4096
	ds_read_b128 v[134:137], v11 offset:4112
	ds_read2_b32 v[16:17], v9 offset0:128 offset1:160
	v_add_u32_e32 v18, 4, v18
	s_cmp_lt_u32 s4, 28
	s_waitcnt lgkmcnt(2)
	v_dot4c_i32_i8_e32 v3, v21, v48
	v_dot4c_i32_i8_e32 v7, v23, v48
	;; [unrolled: 1-line block ×4, first 2 shown]
	s_waitcnt lgkmcnt(1)
	v_dot4c_i32_i8_e32 v3, v22, v134
	v_dot4c_i32_i8_e32 v7, v24, v134
	;; [unrolled: 1-line block ×28, first 2 shown]
	ds_read_b128 v[48:51], v11 offset:5120
	ds_read_b128 v[134:137], v11 offset:5136
	s_waitcnt lgkmcnt(2)
	v_cvt_f32_f16_e32 v139, v17
	v_cvt_f32_f16_e32 v138, v16
	v_cvt_f32_f16_sdwa v17, v17 dst_sel:DWORD dst_unused:UNUSED_PAD src0_sel:WORD_1
	s_waitcnt lgkmcnt(1)
	v_dot4c_i32_i8_e32 v140, v21, v48
	s_waitcnt lgkmcnt(0)
	v_dot4c_i32_i8_e32 v140, v22, v134
	v_dot4c_i32_i8_e32 v140, v25, v49
	;; [unrolled: 1-line block ×7, first 2 shown]
	v_cvt_f32_f16_sdwa v16, v16 dst_sel:DWORD dst_unused:UNUSED_PAD src0_sel:WORD_1
	v_pk_mul_f32 v[16:17], v[16:17], s[0:1] op_sel_hi:[1,0]
	s_nop 0
	v_cvt_f32_i32_e32 v141, v140
	v_cvt_f32_i32_e32 v140, v3
	v_mov_b32_e32 v3, 0
	v_dot4c_i32_i8_e32 v3, v23, v48
	v_dot4c_i32_i8_e32 v3, v24, v134
	v_dot4c_i32_i8_e32 v3, v27, v49
	v_dot4c_i32_i8_e32 v3, v28, v135
	v_dot4c_i32_i8_e32 v3, v35, v50
	v_dot4c_i32_i8_e32 v3, v36, v136
	v_dot4c_i32_i8_e32 v3, v37, v51
	v_pk_fma_f32 v[140:141], v[140:141], v[138:139], v[16:17] neg_lo:[0,0,1] neg_hi:[0,0,1]
	v_dot4c_i32_i8_e32 v3, v38, v137
	v_pk_fma_f32 v[66:67], v[8:9], v[140:141], v[66:67] op_sel_hi:[0,1,1]
	v_cvt_f32_i32_e32 v140, v7
	v_mov_b32_e32 v7, 0
	v_cvt_f32_i32_e32 v141, v3
	v_mov_b32_e32 v3, 0
	v_dot4c_i32_i8_e32 v3, v33, v48
	v_dot4c_i32_i8_e32 v3, v34, v134
	;; [unrolled: 1-line block ×7, first 2 shown]
	v_pk_fma_f32 v[140:141], v[140:141], v[138:139], v[16:17] neg_lo:[0,0,1] neg_hi:[0,0,1]
	v_dot4c_i32_i8_e32 v3, v44, v137
	v_pk_fma_f32 v[64:65], v[10:11], v[140:141], v[64:65] op_sel_hi:[0,1,1]
	v_cvt_f32_i32_e32 v140, v47
	v_mov_b32_e32 v47, 0
	v_cvt_f32_i32_e32 v141, v3
	v_mov_b32_e32 v3, 0
	v_dot4c_i32_i8_e32 v3, v45, v48
	v_dot4c_i32_i8_e32 v3, v46, v134
	;; [unrolled: 1-line block ×8, first 2 shown]
	v_cvt_f32_i32_e32 v48, v142
	v_pk_fma_f32 v[140:141], v[140:141], v[138:139], v[16:17] neg_lo:[0,0,1] neg_hi:[0,0,1]
	s_nop 0
	v_cvt_f32_i32_e32 v49, v3
	v_pk_fma_f32 v[62:63], v[12:13], v[140:141], v[62:63] op_sel_hi:[0,1,1]
	v_mov_b32_e32 v3, 0
	v_mov_b32_e32 v140, 0
	v_pk_fma_f32 v[16:17], v[48:49], v[138:139], v[16:17] neg_lo:[0,0,1] neg_hi:[0,0,1]
	v_mov_b32_e32 v138, 0
	v_pk_fma_f32 v[60:61], v[14:15], v[16:17], v[60:61] op_sel_hi:[0,1,1]
	ds_read_b128 v[48:51], v11 offset:6144
	ds_read_b128 v[134:137], v11 offset:6160
	ds_read2_b32 v[16:17], v9 offset0:192 offset1:224
	s_waitcnt lgkmcnt(2)
	v_dot4c_i32_i8_e32 v3, v21, v48
	v_dot4c_i32_i8_e32 v7, v23, v48
	;; [unrolled: 1-line block ×4, first 2 shown]
	s_waitcnt lgkmcnt(1)
	v_dot4c_i32_i8_e32 v3, v22, v134
	v_dot4c_i32_i8_e32 v7, v24, v134
	;; [unrolled: 1-line block ×28, first 2 shown]
	ds_read_b128 v[48:51], v11 offset:7168
	ds_read_b128 v[134:137], v11 offset:7184
	s_waitcnt lgkmcnt(1)
	v_dot4c_i32_i8_e32 v138, v21, v48
	s_waitcnt lgkmcnt(0)
	v_dot4c_i32_i8_e32 v138, v22, v134
	v_dot4c_i32_i8_e32 v138, v25, v49
	;; [unrolled: 1-line block ×7, first 2 shown]
	v_cvt_f32_f16_e32 v31, v17
	v_cvt_f32_f16_e32 v30, v16
	v_cvt_f32_f16_sdwa v17, v17 dst_sel:DWORD dst_unused:UNUSED_PAD src0_sel:WORD_1
	v_cvt_f32_i32_e32 v139, v138
	v_cvt_f32_i32_e32 v138, v3
	v_mov_b32_e32 v3, 0
	v_dot4c_i32_i8_e32 v3, v23, v48
	v_dot4c_i32_i8_e32 v3, v24, v134
	;; [unrolled: 1-line block ×8, first 2 shown]
	v_cvt_f32_f16_sdwa v16, v16 dst_sel:DWORD dst_unused:UNUSED_PAD src0_sel:WORD_1
	v_cvt_f32_i32_e32 v22, v7
	v_pk_mul_f32 v[16:17], v[16:17], s[0:1] op_sel_hi:[1,0]
	v_cvt_f32_i32_e32 v23, v3
	v_mov_b32_e32 v3, 0
	v_dot4c_i32_i8_e32 v3, v33, v48
	v_dot4c_i32_i8_e32 v3, v34, v134
	;; [unrolled: 1-line block ×7, first 2 shown]
	v_pk_fma_f32 v[22:23], v[22:23], v[30:31], v[16:17] neg_lo:[0,0,1] neg_hi:[0,0,1]
	v_dot4c_i32_i8_e32 v3, v44, v137
	v_pk_fma_f32 v[56:57], v[10:11], v[22:23], v[56:57] op_sel_hi:[0,1,1]
	v_cvt_f32_i32_e32 v22, v47
	v_pk_fma_f32 v[138:139], v[138:139], v[30:31], v[16:17] neg_lo:[0,0,1] neg_hi:[0,0,1]
	v_cvt_f32_i32_e32 v23, v3
	v_mov_b32_e32 v3, 0
	v_dot4c_i32_i8_e32 v3, v45, v48
	v_dot4c_i32_i8_e32 v3, v46, v134
	;; [unrolled: 1-line block ×8, first 2 shown]
	v_cvt_f32_i32_e32 v0, v140
	v_pk_fma_f32 v[22:23], v[22:23], v[30:31], v[16:17] neg_lo:[0,0,1] neg_hi:[0,0,1]
	v_pk_fma_f32 v[58:59], v[8:9], v[138:139], v[58:59] op_sel_hi:[0,1,1]
	v_cvt_f32_i32_e32 v1, v3
	v_pk_fma_f32 v[54:55], v[12:13], v[22:23], v[54:55] op_sel_hi:[0,1,1]
	v_add_u32_e32 v13, 4, v13
	v_add_u32_e32 v11, 32, v11
	v_pk_fma_f32 v[0:1], v[0:1], v[30:31], v[16:17] neg_lo:[0,0,1] neg_hi:[0,0,1]
	v_add_u32_e32 v9, 4, v9
	v_pk_fma_f32 v[52:53], v[14:15], v[0:1], v[52:53] op_sel_hi:[0,1,1]
	v_add_u32_e32 v15, 4, v15
	s_cbranch_scc1 .LBB157_12
; %bb.13:                               ;   in Loop: Header=BB157_7 Depth=1
	s_barrier
	s_branch .LBB157_6
.LBB157_14:
	v_mov_b32_e32 v1, v83
	v_cmp_gt_u32_e32 vcc, s8, v87
	s_and_saveexec_b64 s[0:1], vcc
	s_cbranch_execz .LBB157_3
.LBB157_15:
	v_add_u32_e32 v0, s6, v79
	v_mul_lo_u32 v5, v87, s10
	v_cmp_gt_u32_e64 s[0:1], s10, v0
	s_and_saveexec_b64 s[2:3], s[0:1]
	s_cbranch_execz .LBB157_17
; %bb.16:
	v_bfe_u32 v2, v106, 16, 1
	s_movk_i32 s4, 0x7fff
	v_add3_u32 v2, v106, v2, s4
	v_cmp_o_f32_e32 vcc, v106, v106
	v_mov_b32_e32 v3, 0x7fc0
	s_nop 0
	v_cndmask_b32_sdwa v4, v3, v2, vcc dst_sel:DWORD dst_unused:UNUSED_PAD src0_sel:DWORD src1_sel:WORD_1
	v_add_u32_e32 v2, v0, v5
	v_mov_b32_e32 v3, 0
	s_waitcnt lgkmcnt(0)
	v_lshl_add_u64 v[2:3], v[2:3], 1, s[12:13]
	global_store_short v[2:3], v4, off
.LBB157_17:
	s_or_b64 exec, exec, s[2:3]
	v_add_u32_e32 v2, 32, v0
	v_cmp_gt_u32_e64 s[2:3], s10, v2
	s_and_saveexec_b64 s[4:5], s[2:3]
	s_cbranch_execz .LBB157_19
; %bb.18:
	v_bfe_u32 v3, v100, 16, 1
	s_movk_i32 s6, 0x7fff
	v_add3_u32 v3, v100, v3, s6
	v_cmp_o_f32_e32 vcc, v100, v100
	v_mov_b32_e32 v4, 0x7fc0
	v_add_u32_e32 v6, v2, v5
	v_mov_b32_e32 v7, 0
	v_cndmask_b32_sdwa v3, v4, v3, vcc dst_sel:DWORD dst_unused:UNUSED_PAD src0_sel:DWORD src1_sel:WORD_1
	s_waitcnt lgkmcnt(0)
	v_lshl_add_u64 v[6:7], v[6:7], 1, s[12:13]
	global_store_short v[6:7], v3, off
.LBB157_19:
	s_or_b64 exec, exec, s[4:5]
	v_add_u32_e32 v3, 64, v0
	v_cmp_gt_u32_e64 s[4:5], s10, v3
	s_and_saveexec_b64 s[6:7], s[4:5]
	s_cbranch_execz .LBB157_21
; %bb.20:
	v_bfe_u32 v4, v84, 16, 1
	s_movk_i32 s9, 0x7fff
	v_add3_u32 v4, v84, v4, s9
	v_cmp_o_f32_e32 vcc, v84, v84
	v_mov_b32_e32 v6, 0x7fc0
	v_mov_b32_e32 v7, 0
	v_cndmask_b32_sdwa v4, v6, v4, vcc dst_sel:DWORD dst_unused:UNUSED_PAD src0_sel:DWORD src1_sel:WORD_1
	v_add_u32_e32 v6, v3, v5
	s_waitcnt lgkmcnt(0)
	v_lshl_add_u64 v[6:7], v[6:7], 1, s[12:13]
	global_store_short v[6:7], v4, off
.LBB157_21:
	s_or_b64 exec, exec, s[6:7]
	v_add_u32_e32 v4, 0x60, v0
	v_cmp_gt_u32_e64 s[6:7], s10, v4
	s_and_saveexec_b64 s[14:15], s[6:7]
	s_cbranch_execz .LBB157_23
; %bb.22:
	v_bfe_u32 v6, v76, 16, 1
	s_movk_i32 s9, 0x7fff
	v_add3_u32 v6, v76, v6, s9
	v_cmp_o_f32_e32 vcc, v76, v76
	v_mov_b32_e32 v7, 0x7fc0
	s_nop 0
	v_cndmask_b32_sdwa v8, v7, v6, vcc dst_sel:DWORD dst_unused:UNUSED_PAD src0_sel:DWORD src1_sel:WORD_1
	v_add_u32_e32 v6, v4, v5
	v_mov_b32_e32 v7, 0
	s_waitcnt lgkmcnt(0)
	v_lshl_add_u64 v[6:7], v[6:7], 1, s[12:13]
	global_store_short v[6:7], v8, off
.LBB157_23:
	s_or_b64 exec, exec, s[14:15]
	v_add3_u32 v5, v1, s11, 8
	v_cmp_gt_u32_e32 vcc, s8, v5
	s_and_b64 exec, exec, vcc
	s_cbranch_execz .LBB157_3
; %bb.24:
	v_mul_lo_u32 v5, v5, s10
	s_and_saveexec_b64 s[14:15], s[0:1]
	s_cbranch_execnz .LBB157_64
; %bb.25:
	s_or_b64 exec, exec, s[14:15]
	s_and_saveexec_b64 s[14:15], s[2:3]
	s_cbranch_execnz .LBB157_65
.LBB157_26:
	s_or_b64 exec, exec, s[14:15]
	s_and_saveexec_b64 s[14:15], s[4:5]
	s_cbranch_execnz .LBB157_66
.LBB157_27:
	s_or_b64 exec, exec, s[14:15]
	s_and_saveexec_b64 s[14:15], s[6:7]
	s_cbranch_execz .LBB157_29
.LBB157_28:
	v_bfe_u32 v6, v77, 16, 1
	s_movk_i32 s9, 0x7fff
	v_add3_u32 v6, v77, v6, s9
	v_cmp_o_f32_e32 vcc, v77, v77
	v_mov_b32_e32 v7, 0x7fc0
	s_nop 0
	v_cndmask_b32_sdwa v8, v7, v6, vcc dst_sel:DWORD dst_unused:UNUSED_PAD src0_sel:DWORD src1_sel:WORD_1
	v_add_u32_e32 v6, v5, v4
	v_mov_b32_e32 v7, 0
	s_waitcnt lgkmcnt(0)
	v_lshl_add_u64 v[6:7], v[6:7], 1, s[12:13]
	global_store_short v[6:7], v8, off
.LBB157_29:
	s_or_b64 exec, exec, s[14:15]
	v_add3_u32 v5, v1, s11, 16
	v_cmp_gt_u32_e32 vcc, s8, v5
	s_and_b64 exec, exec, vcc
	s_cbranch_execz .LBB157_3
; %bb.30:
	v_mul_lo_u32 v5, v5, s10
	s_and_saveexec_b64 s[14:15], s[0:1]
	s_cbranch_execnz .LBB157_67
; %bb.31:
	s_or_b64 exec, exec, s[14:15]
	s_and_saveexec_b64 s[14:15], s[2:3]
	s_cbranch_execnz .LBB157_68
.LBB157_32:
	s_or_b64 exec, exec, s[14:15]
	s_and_saveexec_b64 s[14:15], s[4:5]
	s_cbranch_execnz .LBB157_69
.LBB157_33:
	s_or_b64 exec, exec, s[14:15]
	s_and_saveexec_b64 s[14:15], s[6:7]
	s_cbranch_execz .LBB157_35
.LBB157_34:
	v_bfe_u32 v6, v68, 16, 1
	s_movk_i32 s9, 0x7fff
	v_add3_u32 v6, v68, v6, s9
	v_cmp_o_f32_e32 vcc, v68, v68
	v_mov_b32_e32 v7, 0x7fc0
	s_nop 0
	v_cndmask_b32_sdwa v8, v7, v6, vcc dst_sel:DWORD dst_unused:UNUSED_PAD src0_sel:DWORD src1_sel:WORD_1
	v_add_u32_e32 v6, v5, v4
	v_mov_b32_e32 v7, 0
	s_waitcnt lgkmcnt(0)
	v_lshl_add_u64 v[6:7], v[6:7], 1, s[12:13]
	global_store_short v[6:7], v8, off
.LBB157_35:
	s_or_b64 exec, exec, s[14:15]
	v_add3_u32 v5, v1, s11, 24
	v_cmp_gt_u32_e32 vcc, s8, v5
	s_and_b64 exec, exec, vcc
	s_cbranch_execz .LBB157_3
; %bb.36:
	v_mul_lo_u32 v5, v5, s10
	s_and_saveexec_b64 s[14:15], s[0:1]
	s_cbranch_execnz .LBB157_70
; %bb.37:
	s_or_b64 exec, exec, s[14:15]
	s_and_saveexec_b64 s[14:15], s[2:3]
	s_cbranch_execnz .LBB157_71
.LBB157_38:
	s_or_b64 exec, exec, s[14:15]
	s_and_saveexec_b64 s[14:15], s[4:5]
	s_cbranch_execnz .LBB157_72
.LBB157_39:
	s_or_b64 exec, exec, s[14:15]
	s_and_saveexec_b64 s[14:15], s[6:7]
	s_cbranch_execz .LBB157_41
.LBB157_40:
	v_bfe_u32 v6, v69, 16, 1
	s_movk_i32 s9, 0x7fff
	v_add3_u32 v6, v69, v6, s9
	v_cmp_o_f32_e32 vcc, v69, v69
	v_mov_b32_e32 v7, 0x7fc0
	s_nop 0
	v_cndmask_b32_sdwa v8, v7, v6, vcc dst_sel:DWORD dst_unused:UNUSED_PAD src0_sel:DWORD src1_sel:WORD_1
	v_add_u32_e32 v6, v5, v4
	v_mov_b32_e32 v7, 0
	s_waitcnt lgkmcnt(0)
	v_lshl_add_u64 v[6:7], v[6:7], 1, s[12:13]
	global_store_short v[6:7], v8, off
.LBB157_41:
	s_or_b64 exec, exec, s[14:15]
	v_add3_u32 v5, v1, s11, 32
	v_cmp_gt_u32_e32 vcc, s8, v5
	s_and_b64 exec, exec, vcc
	s_cbranch_execz .LBB157_3
; %bb.42:
	v_mul_lo_u32 v5, v5, s10
	s_and_saveexec_b64 s[14:15], s[0:1]
	s_cbranch_execnz .LBB157_73
; %bb.43:
	s_or_b64 exec, exec, s[14:15]
	s_and_saveexec_b64 s[14:15], s[2:3]
	s_cbranch_execnz .LBB157_74
.LBB157_44:
	s_or_b64 exec, exec, s[14:15]
	s_and_saveexec_b64 s[14:15], s[4:5]
	s_cbranch_execnz .LBB157_75
.LBB157_45:
	s_or_b64 exec, exec, s[14:15]
	s_and_saveexec_b64 s[14:15], s[6:7]
	s_cbranch_execz .LBB157_47
.LBB157_46:
	v_bfe_u32 v6, v60, 16, 1
	s_movk_i32 s9, 0x7fff
	v_add3_u32 v6, v60, v6, s9
	v_cmp_o_f32_e32 vcc, v60, v60
	v_mov_b32_e32 v7, 0x7fc0
	s_nop 0
	v_cndmask_b32_sdwa v8, v7, v6, vcc dst_sel:DWORD dst_unused:UNUSED_PAD src0_sel:DWORD src1_sel:WORD_1
	v_add_u32_e32 v6, v5, v4
	v_mov_b32_e32 v7, 0
	s_waitcnt lgkmcnt(0)
	v_lshl_add_u64 v[6:7], v[6:7], 1, s[12:13]
	global_store_short v[6:7], v8, off
.LBB157_47:
	s_or_b64 exec, exec, s[14:15]
	v_add3_u32 v5, v1, s11, 40
	v_cmp_gt_u32_e32 vcc, s8, v5
	s_and_b64 exec, exec, vcc
	s_cbranch_execz .LBB157_3
; %bb.48:
	v_mul_lo_u32 v5, v5, s10
	s_and_saveexec_b64 s[14:15], s[0:1]
	s_cbranch_execnz .LBB157_76
; %bb.49:
	s_or_b64 exec, exec, s[14:15]
	s_and_saveexec_b64 s[14:15], s[2:3]
	s_cbranch_execnz .LBB157_77
.LBB157_50:
	s_or_b64 exec, exec, s[14:15]
	s_and_saveexec_b64 s[14:15], s[4:5]
	s_cbranch_execnz .LBB157_78
.LBB157_51:
	s_or_b64 exec, exec, s[14:15]
	s_and_saveexec_b64 s[14:15], s[6:7]
	s_cbranch_execz .LBB157_53
.LBB157_52:
	v_bfe_u32 v6, v61, 16, 1
	s_movk_i32 s9, 0x7fff
	v_add3_u32 v6, v61, v6, s9
	v_cmp_o_f32_e32 vcc, v61, v61
	v_mov_b32_e32 v7, 0x7fc0
	s_nop 0
	v_cndmask_b32_sdwa v8, v7, v6, vcc dst_sel:DWORD dst_unused:UNUSED_PAD src0_sel:DWORD src1_sel:WORD_1
	v_add_u32_e32 v6, v5, v4
	v_mov_b32_e32 v7, 0
	s_waitcnt lgkmcnt(0)
	v_lshl_add_u64 v[6:7], v[6:7], 1, s[12:13]
	global_store_short v[6:7], v8, off
.LBB157_53:
	s_or_b64 exec, exec, s[14:15]
	v_add3_u32 v5, v1, s11, 48
	v_cmp_gt_u32_e32 vcc, s8, v5
	s_and_b64 exec, exec, vcc
	s_cbranch_execz .LBB157_3
; %bb.54:
	v_mul_lo_u32 v5, v5, s10
	s_and_saveexec_b64 s[14:15], s[0:1]
	s_cbranch_execnz .LBB157_79
; %bb.55:
	s_or_b64 exec, exec, s[14:15]
	s_and_saveexec_b64 s[14:15], s[2:3]
	s_cbranch_execnz .LBB157_80
.LBB157_56:
	s_or_b64 exec, exec, s[14:15]
	s_and_saveexec_b64 s[14:15], s[4:5]
	s_cbranch_execnz .LBB157_81
.LBB157_57:
	s_or_b64 exec, exec, s[14:15]
	s_and_saveexec_b64 s[14:15], s[6:7]
	s_cbranch_execz .LBB157_59
.LBB157_58:
	v_bfe_u32 v6, v52, 16, 1
	s_movk_i32 s9, 0x7fff
	v_add3_u32 v6, v52, v6, s9
	v_cmp_o_f32_e32 vcc, v52, v52
	v_mov_b32_e32 v7, 0x7fc0
	s_nop 0
	v_cndmask_b32_sdwa v8, v7, v6, vcc dst_sel:DWORD dst_unused:UNUSED_PAD src0_sel:DWORD src1_sel:WORD_1
	v_add_u32_e32 v6, v5, v4
	v_mov_b32_e32 v7, 0
	s_waitcnt lgkmcnt(0)
	v_lshl_add_u64 v[6:7], v[6:7], 1, s[12:13]
	global_store_short v[6:7], v8, off
.LBB157_59:
	s_or_b64 exec, exec, s[14:15]
	v_add3_u32 v1, v1, s11, 56
	v_cmp_gt_u32_e32 vcc, s8, v1
	s_and_b64 exec, exec, vcc
	s_cbranch_execz .LBB157_3
; %bb.60:
	v_mul_lo_u32 v1, v1, s10
	s_and_saveexec_b64 s[8:9], s[0:1]
	s_cbranch_execnz .LBB157_82
; %bb.61:
	s_or_b64 exec, exec, s[8:9]
	s_and_saveexec_b64 s[0:1], s[2:3]
	s_cbranch_execnz .LBB157_83
.LBB157_62:
	s_or_b64 exec, exec, s[0:1]
	s_and_saveexec_b64 s[0:1], s[4:5]
	s_cbranch_execnz .LBB157_84
.LBB157_63:
	s_or_b64 exec, exec, s[0:1]
	s_and_b64 exec, exec, s[6:7]
	s_cbranch_execz .LBB157_3
	s_branch .LBB157_85
.LBB157_64:
	v_bfe_u32 v6, v107, 16, 1
	s_movk_i32 s9, 0x7fff
	v_add3_u32 v6, v107, v6, s9
	v_cmp_o_f32_e32 vcc, v107, v107
	v_mov_b32_e32 v7, 0x7fc0
	s_nop 0
	v_cndmask_b32_sdwa v8, v7, v6, vcc dst_sel:DWORD dst_unused:UNUSED_PAD src0_sel:DWORD src1_sel:WORD_1
	v_add_u32_e32 v6, v5, v0
	v_mov_b32_e32 v7, 0
	s_waitcnt lgkmcnt(0)
	v_lshl_add_u64 v[6:7], v[6:7], 1, s[12:13]
	global_store_short v[6:7], v8, off
	s_or_b64 exec, exec, s[14:15]
	s_and_saveexec_b64 s[14:15], s[2:3]
	s_cbranch_execz .LBB157_26
.LBB157_65:
	v_bfe_u32 v6, v101, 16, 1
	s_movk_i32 s9, 0x7fff
	v_add3_u32 v6, v101, v6, s9
	v_cmp_o_f32_e32 vcc, v101, v101
	v_mov_b32_e32 v7, 0x7fc0
	s_nop 0
	v_cndmask_b32_sdwa v8, v7, v6, vcc dst_sel:DWORD dst_unused:UNUSED_PAD src0_sel:DWORD src1_sel:WORD_1
	v_add_u32_e32 v6, v5, v2
	v_mov_b32_e32 v7, 0
	s_waitcnt lgkmcnt(0)
	v_lshl_add_u64 v[6:7], v[6:7], 1, s[12:13]
	global_store_short v[6:7], v8, off
	s_or_b64 exec, exec, s[14:15]
	s_and_saveexec_b64 s[14:15], s[4:5]
	s_cbranch_execz .LBB157_27
.LBB157_66:
	v_bfe_u32 v6, v85, 16, 1
	s_movk_i32 s9, 0x7fff
	v_add3_u32 v6, v85, v6, s9
	v_cmp_o_f32_e32 vcc, v85, v85
	v_mov_b32_e32 v7, 0x7fc0
	s_nop 0
	v_cndmask_b32_sdwa v8, v7, v6, vcc dst_sel:DWORD dst_unused:UNUSED_PAD src0_sel:DWORD src1_sel:WORD_1
	v_add_u32_e32 v6, v5, v3
	v_mov_b32_e32 v7, 0
	s_waitcnt lgkmcnt(0)
	v_lshl_add_u64 v[6:7], v[6:7], 1, s[12:13]
	global_store_short v[6:7], v8, off
	s_or_b64 exec, exec, s[14:15]
	s_and_saveexec_b64 s[14:15], s[6:7]
	s_cbranch_execnz .LBB157_28
	s_branch .LBB157_29
.LBB157_67:
	v_bfe_u32 v6, v74, 16, 1
	s_movk_i32 s9, 0x7fff
	v_add3_u32 v6, v74, v6, s9
	v_cmp_o_f32_e32 vcc, v74, v74
	v_mov_b32_e32 v7, 0x7fc0
	s_nop 0
	v_cndmask_b32_sdwa v8, v7, v6, vcc dst_sel:DWORD dst_unused:UNUSED_PAD src0_sel:DWORD src1_sel:WORD_1
	v_add_u32_e32 v6, v5, v0
	v_mov_b32_e32 v7, 0
	s_waitcnt lgkmcnt(0)
	v_lshl_add_u64 v[6:7], v[6:7], 1, s[12:13]
	global_store_short v[6:7], v8, off
	s_or_b64 exec, exec, s[14:15]
	s_and_saveexec_b64 s[14:15], s[2:3]
	s_cbranch_execz .LBB157_32
.LBB157_68:
	v_bfe_u32 v6, v72, 16, 1
	s_movk_i32 s9, 0x7fff
	v_add3_u32 v6, v72, v6, s9
	v_cmp_o_f32_e32 vcc, v72, v72
	v_mov_b32_e32 v7, 0x7fc0
	s_nop 0
	v_cndmask_b32_sdwa v8, v7, v6, vcc dst_sel:DWORD dst_unused:UNUSED_PAD src0_sel:DWORD src1_sel:WORD_1
	v_add_u32_e32 v6, v5, v2
	v_mov_b32_e32 v7, 0
	s_waitcnt lgkmcnt(0)
	v_lshl_add_u64 v[6:7], v[6:7], 1, s[12:13]
	global_store_short v[6:7], v8, off
	s_or_b64 exec, exec, s[14:15]
	s_and_saveexec_b64 s[14:15], s[4:5]
	s_cbranch_execz .LBB157_33
.LBB157_69:
	v_bfe_u32 v6, v70, 16, 1
	s_movk_i32 s9, 0x7fff
	v_add3_u32 v6, v70, v6, s9
	v_cmp_o_f32_e32 vcc, v70, v70
	v_mov_b32_e32 v7, 0x7fc0
	s_nop 0
	v_cndmask_b32_sdwa v8, v7, v6, vcc dst_sel:DWORD dst_unused:UNUSED_PAD src0_sel:DWORD src1_sel:WORD_1
	v_add_u32_e32 v6, v5, v3
	v_mov_b32_e32 v7, 0
	s_waitcnt lgkmcnt(0)
	v_lshl_add_u64 v[6:7], v[6:7], 1, s[12:13]
	global_store_short v[6:7], v8, off
	s_or_b64 exec, exec, s[14:15]
	s_and_saveexec_b64 s[14:15], s[6:7]
	s_cbranch_execnz .LBB157_34
	s_branch .LBB157_35
.LBB157_70:
	v_bfe_u32 v6, v75, 16, 1
	s_movk_i32 s9, 0x7fff
	v_add3_u32 v6, v75, v6, s9
	v_cmp_o_f32_e32 vcc, v75, v75
	v_mov_b32_e32 v7, 0x7fc0
	s_nop 0
	v_cndmask_b32_sdwa v8, v7, v6, vcc dst_sel:DWORD dst_unused:UNUSED_PAD src0_sel:DWORD src1_sel:WORD_1
	v_add_u32_e32 v6, v5, v0
	v_mov_b32_e32 v7, 0
	s_waitcnt lgkmcnt(0)
	v_lshl_add_u64 v[6:7], v[6:7], 1, s[12:13]
	global_store_short v[6:7], v8, off
	s_or_b64 exec, exec, s[14:15]
	s_and_saveexec_b64 s[14:15], s[2:3]
	s_cbranch_execz .LBB157_38
.LBB157_71:
	v_bfe_u32 v6, v73, 16, 1
	s_movk_i32 s9, 0x7fff
	v_add3_u32 v6, v73, v6, s9
	v_cmp_o_f32_e32 vcc, v73, v73
	v_mov_b32_e32 v7, 0x7fc0
	s_nop 0
	v_cndmask_b32_sdwa v8, v7, v6, vcc dst_sel:DWORD dst_unused:UNUSED_PAD src0_sel:DWORD src1_sel:WORD_1
	v_add_u32_e32 v6, v5, v2
	v_mov_b32_e32 v7, 0
	s_waitcnt lgkmcnt(0)
	v_lshl_add_u64 v[6:7], v[6:7], 1, s[12:13]
	global_store_short v[6:7], v8, off
	s_or_b64 exec, exec, s[14:15]
	s_and_saveexec_b64 s[14:15], s[4:5]
	s_cbranch_execz .LBB157_39
.LBB157_72:
	v_bfe_u32 v6, v71, 16, 1
	s_movk_i32 s9, 0x7fff
	v_add3_u32 v6, v71, v6, s9
	v_cmp_o_f32_e32 vcc, v71, v71
	v_mov_b32_e32 v7, 0x7fc0
	s_nop 0
	v_cndmask_b32_sdwa v8, v7, v6, vcc dst_sel:DWORD dst_unused:UNUSED_PAD src0_sel:DWORD src1_sel:WORD_1
	v_add_u32_e32 v6, v5, v3
	v_mov_b32_e32 v7, 0
	s_waitcnt lgkmcnt(0)
	v_lshl_add_u64 v[6:7], v[6:7], 1, s[12:13]
	global_store_short v[6:7], v8, off
	s_or_b64 exec, exec, s[14:15]
	s_and_saveexec_b64 s[14:15], s[6:7]
	s_cbranch_execnz .LBB157_40
	s_branch .LBB157_41
.LBB157_73:
	v_bfe_u32 v6, v66, 16, 1
	s_movk_i32 s9, 0x7fff
	v_add3_u32 v6, v66, v6, s9
	v_cmp_o_f32_e32 vcc, v66, v66
	v_mov_b32_e32 v7, 0x7fc0
	s_nop 0
	v_cndmask_b32_sdwa v8, v7, v6, vcc dst_sel:DWORD dst_unused:UNUSED_PAD src0_sel:DWORD src1_sel:WORD_1
	v_add_u32_e32 v6, v5, v0
	v_mov_b32_e32 v7, 0
	s_waitcnt lgkmcnt(0)
	v_lshl_add_u64 v[6:7], v[6:7], 1, s[12:13]
	global_store_short v[6:7], v8, off
	s_or_b64 exec, exec, s[14:15]
	s_and_saveexec_b64 s[14:15], s[2:3]
	s_cbranch_execz .LBB157_44
.LBB157_74:
	v_bfe_u32 v6, v64, 16, 1
	s_movk_i32 s9, 0x7fff
	v_add3_u32 v6, v64, v6, s9
	v_cmp_o_f32_e32 vcc, v64, v64
	v_mov_b32_e32 v7, 0x7fc0
	s_nop 0
	v_cndmask_b32_sdwa v8, v7, v6, vcc dst_sel:DWORD dst_unused:UNUSED_PAD src0_sel:DWORD src1_sel:WORD_1
	v_add_u32_e32 v6, v5, v2
	v_mov_b32_e32 v7, 0
	s_waitcnt lgkmcnt(0)
	v_lshl_add_u64 v[6:7], v[6:7], 1, s[12:13]
	global_store_short v[6:7], v8, off
	s_or_b64 exec, exec, s[14:15]
	s_and_saveexec_b64 s[14:15], s[4:5]
	s_cbranch_execz .LBB157_45
.LBB157_75:
	v_bfe_u32 v6, v62, 16, 1
	s_movk_i32 s9, 0x7fff
	v_add3_u32 v6, v62, v6, s9
	v_cmp_o_f32_e32 vcc, v62, v62
	v_mov_b32_e32 v7, 0x7fc0
	s_nop 0
	v_cndmask_b32_sdwa v8, v7, v6, vcc dst_sel:DWORD dst_unused:UNUSED_PAD src0_sel:DWORD src1_sel:WORD_1
	v_add_u32_e32 v6, v5, v3
	v_mov_b32_e32 v7, 0
	s_waitcnt lgkmcnt(0)
	v_lshl_add_u64 v[6:7], v[6:7], 1, s[12:13]
	global_store_short v[6:7], v8, off
	s_or_b64 exec, exec, s[14:15]
	s_and_saveexec_b64 s[14:15], s[6:7]
	s_cbranch_execnz .LBB157_46
	s_branch .LBB157_47
.LBB157_76:
	v_bfe_u32 v6, v67, 16, 1
	s_movk_i32 s9, 0x7fff
	v_add3_u32 v6, v67, v6, s9
	v_cmp_o_f32_e32 vcc, v67, v67
	v_mov_b32_e32 v7, 0x7fc0
	s_nop 0
	v_cndmask_b32_sdwa v8, v7, v6, vcc dst_sel:DWORD dst_unused:UNUSED_PAD src0_sel:DWORD src1_sel:WORD_1
	v_add_u32_e32 v6, v5, v0
	v_mov_b32_e32 v7, 0
	s_waitcnt lgkmcnt(0)
	v_lshl_add_u64 v[6:7], v[6:7], 1, s[12:13]
	global_store_short v[6:7], v8, off
	s_or_b64 exec, exec, s[14:15]
	s_and_saveexec_b64 s[14:15], s[2:3]
	s_cbranch_execz .LBB157_50
.LBB157_77:
	v_bfe_u32 v6, v65, 16, 1
	s_movk_i32 s9, 0x7fff
	v_add3_u32 v6, v65, v6, s9
	v_cmp_o_f32_e32 vcc, v65, v65
	v_mov_b32_e32 v7, 0x7fc0
	s_nop 0
	v_cndmask_b32_sdwa v8, v7, v6, vcc dst_sel:DWORD dst_unused:UNUSED_PAD src0_sel:DWORD src1_sel:WORD_1
	v_add_u32_e32 v6, v5, v2
	v_mov_b32_e32 v7, 0
	s_waitcnt lgkmcnt(0)
	v_lshl_add_u64 v[6:7], v[6:7], 1, s[12:13]
	global_store_short v[6:7], v8, off
	s_or_b64 exec, exec, s[14:15]
	s_and_saveexec_b64 s[14:15], s[4:5]
	s_cbranch_execz .LBB157_51
.LBB157_78:
	v_bfe_u32 v6, v63, 16, 1
	s_movk_i32 s9, 0x7fff
	v_add3_u32 v6, v63, v6, s9
	v_cmp_o_f32_e32 vcc, v63, v63
	v_mov_b32_e32 v7, 0x7fc0
	s_nop 0
	v_cndmask_b32_sdwa v8, v7, v6, vcc dst_sel:DWORD dst_unused:UNUSED_PAD src0_sel:DWORD src1_sel:WORD_1
	v_add_u32_e32 v6, v5, v3
	v_mov_b32_e32 v7, 0
	s_waitcnt lgkmcnt(0)
	v_lshl_add_u64 v[6:7], v[6:7], 1, s[12:13]
	global_store_short v[6:7], v8, off
	s_or_b64 exec, exec, s[14:15]
	s_and_saveexec_b64 s[14:15], s[6:7]
	s_cbranch_execnz .LBB157_52
	s_branch .LBB157_53
.LBB157_79:
	v_bfe_u32 v6, v58, 16, 1
	s_movk_i32 s9, 0x7fff
	v_add3_u32 v6, v58, v6, s9
	v_cmp_o_f32_e32 vcc, v58, v58
	v_mov_b32_e32 v7, 0x7fc0
	s_nop 0
	v_cndmask_b32_sdwa v8, v7, v6, vcc dst_sel:DWORD dst_unused:UNUSED_PAD src0_sel:DWORD src1_sel:WORD_1
	v_add_u32_e32 v6, v5, v0
	v_mov_b32_e32 v7, 0
	s_waitcnt lgkmcnt(0)
	v_lshl_add_u64 v[6:7], v[6:7], 1, s[12:13]
	global_store_short v[6:7], v8, off
	s_or_b64 exec, exec, s[14:15]
	s_and_saveexec_b64 s[14:15], s[2:3]
	s_cbranch_execz .LBB157_56
.LBB157_80:
	v_bfe_u32 v6, v56, 16, 1
	s_movk_i32 s9, 0x7fff
	v_add3_u32 v6, v56, v6, s9
	v_cmp_o_f32_e32 vcc, v56, v56
	v_mov_b32_e32 v7, 0x7fc0
	s_nop 0
	v_cndmask_b32_sdwa v8, v7, v6, vcc dst_sel:DWORD dst_unused:UNUSED_PAD src0_sel:DWORD src1_sel:WORD_1
	v_add_u32_e32 v6, v5, v2
	v_mov_b32_e32 v7, 0
	s_waitcnt lgkmcnt(0)
	v_lshl_add_u64 v[6:7], v[6:7], 1, s[12:13]
	global_store_short v[6:7], v8, off
	s_or_b64 exec, exec, s[14:15]
	s_and_saveexec_b64 s[14:15], s[4:5]
	s_cbranch_execz .LBB157_57
.LBB157_81:
	v_bfe_u32 v6, v54, 16, 1
	s_movk_i32 s9, 0x7fff
	v_add3_u32 v6, v54, v6, s9
	v_cmp_o_f32_e32 vcc, v54, v54
	v_mov_b32_e32 v7, 0x7fc0
	s_nop 0
	v_cndmask_b32_sdwa v8, v7, v6, vcc dst_sel:DWORD dst_unused:UNUSED_PAD src0_sel:DWORD src1_sel:WORD_1
	v_add_u32_e32 v6, v5, v3
	v_mov_b32_e32 v7, 0
	s_waitcnt lgkmcnt(0)
	v_lshl_add_u64 v[6:7], v[6:7], 1, s[12:13]
	global_store_short v[6:7], v8, off
	s_or_b64 exec, exec, s[14:15]
	s_and_saveexec_b64 s[14:15], s[6:7]
	s_cbranch_execnz .LBB157_58
	s_branch .LBB157_59
.LBB157_82:
	v_bfe_u32 v5, v59, 16, 1
	s_movk_i32 s0, 0x7fff
	v_add3_u32 v5, v59, v5, s0
	v_cmp_o_f32_e32 vcc, v59, v59
	v_mov_b32_e32 v6, 0x7fc0
	v_mov_b32_e32 v7, 0
	v_cndmask_b32_sdwa v5, v6, v5, vcc dst_sel:DWORD dst_unused:UNUSED_PAD src0_sel:DWORD src1_sel:WORD_1
	v_add_u32_e32 v6, v1, v0
	s_waitcnt lgkmcnt(0)
	v_lshl_add_u64 v[6:7], v[6:7], 1, s[12:13]
	global_store_short v[6:7], v5, off
	s_or_b64 exec, exec, s[8:9]
	s_and_saveexec_b64 s[0:1], s[2:3]
	s_cbranch_execz .LBB157_62
.LBB157_83:
	v_bfe_u32 v0, v57, 16, 1
	s_movk_i32 s2, 0x7fff
	v_add3_u32 v0, v57, v0, s2
	v_cmp_o_f32_e32 vcc, v57, v57
	v_mov_b32_e32 v5, 0x7fc0
	v_add_u32_e32 v6, v1, v2
	v_mov_b32_e32 v7, 0
	v_cndmask_b32_sdwa v0, v5, v0, vcc dst_sel:DWORD dst_unused:UNUSED_PAD src0_sel:DWORD src1_sel:WORD_1
	s_waitcnt lgkmcnt(0)
	v_lshl_add_u64 v[6:7], v[6:7], 1, s[12:13]
	global_store_short v[6:7], v0, off
	s_or_b64 exec, exec, s[0:1]
	s_and_saveexec_b64 s[0:1], s[4:5]
	s_cbranch_execz .LBB157_63
.LBB157_84:
	v_bfe_u32 v0, v55, 16, 1
	s_movk_i32 s2, 0x7fff
	v_add3_u32 v0, v55, v0, s2
	v_cmp_o_f32_e32 vcc, v55, v55
	v_mov_b32_e32 v2, 0x7fc0
	s_nop 0
	v_cndmask_b32_sdwa v0, v2, v0, vcc dst_sel:DWORD dst_unused:UNUSED_PAD src0_sel:DWORD src1_sel:WORD_1
	v_add_u32_e32 v2, v1, v3
	v_mov_b32_e32 v3, 0
	s_waitcnt lgkmcnt(0)
	v_lshl_add_u64 v[2:3], v[2:3], 1, s[12:13]
	global_store_short v[2:3], v0, off
	s_or_b64 exec, exec, s[0:1]
	s_and_b64 exec, exec, s[6:7]
	s_cbranch_execz .LBB157_3
.LBB157_85:
	v_bfe_u32 v0, v53, 16, 1
	s_movk_i32 s0, 0x7fff
	v_add3_u32 v0, v53, v0, s0
	v_cmp_o_f32_e32 vcc, v53, v53
	v_mov_b32_e32 v2, 0x7fc0
	s_nop 0
	v_cndmask_b32_sdwa v2, v2, v0, vcc dst_sel:DWORD dst_unused:UNUSED_PAD src0_sel:DWORD src1_sel:WORD_1
	v_add_u32_e32 v0, v1, v4
	v_mov_b32_e32 v1, 0
	s_waitcnt lgkmcnt(0)
	v_lshl_add_u64 v[0:1], v[0:1], 1, s[12:13]
	global_store_short v[0:1], v2, off
	s_endpgm
	.section	.rodata,"a",@progbits
	.p2align	6, 0x0
	.amdhsa_kernel _ZL12mul_mat_q4_0IN3c108BFloat16ELb0EEvPKvS3_PT_iiiii
		.amdhsa_group_segment_fixed_size 30336
		.amdhsa_private_segment_fixed_size 0
		.amdhsa_kernarg_size 44
		.amdhsa_user_sgpr_count 2
		.amdhsa_user_sgpr_dispatch_ptr 0
		.amdhsa_user_sgpr_queue_ptr 0
		.amdhsa_user_sgpr_kernarg_segment_ptr 1
		.amdhsa_user_sgpr_dispatch_id 0
		.amdhsa_user_sgpr_kernarg_preload_length 0
		.amdhsa_user_sgpr_kernarg_preload_offset 0
		.amdhsa_user_sgpr_private_segment_size 0
		.amdhsa_uses_dynamic_stack 0
		.amdhsa_enable_private_segment 0
		.amdhsa_system_sgpr_workgroup_id_x 1
		.amdhsa_system_sgpr_workgroup_id_y 1
		.amdhsa_system_sgpr_workgroup_id_z 0
		.amdhsa_system_sgpr_workgroup_info 0
		.amdhsa_system_vgpr_workitem_id 1
		.amdhsa_next_free_vgpr 243
		.amdhsa_next_free_sgpr 96
		.amdhsa_accum_offset 244
		.amdhsa_reserve_vcc 1
		.amdhsa_float_round_mode_32 0
		.amdhsa_float_round_mode_16_64 0
		.amdhsa_float_denorm_mode_32 3
		.amdhsa_float_denorm_mode_16_64 3
		.amdhsa_dx10_clamp 1
		.amdhsa_ieee_mode 1
		.amdhsa_fp16_overflow 0
		.amdhsa_tg_split 0
		.amdhsa_exception_fp_ieee_invalid_op 0
		.amdhsa_exception_fp_denorm_src 0
		.amdhsa_exception_fp_ieee_div_zero 0
		.amdhsa_exception_fp_ieee_overflow 0
		.amdhsa_exception_fp_ieee_underflow 0
		.amdhsa_exception_fp_ieee_inexact 0
		.amdhsa_exception_int_div_zero 0
	.end_amdhsa_kernel
	.section	.text._ZL12mul_mat_q4_0IN3c108BFloat16ELb0EEvPKvS3_PT_iiiii,"axG",@progbits,_ZL12mul_mat_q4_0IN3c108BFloat16ELb0EEvPKvS3_PT_iiiii,comdat
.Lfunc_end157:
	.size	_ZL12mul_mat_q4_0IN3c108BFloat16ELb0EEvPKvS3_PT_iiiii, .Lfunc_end157-_ZL12mul_mat_q4_0IN3c108BFloat16ELb0EEvPKvS3_PT_iiiii
                                        ; -- End function
	.set _ZL12mul_mat_q4_0IN3c108BFloat16ELb0EEvPKvS3_PT_iiiii.num_vgpr, 243
	.set _ZL12mul_mat_q4_0IN3c108BFloat16ELb0EEvPKvS3_PT_iiiii.num_agpr, 0
	.set _ZL12mul_mat_q4_0IN3c108BFloat16ELb0EEvPKvS3_PT_iiiii.numbered_sgpr, 18
	.set _ZL12mul_mat_q4_0IN3c108BFloat16ELb0EEvPKvS3_PT_iiiii.num_named_barrier, 0
	.set _ZL12mul_mat_q4_0IN3c108BFloat16ELb0EEvPKvS3_PT_iiiii.private_seg_size, 0
	.set _ZL12mul_mat_q4_0IN3c108BFloat16ELb0EEvPKvS3_PT_iiiii.uses_vcc, 1
	.set _ZL12mul_mat_q4_0IN3c108BFloat16ELb0EEvPKvS3_PT_iiiii.uses_flat_scratch, 0
	.set _ZL12mul_mat_q4_0IN3c108BFloat16ELb0EEvPKvS3_PT_iiiii.has_dyn_sized_stack, 0
	.set _ZL12mul_mat_q4_0IN3c108BFloat16ELb0EEvPKvS3_PT_iiiii.has_recursion, 0
	.set _ZL12mul_mat_q4_0IN3c108BFloat16ELb0EEvPKvS3_PT_iiiii.has_indirect_call, 0
	.section	.AMDGPU.csdata,"",@progbits
; Kernel info:
; codeLenInByte = 10816
; TotalNumSgprs: 24
; NumVgprs: 243
; NumAgprs: 0
; TotalNumVgprs: 243
; ScratchSize: 0
; MemoryBound: 0
; FloatMode: 240
; IeeeMode: 1
; LDSByteSize: 30336 bytes/workgroup (compile time only)
; SGPRBlocks: 12
; VGPRBlocks: 30
; NumSGPRsForWavesPerEU: 102
; NumVGPRsForWavesPerEU: 243
; AccumOffset: 244
; Occupancy: 2
; WaveLimiterHint : 0
; COMPUTE_PGM_RSRC2:SCRATCH_EN: 0
; COMPUTE_PGM_RSRC2:USER_SGPR: 2
; COMPUTE_PGM_RSRC2:TRAP_HANDLER: 0
; COMPUTE_PGM_RSRC2:TGID_X_EN: 1
; COMPUTE_PGM_RSRC2:TGID_Y_EN: 1
; COMPUTE_PGM_RSRC2:TGID_Z_EN: 0
; COMPUTE_PGM_RSRC2:TIDIG_COMP_CNT: 1
; COMPUTE_PGM_RSRC3_GFX90A:ACCUM_OFFSET: 60
; COMPUTE_PGM_RSRC3_GFX90A:TG_SPLIT: 0
	.section	.text._ZL12mul_mat_q4_0IN3c108BFloat16ELb1EEvPKvS3_PT_iiiii,"axG",@progbits,_ZL12mul_mat_q4_0IN3c108BFloat16ELb1EEvPKvS3_PT_iiiii,comdat
	.globl	_ZL12mul_mat_q4_0IN3c108BFloat16ELb1EEvPKvS3_PT_iiiii ; -- Begin function _ZL12mul_mat_q4_0IN3c108BFloat16ELb1EEvPKvS3_PT_iiiii
	.p2align	8
	.type	_ZL12mul_mat_q4_0IN3c108BFloat16ELb1EEvPKvS3_PT_iiiii,@function
_ZL12mul_mat_q4_0IN3c108BFloat16ELb1EEvPKvS3_PT_iiiii: ; @_ZL12mul_mat_q4_0IN3c108BFloat16ELb1EEvPKvS3_PT_iiiii
; %bb.0:
	s_load_dwordx4 s[8:11], s[0:1], 0x18
	s_load_dword s14, s[0:1], 0x28
	s_lshl_b32 s15, s3, 6
	v_bfe_u32 v113, v0, 10, 10
	s_waitcnt lgkmcnt(0)
	s_cmp_gt_i32 s8, 31
	s_cbranch_scc1 .LBB158_4
; %bb.1:
	v_bfe_u32 v1, v0, 10, 10
	v_and_b32_e32 v77, 0x3ff, v0
	v_add_u32_e32 v81, s15, v1
	s_load_dwordx2 s[12:13], s[0:1], 0x10
	s_lshl_b32 s6, s2, 7
	s_cbranch_execz .LBB158_5
; %bb.2:
	v_mov_b32_e32 v52, 0
	v_mov_b32_e32 v53, v52
	v_mov_b64_e32 v[60:61], v[52:53]
	v_mov_b64_e32 v[68:69], v[52:53]
	;; [unrolled: 1-line block ×15, first 2 shown]
	v_cmp_gt_u32_e32 vcc, s10, v81
	s_and_saveexec_b64 s[0:1], vcc
	s_cbranch_execnz .LBB158_15
.LBB158_3:
	s_endpgm
.LBB158_4:
                                        ; implicit-def: $vgpr1
                                        ; implicit-def: $vgpr77
                                        ; implicit-def: $vgpr81
	s_load_dwordx2 s[12:13], s[0:1], 0x10
	s_lshl_b32 s6, s2, 7
.LBB158_5:
	s_ashr_i32 s4, s8, 31
	s_lshr_b32 s4, s4, 27
	s_add_i32 s4, s8, s4
	s_load_dwordx4 s[0:3], s[0:1], 0x0
	s_ashr_i32 s7, s4, 5
	s_ashr_i32 s4, s11, 31
	s_lshr_b32 s4, s4, 27
	s_add_i32 s4, s11, s4
	s_ashr_i32 s5, s4, 5
	s_mul_i32 s4, s7, s6
	s_mul_hi_i32 s11, s4, 18
	s_mul_i32 s4, s4, 18
	s_waitcnt lgkmcnt(0)
	s_add_u32 s8, s0, s4
	s_addc_u32 s1, s1, s11
	s_not_b32 s0, s6
	s_add_i32 s0, s9, s0
	v_add_u32_e32 v1, 64, v113
	v_min_i32_e32 v22, s0, v1
	v_add_u32_e32 v1, 0x48, v113
	v_min_i32_e32 v23, s0, v1
	;; [unrolled: 2-line block ×3, first 2 shown]
	v_add_u32_e32 v1, 0x58, v113
	v_and_b32_e32 v77, 0x3ff, v0
	v_add_u32_e32 v8, 8, v113
	v_min_i32_e32 v25, s0, v1
	v_add_u32_e32 v1, 0x60, v113
	v_lshlrev_b32_e32 v2, 2, v77
	v_min_i32_e32 v3, s0, v113
	s_movk_i32 s4, 0x84
	v_min_i32_e32 v9, s0, v8
	v_min_i32_e32 v26, s0, v1
	v_add_u32_e32 v1, 0x68, v113
	v_mad_u64_u32 v[82:83], s[16:17], v9, s4, v[2:3]
	v_min_i32_e32 v27, s0, v1
	v_add_u32_e32 v1, 0x70, v113
	v_min_i32_e32 v28, s0, v1
	v_add_u32_e32 v1, 0x78, v113
	v_bfe_u32 v83, v0, 3, 7
	v_min_i32_e32 v29, s0, v1
	v_lshl_add_u32 v1, v113, 2, v83
	v_min_i32_e32 v30, s0, v1
	v_ashrrev_i32_e32 v4, 31, v30
	v_lshrrev_b32_e32 v4, 30, v4
	v_and_b32_e32 v112, 7, v0
	v_add_u32_e32 v4, v30, v4
	v_and_b32_e32 v4, -4, v4
	v_lshlrev_b32_e32 v5, 2, v112
	s_movk_i32 s9, 0x6200
	v_add3_u32 v31, v4, v5, s9
	v_add_u32_e32 v4, 32, v1
	v_min_i32_e32 v33, s0, v4
	v_ashrrev_i32_e32 v4, 31, v33
	v_lshrrev_b32_e32 v4, 30, v4
	v_add_u32_e32 v4, v33, v4
	v_and_b32_e32 v4, -4, v4
	v_bfe_u32 v76, v0, 2, 8
	v_add3_u32 v34, v4, v5, s9
	v_add_u32_e32 v4, 64, v1
	v_add_u32_e32 v1, 0x60, v1
	v_and_b32_e32 v6, 31, v0
	v_mov_b32_e32 v7, 0x4200
	v_min_i32_e32 v35, s0, v4
	v_min_i32_e32 v37, s0, v1
	v_lshl_or_b32 v38, v6, 2, v7
	v_lshl_add_u32 v6, v113, 3, v76
	v_add_u32_e32 v10, 16, v113
	v_add_u32_e32 v12, 24, v113
	;; [unrolled: 1-line block ×6, first 2 shown]
	v_ashrrev_i32_e32 v4, 31, v35
	v_ashrrev_i32_e32 v1, 31, v37
	v_and_b32_e32 v7, 63, v6
	v_min_i32_e32 v11, s0, v10
	v_min_i32_e32 v13, s0, v12
	;; [unrolled: 1-line block ×6, first 2 shown]
	v_lshrrev_b32_e32 v4, 30, v4
	v_lshrrev_b32_e32 v1, 30, v1
	s_add_i32 s0, s10, -1
	v_or_b32_e32 v39, s15, v7
	v_mad_u64_u32 v[80:81], s[16:17], v3, s4, v[2:3]
	v_add_u32_e32 v4, v35, v4
	v_add_u32_e32 v1, v37, v1
	v_and_b32_e32 v6, 3, v0
	v_min_i32_e32 v39, s0, v39
	v_and_b32_e32 v4, -4, v4
	v_and_b32_e32 v1, -4, v1
	v_add_u32_e32 v81, s15, v113
	v_mad_u64_u32 v[120:121], s[16:17], v39, s5, v[6:7]
	v_lshlrev_b32_e32 v6, 2, v6
	v_add3_u32 v36, v4, v5, s9
	v_add3_u32 v1, v1, v5, s9
	v_cvt_f64_i32_e32 v[4:5], s0
	v_lshl_or_b32 v39, v7, 4, v6
	v_cvt_f64_u32_e32 v[6:7], v81
	v_min_f64 v[6:7], v[6:7], v[4:5]
	v_cvt_i32_f64_e32 v40, v[6:7]
	v_add_u32_e32 v6, 8, v81
	v_cvt_f64_u32_e32 v[6:7], v6
	v_min_f64 v[6:7], v[6:7], v[4:5]
	v_cvt_i32_f64_e32 v41, v[6:7]
	v_add_u32_e32 v6, 16, v81
	;; [unrolled: 4-line block ×8, first 2 shown]
	v_add_u32_e32 v6, 64, v77
	v_add_u32_e32 v7, 0x60, v77
	v_lshlrev_b32_e32 v47, 5, v77
	v_and_b32_e32 v7, 0x1fc, v7
	v_and_b32_e32 v6, 0x1fc, v6
	;; [unrolled: 1-line block ×4, first 2 shown]
	v_mad_u64_u32 v[86:87], s[16:17], v13, s4, v[2:3]
	v_add_u32_e32 v7, v47, v7
	v_add_u32_e32 v6, v47, v6
	;; [unrolled: 1-line block ×4, first 2 shown]
	v_lshlrev_b32_e32 v0, 5, v33
	v_mov_b32_e32 v79, 0
	v_mad_u64_u32 v[90:91], s[16:17], v17, s4, v[2:3]
	v_add_u32_e32 v87, v34, v0
	v_lshlrev_b32_e32 v0, 5, v37
	v_add_u32_e32 v91, v1, v0
	v_and_b32_e32 v0, 28, v2
	v_mov_b32_e32 v1, v79
	v_mad_u64_u32 v[84:85], s[16:17], v11, s4, v[2:3]
	v_mad_u64_u32 v[110:111], s[16:17], v28, s4, v[2:3]
	v_lshlrev_b32_e32 v32, 5, v30
	v_mad_u64_u32 v[122:123], s[16:17], v29, s4, v[2:3]
	v_lshl_add_u64 v[124:125], s[2:3], 0, v[0:1]
	v_mov_b32_e32 v0, 0x7280
	v_and_b32_e32 v78, 12, v2
	v_mad_u64_u32 v[88:89], s[16:17], v15, s4, v[2:3]
	v_mad_u64_u32 v[92:93], s[16:17], v19, s4, v[2:3]
	;; [unrolled: 1-line block ×9, first 2 shown]
	v_add_u32_e32 v85, v31, v32
	v_lshlrev_b32_e32 v31, 5, v35
	v_lshlrev_b32_e32 v2, 7, v8
	;; [unrolled: 1-line block ×7, first 2 shown]
	v_mul_lo_u32 v111, s5, v4
	v_lshlrev_b32_e32 v4, 7, v20
	v_lshl_add_u32 v123, v113, 4, v0
	v_lshlrev_b32_e32 v0, 7, v113
	v_mov_b32_e32 v116, v79
	v_mov_b32_e32 v117, v79
	v_add_u32_e32 v89, v36, v31
	v_add_u32_e32 v93, 0x7280, v39
	s_add_i32 s9, s7, 3
	v_mul_lo_u32 v95, s5, v40
	v_mul_lo_u32 v97, s5, v41
	;; [unrolled: 1-line block ×7, first 2 shown]
	v_lshrrev_b32_e32 v121, 3, v5
	v_add_u32_e32 v127, v38, v2
	v_add_u32_e32 v129, v38, v8
	;; [unrolled: 1-line block ×17, first 2 shown]
	s_mov_b32 s11, 0
	s_mov_b32 s0, 0x41000000
	v_mul_lo_u32 v126, v3, s7
	v_mul_lo_u32 v128, v9, s7
	;; [unrolled: 1-line block ×20, first 2 shown]
	v_mul_u32_u24_e32 v161, 0x84, v77
	v_mad_u32_u24 v163, v77, s4, 64
	v_mov_b64_e32 v[74:75], v[116:117]
	v_mov_b64_e32 v[66:67], v[116:117]
	v_mov_b64_e32 v[58:59], v[116:117]
	v_mov_b64_e32 v[118:119], v[116:117]
	v_mov_b64_e32 v[72:73], v[116:117]
	v_mov_b64_e32 v[64:65], v[116:117]
	v_mov_b64_e32 v[56:57], v[116:117]
	v_mov_b64_e32 v[114:115], v[116:117]
	v_mov_b64_e32 v[70:71], v[116:117]
	v_mov_b64_e32 v[62:63], v[116:117]
	v_mov_b64_e32 v[54:55], v[116:117]
	v_mov_b64_e32 v[108:109], v[116:117]
	v_mov_b64_e32 v[68:69], v[116:117]
	v_mov_b64_e32 v[60:61], v[116:117]
	v_mov_b64_e32 v[52:53], v[116:117]
	s_branch .LBB158_7
.LBB158_6:                              ;   in Loop: Header=BB158_7 Depth=1
	s_add_i32 s11, s11, 8
	s_add_i32 s9, s9, -8
	s_cmp_ge_i32 s11, s7
	s_cbranch_scc1 .LBB158_14
.LBB158_7:                              ; =>This Loop Header: Depth=1
                                        ;     Child Loop BB158_9 Depth 2
                                        ;     Child Loop BB158_12 Depth 2
	s_mul_i32 s4, s11, 18
	s_mul_hi_u32 s5, s11, 18
	s_add_u32 s4, s8, s4
	s_addc_u32 s5, s1, s5
	v_mad_u64_u32 v[0:1], s[16:17], v76, 18, s[4:5]
	v_mad_i64_i32 v[2:3], s[16:17], v126, 18, v[0:1]
	v_lshl_add_u64 v[2:3], v[2:3], 0, v[78:79]
	global_load_dword v2, v[2:3], off offset:2
	s_cmp_gt_u32 s9, 3
	s_waitcnt vmcnt(0)
	ds_write_b32 v80, v2
	v_mad_i64_i32 v[2:3], s[16:17], v128, 18, v[0:1]
	v_lshl_add_u64 v[2:3], v[2:3], 0, v[78:79]
	global_load_dword v2, v[2:3], off offset:2
	s_waitcnt vmcnt(0)
	ds_write_b32 v82, v2
	v_mad_i64_i32 v[2:3], s[16:17], v130, 18, v[0:1]
	v_lshl_add_u64 v[2:3], v[2:3], 0, v[78:79]
	global_load_dword v2, v[2:3], off offset:2
	;; [unrolled: 5-line block ×13, first 2 shown]
	s_waitcnt vmcnt(0)
	ds_write_b32 v106, v2
	v_mad_i64_i32 v[2:3], s[16:17], v154, 18, v[0:1]
	v_mad_i64_i32 v[0:1], s[16:17], v156, 18, v[0:1]
	v_lshl_add_u64 v[2:3], v[2:3], 0, v[78:79]
	v_lshl_add_u64 v[0:1], v[0:1], 0, v[78:79]
	global_load_dword v2, v[2:3], off offset:2
	s_nop 0
	global_load_dword v0, v[0:1], off offset:2
	s_waitcnt vmcnt(1)
	ds_write_b32 v110, v2
	s_waitcnt vmcnt(0)
	ds_write_b32 v122, v0
	v_mad_u64_u32 v[0:1], s[4:5], v112, 18, s[4:5]
	v_mad_i64_i32 v[2:3], s[4:5], v158, 18, v[0:1]
	global_load_ushort v2, v[2:3], off
	s_waitcnt vmcnt(0)
	v_cvt_f32_f16_e32 v2, v2
	ds_write_b32 v85, v2
	v_mad_i64_i32 v[2:3], s[4:5], v160, 18, v[0:1]
	global_load_ushort v2, v[2:3], off
	s_waitcnt vmcnt(0)
	v_cvt_f32_f16_e32 v2, v2
	ds_write_b32 v87, v2
	v_mad_i64_i32 v[2:3], s[4:5], v162, 18, v[0:1]
	v_mad_i64_i32 v[0:1], s[4:5], v164, 18, v[0:1]
	global_load_ushort v2, v[2:3], off
	s_nop 0
	global_load_ushort v0, v[0:1], off
	s_waitcnt vmcnt(1)
	v_cvt_f32_f16_e32 v2, v2
	s_waitcnt vmcnt(0)
	v_cvt_f32_f16_e32 v0, v0
	ds_write_b32 v89, v2
	ds_write_b32 v91, v0
	s_cbranch_scc0 .LBB158_6
; %bb.8:                                ;   in Loop: Header=BB158_7 Depth=1
	v_add_u32_e32 v2, s11, v83
	v_add_u32_e32 v0, v2, v95
	v_mad_i64_i32 v[0:1], s[4:5], v0, 36, v[124:125]
	global_load_dword v0, v[0:1], off offset:4
	v_add_u32_e32 v165, s11, v120
	v_mov_b32_e32 v182, v143
	v_mov_b32_e32 v183, v123
	;; [unrolled: 1-line block ×7, first 2 shown]
	s_waitcnt vmcnt(0)
	ds_write_b32 v141, v0
	v_add_u32_e32 v0, v2, v97
	v_mad_i64_i32 v[0:1], s[4:5], v0, 36, v[124:125]
	global_load_dword v0, v[0:1], off offset:4
	s_waitcnt vmcnt(0)
	ds_write_b32 v127, v0
	v_add_u32_e32 v0, v2, v99
	v_mad_i64_i32 v[0:1], s[4:5], v0, 36, v[124:125]
	global_load_dword v0, v[0:1], off offset:4
	s_waitcnt vmcnt(0)
	ds_write_b32 v129, v0
	v_add_u32_e32 v0, v2, v101
	v_mad_i64_i32 v[0:1], s[4:5], v0, 36, v[124:125]
	global_load_dword v0, v[0:1], off offset:4
	s_waitcnt vmcnt(0)
	ds_write_b32 v131, v0
	v_add_u32_e32 v0, v2, v103
	v_mad_i64_i32 v[0:1], s[4:5], v0, 36, v[124:125]
	global_load_dword v0, v[0:1], off offset:4
	s_waitcnt vmcnt(0)
	ds_write_b32 v133, v0
	v_add_u32_e32 v0, v2, v105
	v_mad_i64_i32 v[0:1], s[4:5], v0, 36, v[124:125]
	global_load_dword v0, v[0:1], off offset:4
	s_waitcnt vmcnt(0)
	ds_write_b32 v135, v0
	v_add_u32_e32 v0, v2, v107
	v_mad_i64_i32 v[0:1], s[4:5], v0, 36, v[124:125]
	global_load_dword v0, v[0:1], off offset:4
	s_waitcnt vmcnt(0)
	ds_write_b32 v137, v0
	v_add_u32_e32 v0, v2, v111
	v_mad_i64_i32 v[0:1], s[4:5], v0, 36, v[124:125]
	global_load_dword v0, v[0:1], off offset:4
	s_waitcnt vmcnt(0)
	ds_write_b32 v139, v0
	v_mad_u64_u32 v[0:1], s[4:5], v165, 36, s[2:3]
	global_load_dword v0, v[0:1], off
	s_mov_b32 s4, -4
	s_waitcnt vmcnt(0)
	ds_write_b32 v93, v0
	s_waitcnt lgkmcnt(0)
	s_barrier
.LBB158_9:                              ;   Parent Loop BB158_7 Depth=1
                                        ; =>  This Inner Loop Header: Depth=2
	ds_read_b128 v[32:35], v182
	ds_read_b128 v[0:3], v182 offset:16
	ds_read2_b32 v[166:167], v188 offset0:2 offset1:3
	ds_read2_b32 v[168:169], v188 offset1:1
	v_add_u32_e32 v170, 0x1080, v188
	v_add_u32_e32 v171, 0x1088, v188
	;; [unrolled: 1-line block ×6, first 2 shown]
	ds_read_b128 v[36:39], v182 offset:1024
	ds_read_b128 v[4:7], v182 offset:1040
	ds_read_b128 v[44:47], v182 offset:2048
	ds_read_b128 v[8:11], v182 offset:2064
	ds_read_b128 v[16:19], v182 offset:3072
	ds_read_b128 v[12:15], v182 offset:3088
	ds_read_b128 v[24:27], v182 offset:4096
	ds_read_b128 v[20:23], v182 offset:4112
	ds_read_b128 v[28:31], v182 offset:5120
	ds_read_b128 v[40:43], v182 offset:6144
	ds_read_b128 v[48:51], v182 offset:7168
	ds_read2_b32 v[176:177], v183 offset1:32
	ds_read2_b32 v[178:179], v183 offset0:64 offset1:96
	ds_read2_b32 v[180:181], v183 offset0:128 offset1:160
	;; [unrolled: 1-line block ×3, first 2 shown]
	ds_read2_b32 v[210:211], v170 offset1:1
	ds_read2_b32 v[212:213], v171 offset1:1
	;; [unrolled: 1-line block ×6, first 2 shown]
	v_mov_b32_e32 v189, 0
	v_mov_b32_e32 v190, 0
	;; [unrolled: 1-line block ×17, first 2 shown]
	s_waitcnt lgkmcnt(14)
	v_and_b32_e32 v215, 0xf0f0f0f, v168
	v_lshrrev_b32_e32 v222, 4, v168
	v_lshrrev_b32_e32 v227, 4, v169
	s_waitcnt lgkmcnt(5)
	v_and_b32_e32 v230, 0xf0f0f0f, v210
	v_lshrrev_b32_e32 v231, 4, v210
	s_waitcnt lgkmcnt(3)
	v_and_b32_e32 v234, 0xf0f0f0f, v216
	v_lshrrev_b32_e32 v235, 4, v216
	v_lshrrev_b32_e32 v237, 4, v217
	s_waitcnt lgkmcnt(1)
	v_and_b32_e32 v239, 0xf0f0f0f, v220
	v_lshrrev_b32_e32 v220, 4, v220
	v_and_b32_e32 v228, 0xf0f0f0f, v166
	v_lshrrev_b32_e32 v229, 4, v166
	v_cvt_f32_f16_e32 v172, v176
	v_cvt_f32_f16_sdwa v174, v176 dst_sel:DWORD dst_unused:UNUSED_PAD src0_sel:WORD_1
	v_cvt_f32_f16_e32 v170, v178
	v_cvt_f32_f16_sdwa v176, v178 dst_sel:DWORD dst_unused:UNUSED_PAD src0_sel:WORD_1
	;; [unrolled: 2-line block ×4, first 2 shown]
	v_dot4c_i32_i8_e32 v189, v215, v32
	v_and_b32_e32 v207, 0xf0f0f0f, v213
	v_and_b32_e32 v208, 0xf0f0f0f, v219
	v_dot4c_i32_i8_e32 v193, v215, v36
	v_dot4c_i32_i8_e32 v198, v215, v44
	v_dot4c_i32_i8_e32 v201, v215, v16
	v_dot4c_i32_i8_e32 v203, v215, v24
	v_dot4c_i32_i8_e32 v204, v215, v28
	v_dot4c_i32_i8_e32 v205, v215, v40
	v_dot4c_i32_i8_e32 v206, v215, v48
	s_waitcnt lgkmcnt(0)
	v_and_b32_e32 v241, 0xf0f0f0f, v224
	v_lshrrev_b32_e32 v215, 4, v213
	v_lshrrev_b32_e32 v213, 4, v224
	;; [unrolled: 1-line block ×3, first 2 shown]
	v_and_b32_e32 v219, 0xf0f0f0f, v222
	v_and_b32_e32 v224, 0xf0f0f0f, v227
	;; [unrolled: 1-line block ×3, first 2 shown]
	v_dot4c_i32_i8_e32 v190, v230, v32
	v_and_b32_e32 v231, 0xf0f0f0f, v235
	v_dot4c_i32_i8_e32 v191, v234, v32
	v_and_b32_e32 v235, 0xf0f0f0f, v237
	v_and_b32_e32 v237, 0xf0f0f0f, v220
	v_dot4c_i32_i8_e32 v192, v239, v32
	v_dot4c_i32_i8_e32 v194, v230, v36
	;; [unrolled: 1-line block ×7, first 2 shown]
	v_and_b32_e32 v226, 0xf0f0f0f, v169
	v_and_b32_e32 v232, 0xf0f0f0f, v211
	v_lshrrev_b32_e32 v211, 4, v211
	v_and_b32_e32 v236, 0xf0f0f0f, v217
	v_and_b32_e32 v240, 0xf0f0f0f, v221
	v_lshrrev_b32_e32 v221, 4, v221
	v_dot4c_i32_i8_e32 v189, v219, v0
	v_dot4c_i32_i8_e32 v190, v227, v0
	;; [unrolled: 1-line block ×12, first 2 shown]
	v_and_b32_e32 v223, 0xf0f0f0f, v167
	v_lshrrev_b32_e32 v214, 4, v167
	v_cvt_f32_f16_e32 v173, v177
	v_cvt_f32_f16_sdwa v175, v177 dst_sel:DWORD dst_unused:UNUSED_PAD src0_sel:WORD_1
	v_cvt_f32_f16_e32 v171, v179
	v_cvt_f32_f16_sdwa v177, v179 dst_sel:DWORD dst_unused:UNUSED_PAD src0_sel:WORD_1
	;; [unrolled: 2-line block ×4, first 2 shown]
	v_and_b32_e32 v209, 0xf0f0f0f, v225
	v_lshrrev_b32_e32 v217, 4, v225
	v_and_b32_e32 v225, 0xf0f0f0f, v229
	v_and_b32_e32 v229, 0xf0f0f0f, v211
	;; [unrolled: 1-line block ×3, first 2 shown]
	v_dot4c_i32_i8_e32 v189, v226, v33
	v_dot4c_i32_i8_e32 v190, v232, v33
	;; [unrolled: 1-line block ×12, first 2 shown]
	v_and_b32_e32 v233, 0xf0f0f0f, v212
	v_lshrrev_b32_e32 v212, 4, v212
	v_and_b32_e32 v238, 0xf0f0f0f, v218
	v_lshrrev_b32_e32 v218, 4, v218
	v_dot4c_i32_i8_e32 v189, v224, v1
	v_dot4c_i32_i8_e32 v190, v229, v1
	;; [unrolled: 1-line block ×12, first 2 shown]
	v_and_b32_e32 v211, 0xf0f0f0f, v212
	v_and_b32_e32 v212, 0xf0f0f0f, v218
	;; [unrolled: 1-line block ×3, first 2 shown]
	v_dot4c_i32_i8_e32 v189, v228, v34
	v_dot4c_i32_i8_e32 v190, v233, v34
	;; [unrolled: 1-line block ×28, first 2 shown]
	ds_read_b128 v[32:35], v182 offset:5136
	v_dot4c_i32_i8_e32 v193, v223, v39
	v_dot4c_i32_i8_e32 v194, v207, v39
	;; [unrolled: 1-line block ×4, first 2 shown]
	ds_read_b128 v[36:39], v182 offset:6160
	v_dot4c_i32_i8_e32 v198, v223, v47
	v_dot4c_i32_i8_e32 v197, v207, v47
	;; [unrolled: 1-line block ×4, first 2 shown]
	ds_read_b128 v[44:47], v182 offset:7184
	ds_read_b32 v2, v184
	ds_read_b32 v4, v185
	;; [unrolled: 1-line block ×3, first 2 shown]
	v_mov_b32_e32 v202, 0
	v_mov_b32_e32 v218, 0
	;; [unrolled: 1-line block ×4, first 2 shown]
	v_dot4c_i32_i8_e32 v201, v219, v12
	v_dot4c_i32_i8_e32 v203, v219, v20
	s_waitcnt lgkmcnt(5)
	v_dot4c_i32_i8_e32 v204, v219, v32
	s_waitcnt lgkmcnt(4)
	v_dot4c_i32_i8_e32 v205, v219, v36
	s_waitcnt lgkmcnt(3)
	v_dot4c_i32_i8_e32 v206, v219, v44
	v_mov_b32_e32 v1, 0
	v_dot4c_i32_i8_e32 v202, v230, v16
	v_dot4c_i32_i8_e32 v218, v234, v16
	v_mov_b32_e32 v9, 0
	v_mov_b32_e32 v219, 0
	v_dot4c_i32_i8_e32 v221, v239, v16
	v_mov_b32_e32 v16, 0
	v_mov_b32_e32 v222, 0
	v_dot4c_i32_i8_e32 v210, v230, v24
	v_dot4c_i32_i8_e32 v1, v230, v28
	v_mov_b32_e32 v5, 0
	v_mov_b32_e32 v8, 0
	v_dot4c_i32_i8_e32 v9, v234, v24
	;; [unrolled: 4-line block ×4, first 2 shown]
	v_dot4c_i32_i8_e32 v8, v230, v48
	v_dot4c_i32_i8_e32 v10, v234, v40
	;; [unrolled: 1-line block ×90, first 2 shown]
	v_and_b32_e32 v17, 0xf0f0f0f, v214
	v_dot4c_i32_i8_e32 v202, v211, v14
	v_dot4c_i32_i8_e32 v218, v212, v14
	;; [unrolled: 1-line block ×15, first 2 shown]
	v_and_b32_e32 v25, 0xf0f0f0f, v215
	v_and_b32_e32 v29, 0xf0f0f0f, v216
	;; [unrolled: 1-line block ×3, first 2 shown]
	v_dot4c_i32_i8_e32 v202, v207, v19
	v_dot4c_i32_i8_e32 v218, v208, v19
	;; [unrolled: 1-line block ×29, first 2 shown]
	v_cvt_f32_i32_e32 v19, v193
	v_cvt_f32_i32_e32 v18, v189
	v_dot4c_i32_i8_e32 v197, v25, v11
	v_dot4c_i32_i8_e32 v199, v29, v11
	v_dot4c_i32_i8_e32 v200, v30, v11
	v_cvt_f32_i32_e32 v27, v201
	v_cvt_f32_i32_e32 v26, v198
	v_dot4c_i32_i8_e32 v202, v25, v15
	v_dot4c_i32_i8_e32 v218, v29, v15
	v_dot4c_i32_i8_e32 v221, v30, v15
	v_dot4c_i32_i8_e32 v210, v25, v23
	v_dot4c_i32_i8_e32 v9, v29, v23
	v_dot4c_i32_i8_e32 v16, v30, v23
	v_cvt_f32_i32_e32 v15, v204
	v_cvt_f32_i32_e32 v14, v203
	v_dot4c_i32_i8_e32 v1, v25, v35
	v_dot4c_i32_i8_e32 v219, v29, v35
	v_dot4c_i32_i8_e32 v222, v30, v35
	;; [unrolled: 8-line block ×3, first 2 shown]
	ds_read_b32 v0, v187
	v_cvt_f32_i32_e32 v31, v194
	v_cvt_f32_i32_e32 v30, v190
	;; [unrolled: 1-line block ×24, first 2 shown]
	v_pk_mul_f32 v[12:13], v[174:175], s[0:1] op_sel_hi:[1,0]
	v_pk_mul_f32 v[20:21], v[176:177], s[0:1] op_sel_hi:[1,0]
	;; [unrolled: 1-line block ×4, first 2 shown]
	v_pk_fma_f32 v[18:19], v[172:173], v[18:19], v[12:13] neg_lo:[0,0,1] neg_hi:[0,0,1]
	v_pk_fma_f32 v[26:27], v[26:27], v[170:171], v[20:21] neg_lo:[0,0,1] neg_hi:[0,0,1]
	;; [unrolled: 1-line block ×4, first 2 shown]
	s_add_i32 s4, s4, 4
	s_waitcnt lgkmcnt(3)
	v_pk_fma_f32 v[116:117], v[2:3], v[18:19], v[116:117] op_sel_hi:[0,1,1]
	v_pk_fma_f32 v[18:19], v[172:173], v[30:31], v[12:13] neg_lo:[0,0,1] neg_hi:[0,0,1]
	v_pk_fma_f32 v[28:29], v[172:173], v[34:35], v[12:13] neg_lo:[0,0,1] neg_hi:[0,0,1]
	v_pk_fma_f32 v[12:13], v[172:173], v[38:39], v[12:13] neg_lo:[0,0,1] neg_hi:[0,0,1]
	v_pk_fma_f32 v[74:75], v[2:3], v[26:27], v[74:75] op_sel_hi:[0,1,1]
	v_pk_fma_f32 v[26:27], v[40:41], v[170:171], v[20:21] neg_lo:[0,0,1] neg_hi:[0,0,1]
	v_pk_fma_f32 v[30:31], v[42:43], v[170:171], v[20:21] neg_lo:[0,0,1] neg_hi:[0,0,1]
	v_pk_fma_f32 v[20:21], v[44:45], v[170:171], v[20:21] neg_lo:[0,0,1] neg_hi:[0,0,1]
	;; [unrolled: 4-line block ×4, first 2 shown]
	v_add_u32_e32 v188, 16, v188
	v_add_u32_e32 v187, 4, v187
	v_add_u32_e32 v186, 4, v186
	v_add_u32_e32 v185, 4, v185
	v_add_u32_e32 v184, 4, v184
	v_add_u32_e32 v183, 4, v183
	v_add_u32_e32 v182, 32, v182
	s_cmp_lt_u32 s4, 12
	s_waitcnt lgkmcnt(2)
	v_pk_fma_f32 v[118:119], v[4:5], v[18:19], v[118:119] op_sel_hi:[0,1,1]
	s_waitcnt lgkmcnt(1)
	v_pk_fma_f32 v[114:115], v[6:7], v[28:29], v[114:115] op_sel_hi:[0,1,1]
	;; [unrolled: 2-line block ×3, first 2 shown]
	v_pk_fma_f32 v[72:73], v[4:5], v[26:27], v[72:73] op_sel_hi:[0,1,1]
	v_pk_fma_f32 v[70:71], v[6:7], v[30:31], v[70:71] op_sel_hi:[0,1,1]
	;; [unrolled: 1-line block ×9, first 2 shown]
	s_cbranch_scc1 .LBB158_9
; %bb.10:                               ;   in Loop: Header=BB158_7 Depth=1
	s_and_b32 s4, s9, -4
	s_cmp_eq_u32 s4, 4
	s_barrier
	s_cbranch_scc1 .LBB158_6
; %bb.11:                               ;   in Loop: Header=BB158_7 Depth=1
	v_add_u32_e32 v14, s11, v121
	v_add_u32_e32 v0, v14, v95
	;; [unrolled: 1-line block ×6, first 2 shown]
	v_mad_i64_i32 v[0:1], s[4:5], v0, 36, v[124:125]
	v_mad_i64_i32 v[2:3], s[4:5], v2, 36, v[124:125]
	v_mad_i64_i32 v[4:5], s[4:5], v4, 36, v[124:125]
	v_mad_i64_i32 v[6:7], s[4:5], v6, 36, v[124:125]
	v_add_u32_e32 v8, v14, v103
	v_add_u32_e32 v10, v14, v105
	;; [unrolled: 1-line block ×4, first 2 shown]
	v_mad_u64_u32 v[16:17], s[4:5], v16, 36, s[2:3]
	v_mad_i64_i32 v[8:9], s[4:5], v8, 36, v[124:125]
	v_mad_i64_i32 v[10:11], s[4:5], v10, 36, v[124:125]
	;; [unrolled: 1-line block ×4, first 2 shown]
	global_load_dword v16, v[16:17], off
	s_nop 0
	global_load_dword v0, v[0:1], off offset:4
	s_nop 0
	global_load_dword v1, v[2:3], off offset:4
	;; [unrolled: 2-line block ×3, first 2 shown]
	global_load_dword v3, v[6:7], off offset:4
	s_nop 0
	global_load_dword v4, v[8:9], off offset:4
	global_load_dword v5, v[10:11], off offset:4
                                        ; kill: killed $vgpr8_vgpr9
                                        ; kill: killed $vgpr10_vgpr11
	global_load_dword v6, v[12:13], off offset:4
	global_load_dword v7, v[14:15], off offset:4
	s_mov_b32 s4, 12
	v_mov_b32_e32 v9, v123
	v_mov_b32_e32 v11, v143
	;; [unrolled: 1-line block ×7, first 2 shown]
	s_waitcnt vmcnt(8)
	ds_write_b32 v93, v16
	s_waitcnt vmcnt(7)
	ds_write_b32 v141, v0
	;; [unrolled: 2-line block ×9, first 2 shown]
	s_waitcnt lgkmcnt(0)
	s_barrier
.LBB158_12:                             ;   Parent Loop BB158_7 Depth=1
                                        ; =>  This Inner Loop Header: Depth=2
	ds_read_b128 v[0:3], v11
	ds_read_b128 v[4:7], v11 offset:16
	ds_read2_b32 v[16:17], v9 offset1:32
	ds_read_b32 v8, v13
	ds_read2_b32 v[22:23], v20 offset1:1
	ds_read2_b32 v[32:33], v20 offset0:2 offset1:3
	v_add_u32_e32 v12, 0x1080, v20
	v_add_u32_e32 v14, 0x2100, v20
	v_mov_b32_e32 v165, 0
	s_waitcnt lgkmcnt(1)
	v_lshrrev_b32_e32 v10, 4, v22
	v_and_b32_e32 v21, 0xf0f0f0f, v22
	v_and_b32_e32 v22, 0xf0f0f0f, v10
	v_lshrrev_b32_e32 v10, 4, v23
	v_and_b32_e32 v26, 0xf0f0f0f, v10
	s_waitcnt lgkmcnt(0)
	v_lshrrev_b32_e32 v10, 4, v32
	v_and_b32_e32 v30, 0xf0f0f0f, v10
	v_lshrrev_b32_e32 v10, 4, v33
	v_and_b32_e32 v29, 0xf0f0f0f, v32
	v_and_b32_e32 v32, 0xf0f0f0f, v10
	ds_read_b32 v10, v15
	ds_read2_b32 v[34:35], v12 offset1:1
	v_and_b32_e32 v25, 0xf0f0f0f, v23
	v_and_b32_e32 v31, 0xf0f0f0f, v33
	v_mov_b32_e32 v174, 0
	v_mov_b32_e32 v175, 0
	s_waitcnt lgkmcnt(0)
	v_lshrrev_b32_e32 v12, 4, v34
	v_and_b32_e32 v24, 0xf0f0f0f, v12
	v_lshrrev_b32_e32 v12, 4, v35
	v_and_b32_e32 v28, 0xf0f0f0f, v12
	v_add_u32_e32 v12, 0x1088, v20
	ds_read2_b32 v[38:39], v12 offset1:1
	v_and_b32_e32 v27, 0xf0f0f0f, v35
	v_and_b32_e32 v23, 0xf0f0f0f, v34
	v_mov_b32_e32 v176, 0
	v_dot4c_i32_i8_e32 v165, v21, v0
	s_waitcnt lgkmcnt(0)
	v_lshrrev_b32_e32 v12, 4, v38
	v_and_b32_e32 v36, 0xf0f0f0f, v12
	v_lshrrev_b32_e32 v12, 4, v39
	v_and_b32_e32 v35, 0xf0f0f0f, v38
	v_and_b32_e32 v38, 0xf0f0f0f, v12
	ds_read_b32 v12, v18
	ds_read2_b32 v[40:41], v14 offset1:1
	v_and_b32_e32 v37, 0xf0f0f0f, v39
	v_dot4c_i32_i8_e32 v174, v23, v0
	v_dot4c_i32_i8_e32 v165, v22, v4
	;; [unrolled: 1-line block ×3, first 2 shown]
	s_waitcnt lgkmcnt(0)
	v_lshrrev_b32_e32 v14, 4, v40
	v_and_b32_e32 v34, 0xf0f0f0f, v14
	v_lshrrev_b32_e32 v14, 4, v41
	v_and_b32_e32 v33, 0xf0f0f0f, v40
	v_and_b32_e32 v40, 0xf0f0f0f, v14
	v_add_u32_e32 v14, 0x2108, v20
	ds_read2_b32 v[44:45], v14 offset1:1
	v_and_b32_e32 v39, 0xf0f0f0f, v41
	v_dot4c_i32_i8_e32 v175, v33, v0
	v_dot4c_i32_i8_e32 v175, v34, v4
	;; [unrolled: 1-line block ×3, first 2 shown]
	s_waitcnt lgkmcnt(0)
	v_lshrrev_b32_e32 v14, 4, v44
	v_and_b32_e32 v42, 0xf0f0f0f, v14
	v_lshrrev_b32_e32 v14, 4, v45
	v_and_b32_e32 v41, 0xf0f0f0f, v44
	v_and_b32_e32 v43, 0xf0f0f0f, v45
	;; [unrolled: 1-line block ×3, first 2 shown]
	v_add_u32_e32 v45, 0x3180, v20
	ds_read_b32 v14, v19
	ds_read2_b32 v[46:47], v45 offset1:1
	v_dot4c_i32_i8_e32 v174, v27, v1
	v_dot4c_i32_i8_e32 v175, v39, v1
	;; [unrolled: 1-line block ×4, first 2 shown]
	s_waitcnt lgkmcnt(0)
	v_and_b32_e32 v45, 0xf0f0f0f, v46
	v_lshrrev_b32_e32 v46, 4, v46
	v_and_b32_e32 v46, 0xf0f0f0f, v46
	v_dot4c_i32_i8_e32 v176, v45, v0
	v_dot4c_i32_i8_e32 v176, v46, v4
	v_and_b32_e32 v0, 0xf0f0f0f, v47
	v_dot4c_i32_i8_e32 v176, v0, v1
	v_add_u32_e32 v1, 0x3188, v20
	ds_read2_b32 v[48:49], v1 offset1:1
	v_lshrrev_b32_e32 v4, 4, v47
	v_and_b32_e32 v4, 0xf0f0f0f, v4
	v_dot4c_i32_i8_e32 v175, v40, v5
	v_dot4c_i32_i8_e32 v176, v4, v5
	s_waitcnt lgkmcnt(0)
	v_and_b32_e32 v1, 0xf0f0f0f, v48
	v_lshrrev_b32_e32 v5, 4, v48
	v_dot4c_i32_i8_e32 v165, v29, v2
	v_dot4c_i32_i8_e32 v174, v35, v2
	;; [unrolled: 1-line block ×3, first 2 shown]
	v_and_b32_e32 v5, 0xf0f0f0f, v5
	v_dot4c_i32_i8_e32 v176, v1, v2
	v_dot4c_i32_i8_e32 v165, v30, v6
	;; [unrolled: 1-line block ×5, first 2 shown]
	v_and_b32_e32 v2, 0xf0f0f0f, v49
	v_lshrrev_b32_e32 v6, 4, v49
	ds_read_b128 v[48:51], v11 offset:1024
	ds_read_b128 v[166:169], v11 offset:1040
	v_dot4c_i32_i8_e32 v165, v31, v3
	v_dot4c_i32_i8_e32 v174, v37, v3
	v_dot4c_i32_i8_e32 v175, v43, v3
	v_dot4c_i32_i8_e32 v176, v2, v3
	v_mov_b32_e32 v3, 0
	s_waitcnt lgkmcnt(1)
	v_dot4c_i32_i8_e32 v3, v21, v48
	s_waitcnt lgkmcnt(0)
	v_dot4c_i32_i8_e32 v3, v22, v166
	v_dot4c_i32_i8_e32 v3, v25, v49
	;; [unrolled: 1-line block ×8, first 2 shown]
	v_cvt_f32_f16_e32 v171, v17
	v_cvt_f32_f16_e32 v170, v16
	v_cvt_f32_i32_e32 v173, v3
	v_mov_b32_e32 v3, 0
	v_dot4c_i32_i8_e32 v3, v23, v48
	v_dot4c_i32_i8_e32 v3, v24, v166
	v_cvt_f32_f16_sdwa v17, v17 dst_sel:DWORD dst_unused:UNUSED_PAD src0_sel:WORD_1
	v_cvt_f32_f16_sdwa v16, v16 dst_sel:DWORD dst_unused:UNUSED_PAD src0_sel:WORD_1
	v_dot4c_i32_i8_e32 v3, v27, v49
	v_cvt_f32_i32_e32 v172, v165
	v_dot4c_i32_i8_e32 v3, v28, v167
	v_dot4c_i32_i8_e32 v3, v35, v50
	;; [unrolled: 1-line block ×3, first 2 shown]
	v_pk_mul_f32 v[16:17], v[16:17], s[0:1] op_sel_hi:[1,0]
	v_dot4c_i32_i8_e32 v3, v37, v51
	v_pk_fma_f32 v[172:173], v[170:171], v[172:173], v[16:17] neg_lo:[0,0,1] neg_hi:[0,0,1]
	v_dot4c_i32_i8_e32 v3, v38, v169
	v_pk_fma_f32 v[116:117], v[8:9], v[172:173], v[116:117] op_sel_hi:[0,1,1]
	v_dot4c_i32_i8_e32 v174, v38, v7
	v_and_b32_e32 v6, 0xf0f0f0f, v6
	v_cvt_f32_i32_e32 v173, v3
	v_mov_b32_e32 v3, 0
	v_dot4c_i32_i8_e32 v3, v33, v48
	v_dot4c_i32_i8_e32 v3, v34, v166
	;; [unrolled: 1-line block ×3, first 2 shown]
	v_cvt_f32_i32_e32 v172, v174
	v_dot4c_i32_i8_e32 v3, v40, v167
	v_dot4c_i32_i8_e32 v3, v41, v50
	;; [unrolled: 1-line block ×4, first 2 shown]
	v_pk_fma_f32 v[172:173], v[170:171], v[172:173], v[16:17] neg_lo:[0,0,1] neg_hi:[0,0,1]
	v_dot4c_i32_i8_e32 v3, v44, v169
	v_pk_fma_f32 v[118:119], v[10:11], v[172:173], v[118:119] op_sel_hi:[0,1,1]
	v_dot4c_i32_i8_e32 v175, v44, v7
	v_dot4c_i32_i8_e32 v176, v6, v7
	v_cvt_f32_i32_e32 v173, v3
	v_mov_b32_e32 v3, 0
	v_dot4c_i32_i8_e32 v3, v45, v48
	v_dot4c_i32_i8_e32 v3, v46, v166
	;; [unrolled: 1-line block ×8, first 2 shown]
	v_cvt_f32_i32_e32 v172, v175
	v_cvt_f32_i32_e32 v48, v176
	v_mov_b32_e32 v7, 0
	v_cvt_f32_i32_e32 v49, v3
	v_pk_fma_f32 v[172:173], v[170:171], v[172:173], v[16:17] neg_lo:[0,0,1] neg_hi:[0,0,1]
	v_mov_b32_e32 v3, 0
	v_mov_b32_e32 v47, 0
	v_pk_fma_f32 v[16:17], v[170:171], v[48:49], v[16:17] neg_lo:[0,0,1] neg_hi:[0,0,1]
	v_mov_b32_e32 v165, 0
	v_pk_fma_f32 v[108:109], v[14:15], v[16:17], v[108:109] op_sel_hi:[0,1,1]
	ds_read_b128 v[48:51], v11 offset:2048
	ds_read_b128 v[166:169], v11 offset:2064
	ds_read2_b32 v[16:17], v9 offset0:64 offset1:96
	v_pk_fma_f32 v[114:115], v[12:13], v[172:173], v[114:115] op_sel_hi:[0,1,1]
	v_mov_b32_e32 v172, 0
	s_waitcnt lgkmcnt(2)
	v_dot4c_i32_i8_e32 v3, v21, v48
	v_dot4c_i32_i8_e32 v7, v23, v48
	v_dot4c_i32_i8_e32 v47, v33, v48
	v_dot4c_i32_i8_e32 v165, v45, v48
	s_waitcnt lgkmcnt(1)
	v_dot4c_i32_i8_e32 v3, v22, v166
	v_dot4c_i32_i8_e32 v7, v24, v166
	;; [unrolled: 1-line block ×28, first 2 shown]
	ds_read_b128 v[48:51], v11 offset:3072
	ds_read_b128 v[166:169], v11 offset:3088
	s_waitcnt lgkmcnt(2)
	v_cvt_f32_f16_e32 v171, v17
	v_cvt_f32_f16_e32 v170, v16
	v_cvt_f32_f16_sdwa v17, v17 dst_sel:DWORD dst_unused:UNUSED_PAD src0_sel:WORD_1
	s_waitcnt lgkmcnt(1)
	v_dot4c_i32_i8_e32 v172, v21, v48
	s_waitcnt lgkmcnt(0)
	v_dot4c_i32_i8_e32 v172, v22, v166
	v_dot4c_i32_i8_e32 v172, v25, v49
	;; [unrolled: 1-line block ×7, first 2 shown]
	v_cvt_f32_f16_sdwa v16, v16 dst_sel:DWORD dst_unused:UNUSED_PAD src0_sel:WORD_1
	s_add_i32 s4, s4, 4
	v_add_u32_e32 v20, 16, v20
	v_cvt_f32_i32_e32 v173, v172
	v_cvt_f32_i32_e32 v172, v3
	v_mov_b32_e32 v3, 0
	v_dot4c_i32_i8_e32 v3, v23, v48
	v_dot4c_i32_i8_e32 v3, v24, v166
	;; [unrolled: 1-line block ×6, first 2 shown]
	v_pk_mul_f32 v[16:17], v[16:17], s[0:1] op_sel_hi:[1,0]
	v_dot4c_i32_i8_e32 v3, v37, v51
	v_pk_fma_f32 v[172:173], v[172:173], v[170:171], v[16:17] neg_lo:[0,0,1] neg_hi:[0,0,1]
	v_dot4c_i32_i8_e32 v3, v38, v169
	v_pk_fma_f32 v[74:75], v[8:9], v[172:173], v[74:75] op_sel_hi:[0,1,1]
	v_cvt_f32_i32_e32 v172, v7
	v_mov_b32_e32 v7, 0
	v_cvt_f32_i32_e32 v173, v3
	v_mov_b32_e32 v3, 0
	v_dot4c_i32_i8_e32 v3, v33, v48
	v_dot4c_i32_i8_e32 v3, v34, v166
	;; [unrolled: 1-line block ×7, first 2 shown]
	v_pk_fma_f32 v[172:173], v[172:173], v[170:171], v[16:17] neg_lo:[0,0,1] neg_hi:[0,0,1]
	v_dot4c_i32_i8_e32 v3, v44, v169
	v_pk_fma_f32 v[72:73], v[10:11], v[172:173], v[72:73] op_sel_hi:[0,1,1]
	v_cvt_f32_i32_e32 v172, v47
	v_mov_b32_e32 v47, 0
	v_cvt_f32_i32_e32 v173, v3
	v_mov_b32_e32 v3, 0
	v_dot4c_i32_i8_e32 v3, v45, v48
	v_dot4c_i32_i8_e32 v3, v46, v166
	;; [unrolled: 1-line block ×8, first 2 shown]
	v_cvt_f32_i32_e32 v48, v165
	v_pk_fma_f32 v[172:173], v[172:173], v[170:171], v[16:17] neg_lo:[0,0,1] neg_hi:[0,0,1]
	v_mov_b32_e32 v165, 0
	v_cvt_f32_i32_e32 v49, v3
	v_mov_b32_e32 v3, 0
	v_pk_fma_f32 v[70:71], v[12:13], v[172:173], v[70:71] op_sel_hi:[0,1,1]
	v_mov_b32_e32 v172, 0
	v_pk_fma_f32 v[16:17], v[48:49], v[170:171], v[16:17] neg_lo:[0,0,1] neg_hi:[0,0,1]
	v_add_u32_e32 v19, 4, v19
	v_pk_fma_f32 v[68:69], v[14:15], v[16:17], v[68:69] op_sel_hi:[0,1,1]
	ds_read_b128 v[48:51], v11 offset:4096
	ds_read_b128 v[166:169], v11 offset:4112
	ds_read2_b32 v[16:17], v9 offset0:128 offset1:160
	v_add_u32_e32 v18, 4, v18
	s_cmp_lt_u32 s4, 28
	s_waitcnt lgkmcnt(2)
	v_dot4c_i32_i8_e32 v3, v21, v48
	v_dot4c_i32_i8_e32 v7, v23, v48
	v_dot4c_i32_i8_e32 v47, v33, v48
	v_dot4c_i32_i8_e32 v165, v45, v48
	s_waitcnt lgkmcnt(1)
	v_dot4c_i32_i8_e32 v3, v22, v166
	v_dot4c_i32_i8_e32 v7, v24, v166
	v_dot4c_i32_i8_e32 v47, v34, v166
	v_dot4c_i32_i8_e32 v165, v46, v166
	v_dot4c_i32_i8_e32 v3, v25, v49
	v_dot4c_i32_i8_e32 v7, v27, v49
	v_dot4c_i32_i8_e32 v47, v39, v49
	v_dot4c_i32_i8_e32 v165, v0, v49
	v_dot4c_i32_i8_e32 v3, v26, v167
	v_dot4c_i32_i8_e32 v7, v28, v167
	v_dot4c_i32_i8_e32 v47, v40, v167
	v_dot4c_i32_i8_e32 v165, v4, v167
	v_dot4c_i32_i8_e32 v3, v29, v50
	v_dot4c_i32_i8_e32 v7, v35, v50
	v_dot4c_i32_i8_e32 v47, v41, v50
	v_dot4c_i32_i8_e32 v165, v1, v50
	v_dot4c_i32_i8_e32 v3, v30, v168
	v_dot4c_i32_i8_e32 v7, v36, v168
	v_dot4c_i32_i8_e32 v47, v42, v168
	v_dot4c_i32_i8_e32 v165, v5, v168
	v_dot4c_i32_i8_e32 v3, v31, v51
	v_dot4c_i32_i8_e32 v7, v37, v51
	v_dot4c_i32_i8_e32 v47, v43, v51
	v_dot4c_i32_i8_e32 v165, v2, v51
	v_dot4c_i32_i8_e32 v3, v32, v169
	v_dot4c_i32_i8_e32 v7, v38, v169
	v_dot4c_i32_i8_e32 v47, v44, v169
	v_dot4c_i32_i8_e32 v165, v6, v169
	ds_read_b128 v[48:51], v11 offset:5120
	ds_read_b128 v[166:169], v11 offset:5136
	s_waitcnt lgkmcnt(2)
	v_cvt_f32_f16_e32 v171, v17
	v_cvt_f32_f16_e32 v170, v16
	v_cvt_f32_f16_sdwa v17, v17 dst_sel:DWORD dst_unused:UNUSED_PAD src0_sel:WORD_1
	s_waitcnt lgkmcnt(1)
	v_dot4c_i32_i8_e32 v172, v21, v48
	s_waitcnt lgkmcnt(0)
	v_dot4c_i32_i8_e32 v172, v22, v166
	v_dot4c_i32_i8_e32 v172, v25, v49
	;; [unrolled: 1-line block ×7, first 2 shown]
	v_cvt_f32_f16_sdwa v16, v16 dst_sel:DWORD dst_unused:UNUSED_PAD src0_sel:WORD_1
	v_pk_mul_f32 v[16:17], v[16:17], s[0:1] op_sel_hi:[1,0]
	s_nop 0
	v_cvt_f32_i32_e32 v173, v172
	v_cvt_f32_i32_e32 v172, v3
	v_mov_b32_e32 v3, 0
	v_dot4c_i32_i8_e32 v3, v23, v48
	v_dot4c_i32_i8_e32 v3, v24, v166
	v_dot4c_i32_i8_e32 v3, v27, v49
	v_dot4c_i32_i8_e32 v3, v28, v167
	v_dot4c_i32_i8_e32 v3, v35, v50
	v_dot4c_i32_i8_e32 v3, v36, v168
	v_dot4c_i32_i8_e32 v3, v37, v51
	v_pk_fma_f32 v[172:173], v[172:173], v[170:171], v[16:17] neg_lo:[0,0,1] neg_hi:[0,0,1]
	v_dot4c_i32_i8_e32 v3, v38, v169
	v_pk_fma_f32 v[66:67], v[8:9], v[172:173], v[66:67] op_sel_hi:[0,1,1]
	v_cvt_f32_i32_e32 v172, v7
	v_mov_b32_e32 v7, 0
	v_cvt_f32_i32_e32 v173, v3
	v_mov_b32_e32 v3, 0
	v_dot4c_i32_i8_e32 v3, v33, v48
	v_dot4c_i32_i8_e32 v3, v34, v166
	v_dot4c_i32_i8_e32 v3, v39, v49
	v_dot4c_i32_i8_e32 v3, v40, v167
	v_dot4c_i32_i8_e32 v3, v41, v50
	v_dot4c_i32_i8_e32 v3, v42, v168
	v_dot4c_i32_i8_e32 v3, v43, v51
	v_pk_fma_f32 v[172:173], v[172:173], v[170:171], v[16:17] neg_lo:[0,0,1] neg_hi:[0,0,1]
	v_dot4c_i32_i8_e32 v3, v44, v169
	v_pk_fma_f32 v[64:65], v[10:11], v[172:173], v[64:65] op_sel_hi:[0,1,1]
	v_cvt_f32_i32_e32 v172, v47
	v_mov_b32_e32 v47, 0
	v_cvt_f32_i32_e32 v173, v3
	v_mov_b32_e32 v3, 0
	v_dot4c_i32_i8_e32 v3, v45, v48
	v_dot4c_i32_i8_e32 v3, v46, v166
	;; [unrolled: 1-line block ×8, first 2 shown]
	v_cvt_f32_i32_e32 v48, v165
	v_pk_fma_f32 v[172:173], v[172:173], v[170:171], v[16:17] neg_lo:[0,0,1] neg_hi:[0,0,1]
	v_mov_b32_e32 v165, 0
	v_cvt_f32_i32_e32 v49, v3
	v_mov_b32_e32 v3, 0
	v_pk_fma_f32 v[62:63], v[12:13], v[172:173], v[62:63] op_sel_hi:[0,1,1]
	v_pk_fma_f32 v[16:17], v[48:49], v[170:171], v[16:17] neg_lo:[0,0,1] neg_hi:[0,0,1]
	s_nop 0
	v_pk_fma_f32 v[60:61], v[14:15], v[16:17], v[60:61] op_sel_hi:[0,1,1]
	ds_read_b128 v[48:51], v11 offset:6144
	ds_read_b128 v[166:169], v11 offset:6160
	ds_read2_b32 v[16:17], v9 offset0:192 offset1:224
	v_mov_b32_e32 v170, 0
	s_waitcnt lgkmcnt(2)
	v_dot4c_i32_i8_e32 v3, v21, v48
	v_dot4c_i32_i8_e32 v7, v23, v48
	;; [unrolled: 1-line block ×4, first 2 shown]
	s_waitcnt lgkmcnt(1)
	v_dot4c_i32_i8_e32 v3, v22, v166
	v_dot4c_i32_i8_e32 v7, v24, v166
	;; [unrolled: 1-line block ×28, first 2 shown]
	ds_read_b128 v[48:51], v11 offset:7168
	ds_read_b128 v[166:169], v11 offset:7184
	s_waitcnt lgkmcnt(1)
	v_dot4c_i32_i8_e32 v170, v21, v48
	s_waitcnt lgkmcnt(0)
	v_dot4c_i32_i8_e32 v170, v22, v166
	v_dot4c_i32_i8_e32 v170, v25, v49
	;; [unrolled: 1-line block ×7, first 2 shown]
	v_cvt_f32_f16_e32 v31, v17
	v_cvt_f32_f16_e32 v30, v16
	v_cvt_f32_f16_sdwa v17, v17 dst_sel:DWORD dst_unused:UNUSED_PAD src0_sel:WORD_1
	v_cvt_f32_i32_e32 v171, v170
	v_cvt_f32_i32_e32 v170, v3
	v_mov_b32_e32 v3, 0
	v_dot4c_i32_i8_e32 v3, v23, v48
	v_dot4c_i32_i8_e32 v3, v24, v166
	;; [unrolled: 1-line block ×8, first 2 shown]
	v_cvt_f32_f16_sdwa v16, v16 dst_sel:DWORD dst_unused:UNUSED_PAD src0_sel:WORD_1
	v_cvt_f32_i32_e32 v22, v7
	v_pk_mul_f32 v[16:17], v[16:17], s[0:1] op_sel_hi:[1,0]
	v_cvt_f32_i32_e32 v23, v3
	v_mov_b32_e32 v3, 0
	v_dot4c_i32_i8_e32 v3, v33, v48
	v_dot4c_i32_i8_e32 v3, v34, v166
	;; [unrolled: 1-line block ×7, first 2 shown]
	v_pk_fma_f32 v[22:23], v[22:23], v[30:31], v[16:17] neg_lo:[0,0,1] neg_hi:[0,0,1]
	v_dot4c_i32_i8_e32 v3, v44, v169
	v_pk_fma_f32 v[56:57], v[10:11], v[22:23], v[56:57] op_sel_hi:[0,1,1]
	v_cvt_f32_i32_e32 v22, v47
	v_pk_fma_f32 v[170:171], v[170:171], v[30:31], v[16:17] neg_lo:[0,0,1] neg_hi:[0,0,1]
	v_cvt_f32_i32_e32 v23, v3
	v_mov_b32_e32 v3, 0
	v_dot4c_i32_i8_e32 v3, v45, v48
	v_dot4c_i32_i8_e32 v3, v46, v166
	;; [unrolled: 1-line block ×8, first 2 shown]
	v_cvt_f32_i32_e32 v0, v165
	v_pk_fma_f32 v[22:23], v[22:23], v[30:31], v[16:17] neg_lo:[0,0,1] neg_hi:[0,0,1]
	v_pk_fma_f32 v[58:59], v[8:9], v[170:171], v[58:59] op_sel_hi:[0,1,1]
	v_cvt_f32_i32_e32 v1, v3
	v_pk_fma_f32 v[54:55], v[12:13], v[22:23], v[54:55] op_sel_hi:[0,1,1]
	v_add_u32_e32 v13, 4, v13
	v_add_u32_e32 v11, 32, v11
	v_pk_fma_f32 v[0:1], v[0:1], v[30:31], v[16:17] neg_lo:[0,0,1] neg_hi:[0,0,1]
	v_add_u32_e32 v9, 4, v9
	v_pk_fma_f32 v[52:53], v[14:15], v[0:1], v[52:53] op_sel_hi:[0,1,1]
	v_add_u32_e32 v15, 4, v15
	s_cbranch_scc1 .LBB158_12
; %bb.13:                               ;   in Loop: Header=BB158_7 Depth=1
	s_barrier
	s_branch .LBB158_6
.LBB158_14:
	v_mov_b32_e32 v1, v113
	v_cmp_gt_u32_e32 vcc, s10, v81
	s_and_saveexec_b64 s[0:1], vcc
	s_cbranch_execz .LBB158_3
.LBB158_15:
	v_add_u32_e32 v0, s6, v77
	v_mul_lo_u32 v5, v81, s14
	v_cmp_gt_u32_e64 s[0:1], s14, v0
	s_and_saveexec_b64 s[2:3], s[0:1]
	s_cbranch_execz .LBB158_17
; %bb.16:
	v_bfe_u32 v2, v116, 16, 1
	s_movk_i32 s4, 0x7fff
	v_add3_u32 v2, v116, v2, s4
	v_cmp_o_f32_e32 vcc, v116, v116
	v_mov_b32_e32 v3, 0x7fc0
	s_nop 0
	v_cndmask_b32_sdwa v4, v3, v2, vcc dst_sel:DWORD dst_unused:UNUSED_PAD src0_sel:DWORD src1_sel:WORD_1
	v_add_u32_e32 v2, v0, v5
	v_mov_b32_e32 v3, 0
	s_waitcnt lgkmcnt(0)
	v_lshl_add_u64 v[2:3], v[2:3], 1, s[12:13]
	global_store_short v[2:3], v4, off
.LBB158_17:
	s_or_b64 exec, exec, s[2:3]
	v_add_u32_e32 v2, 32, v0
	v_cmp_gt_u32_e64 s[2:3], s14, v2
	s_and_saveexec_b64 s[4:5], s[2:3]
	s_cbranch_execz .LBB158_19
; %bb.18:
	v_bfe_u32 v3, v118, 16, 1
	s_movk_i32 s6, 0x7fff
	v_add3_u32 v3, v118, v3, s6
	v_cmp_o_f32_e32 vcc, v118, v118
	v_mov_b32_e32 v4, 0x7fc0
	v_add_u32_e32 v6, v2, v5
	v_mov_b32_e32 v7, 0
	v_cndmask_b32_sdwa v3, v4, v3, vcc dst_sel:DWORD dst_unused:UNUSED_PAD src0_sel:DWORD src1_sel:WORD_1
	s_waitcnt lgkmcnt(0)
	v_lshl_add_u64 v[6:7], v[6:7], 1, s[12:13]
	global_store_short v[6:7], v3, off
.LBB158_19:
	s_or_b64 exec, exec, s[4:5]
	v_add_u32_e32 v3, 64, v0
	v_cmp_gt_u32_e64 s[4:5], s14, v3
	s_and_saveexec_b64 s[6:7], s[4:5]
	s_cbranch_execz .LBB158_21
; %bb.20:
	v_bfe_u32 v4, v114, 16, 1
	s_movk_i32 s8, 0x7fff
	v_add3_u32 v4, v114, v4, s8
	v_cmp_o_f32_e32 vcc, v114, v114
	v_mov_b32_e32 v6, 0x7fc0
	v_mov_b32_e32 v7, 0
	v_cndmask_b32_sdwa v4, v6, v4, vcc dst_sel:DWORD dst_unused:UNUSED_PAD src0_sel:DWORD src1_sel:WORD_1
	v_add_u32_e32 v6, v3, v5
	s_waitcnt lgkmcnt(0)
	v_lshl_add_u64 v[6:7], v[6:7], 1, s[12:13]
	global_store_short v[6:7], v4, off
.LBB158_21:
	s_or_b64 exec, exec, s[6:7]
	v_add_u32_e32 v4, 0x60, v0
	v_cmp_gt_u32_e64 s[6:7], s14, v4
	s_and_saveexec_b64 s[8:9], s[6:7]
	s_cbranch_execz .LBB158_23
; %bb.22:
	v_bfe_u32 v6, v108, 16, 1
	s_movk_i32 s11, 0x7fff
	v_add3_u32 v6, v108, v6, s11
	v_cmp_o_f32_e32 vcc, v108, v108
	v_mov_b32_e32 v7, 0x7fc0
	s_nop 0
	v_cndmask_b32_sdwa v8, v7, v6, vcc dst_sel:DWORD dst_unused:UNUSED_PAD src0_sel:DWORD src1_sel:WORD_1
	v_add_u32_e32 v6, v4, v5
	v_mov_b32_e32 v7, 0
	s_waitcnt lgkmcnt(0)
	v_lshl_add_u64 v[6:7], v[6:7], 1, s[12:13]
	global_store_short v[6:7], v8, off
.LBB158_23:
	s_or_b64 exec, exec, s[8:9]
	v_add3_u32 v5, v1, s15, 8
	v_cmp_gt_u32_e32 vcc, s10, v5
	s_and_b64 exec, exec, vcc
	s_cbranch_execz .LBB158_3
; %bb.24:
	v_mul_lo_u32 v5, v5, s14
	s_and_saveexec_b64 s[8:9], s[0:1]
	s_cbranch_execnz .LBB158_64
; %bb.25:
	s_or_b64 exec, exec, s[8:9]
	s_and_saveexec_b64 s[8:9], s[2:3]
	s_cbranch_execnz .LBB158_65
.LBB158_26:
	s_or_b64 exec, exec, s[8:9]
	s_and_saveexec_b64 s[8:9], s[4:5]
	s_cbranch_execnz .LBB158_66
.LBB158_27:
	s_or_b64 exec, exec, s[8:9]
	s_and_saveexec_b64 s[8:9], s[6:7]
	s_cbranch_execz .LBB158_29
.LBB158_28:
	v_bfe_u32 v6, v109, 16, 1
	s_movk_i32 s11, 0x7fff
	v_add3_u32 v6, v109, v6, s11
	v_cmp_o_f32_e32 vcc, v109, v109
	v_mov_b32_e32 v7, 0x7fc0
	s_nop 0
	v_cndmask_b32_sdwa v8, v7, v6, vcc dst_sel:DWORD dst_unused:UNUSED_PAD src0_sel:DWORD src1_sel:WORD_1
	v_add_u32_e32 v6, v5, v4
	v_mov_b32_e32 v7, 0
	s_waitcnt lgkmcnt(0)
	v_lshl_add_u64 v[6:7], v[6:7], 1, s[12:13]
	global_store_short v[6:7], v8, off
.LBB158_29:
	s_or_b64 exec, exec, s[8:9]
	v_add3_u32 v5, v1, s15, 16
	v_cmp_gt_u32_e32 vcc, s10, v5
	s_and_b64 exec, exec, vcc
	s_cbranch_execz .LBB158_3
; %bb.30:
	v_mul_lo_u32 v5, v5, s14
	s_and_saveexec_b64 s[8:9], s[0:1]
	s_cbranch_execnz .LBB158_67
; %bb.31:
	s_or_b64 exec, exec, s[8:9]
	s_and_saveexec_b64 s[8:9], s[2:3]
	s_cbranch_execnz .LBB158_68
.LBB158_32:
	s_or_b64 exec, exec, s[8:9]
	s_and_saveexec_b64 s[8:9], s[4:5]
	s_cbranch_execnz .LBB158_69
.LBB158_33:
	s_or_b64 exec, exec, s[8:9]
	s_and_saveexec_b64 s[8:9], s[6:7]
	s_cbranch_execz .LBB158_35
.LBB158_34:
	v_bfe_u32 v6, v68, 16, 1
	s_movk_i32 s11, 0x7fff
	v_add3_u32 v6, v68, v6, s11
	v_cmp_o_f32_e32 vcc, v68, v68
	v_mov_b32_e32 v7, 0x7fc0
	s_nop 0
	v_cndmask_b32_sdwa v8, v7, v6, vcc dst_sel:DWORD dst_unused:UNUSED_PAD src0_sel:DWORD src1_sel:WORD_1
	v_add_u32_e32 v6, v5, v4
	v_mov_b32_e32 v7, 0
	s_waitcnt lgkmcnt(0)
	v_lshl_add_u64 v[6:7], v[6:7], 1, s[12:13]
	global_store_short v[6:7], v8, off
.LBB158_35:
	s_or_b64 exec, exec, s[8:9]
	v_add3_u32 v5, v1, s15, 24
	v_cmp_gt_u32_e32 vcc, s10, v5
	s_and_b64 exec, exec, vcc
	s_cbranch_execz .LBB158_3
; %bb.36:
	v_mul_lo_u32 v5, v5, s14
	s_and_saveexec_b64 s[8:9], s[0:1]
	s_cbranch_execnz .LBB158_70
; %bb.37:
	s_or_b64 exec, exec, s[8:9]
	s_and_saveexec_b64 s[8:9], s[2:3]
	s_cbranch_execnz .LBB158_71
.LBB158_38:
	s_or_b64 exec, exec, s[8:9]
	s_and_saveexec_b64 s[8:9], s[4:5]
	s_cbranch_execnz .LBB158_72
.LBB158_39:
	s_or_b64 exec, exec, s[8:9]
	s_and_saveexec_b64 s[8:9], s[6:7]
	s_cbranch_execz .LBB158_41
.LBB158_40:
	v_bfe_u32 v6, v69, 16, 1
	s_movk_i32 s11, 0x7fff
	v_add3_u32 v6, v69, v6, s11
	v_cmp_o_f32_e32 vcc, v69, v69
	v_mov_b32_e32 v7, 0x7fc0
	s_nop 0
	v_cndmask_b32_sdwa v8, v7, v6, vcc dst_sel:DWORD dst_unused:UNUSED_PAD src0_sel:DWORD src1_sel:WORD_1
	v_add_u32_e32 v6, v5, v4
	v_mov_b32_e32 v7, 0
	s_waitcnt lgkmcnt(0)
	v_lshl_add_u64 v[6:7], v[6:7], 1, s[12:13]
	global_store_short v[6:7], v8, off
.LBB158_41:
	s_or_b64 exec, exec, s[8:9]
	v_add3_u32 v5, v1, s15, 32
	v_cmp_gt_u32_e32 vcc, s10, v5
	s_and_b64 exec, exec, vcc
	s_cbranch_execz .LBB158_3
; %bb.42:
	v_mul_lo_u32 v5, v5, s14
	s_and_saveexec_b64 s[8:9], s[0:1]
	s_cbranch_execnz .LBB158_73
; %bb.43:
	s_or_b64 exec, exec, s[8:9]
	s_and_saveexec_b64 s[8:9], s[2:3]
	s_cbranch_execnz .LBB158_74
.LBB158_44:
	s_or_b64 exec, exec, s[8:9]
	s_and_saveexec_b64 s[8:9], s[4:5]
	s_cbranch_execnz .LBB158_75
.LBB158_45:
	s_or_b64 exec, exec, s[8:9]
	s_and_saveexec_b64 s[8:9], s[6:7]
	s_cbranch_execz .LBB158_47
.LBB158_46:
	v_bfe_u32 v6, v60, 16, 1
	s_movk_i32 s11, 0x7fff
	v_add3_u32 v6, v60, v6, s11
	v_cmp_o_f32_e32 vcc, v60, v60
	v_mov_b32_e32 v7, 0x7fc0
	s_nop 0
	v_cndmask_b32_sdwa v8, v7, v6, vcc dst_sel:DWORD dst_unused:UNUSED_PAD src0_sel:DWORD src1_sel:WORD_1
	v_add_u32_e32 v6, v5, v4
	v_mov_b32_e32 v7, 0
	s_waitcnt lgkmcnt(0)
	v_lshl_add_u64 v[6:7], v[6:7], 1, s[12:13]
	global_store_short v[6:7], v8, off
.LBB158_47:
	s_or_b64 exec, exec, s[8:9]
	v_add3_u32 v5, v1, s15, 40
	v_cmp_gt_u32_e32 vcc, s10, v5
	s_and_b64 exec, exec, vcc
	s_cbranch_execz .LBB158_3
; %bb.48:
	v_mul_lo_u32 v5, v5, s14
	s_and_saveexec_b64 s[8:9], s[0:1]
	s_cbranch_execnz .LBB158_76
; %bb.49:
	s_or_b64 exec, exec, s[8:9]
	s_and_saveexec_b64 s[8:9], s[2:3]
	s_cbranch_execnz .LBB158_77
.LBB158_50:
	s_or_b64 exec, exec, s[8:9]
	s_and_saveexec_b64 s[8:9], s[4:5]
	s_cbranch_execnz .LBB158_78
.LBB158_51:
	s_or_b64 exec, exec, s[8:9]
	s_and_saveexec_b64 s[8:9], s[6:7]
	s_cbranch_execz .LBB158_53
.LBB158_52:
	v_bfe_u32 v6, v61, 16, 1
	s_movk_i32 s11, 0x7fff
	v_add3_u32 v6, v61, v6, s11
	v_cmp_o_f32_e32 vcc, v61, v61
	v_mov_b32_e32 v7, 0x7fc0
	s_nop 0
	v_cndmask_b32_sdwa v8, v7, v6, vcc dst_sel:DWORD dst_unused:UNUSED_PAD src0_sel:DWORD src1_sel:WORD_1
	v_add_u32_e32 v6, v5, v4
	v_mov_b32_e32 v7, 0
	s_waitcnt lgkmcnt(0)
	v_lshl_add_u64 v[6:7], v[6:7], 1, s[12:13]
	global_store_short v[6:7], v8, off
.LBB158_53:
	s_or_b64 exec, exec, s[8:9]
	v_add3_u32 v5, v1, s15, 48
	v_cmp_gt_u32_e32 vcc, s10, v5
	s_and_b64 exec, exec, vcc
	s_cbranch_execz .LBB158_3
; %bb.54:
	v_mul_lo_u32 v5, v5, s14
	s_and_saveexec_b64 s[8:9], s[0:1]
	s_cbranch_execnz .LBB158_79
; %bb.55:
	s_or_b64 exec, exec, s[8:9]
	s_and_saveexec_b64 s[8:9], s[2:3]
	s_cbranch_execnz .LBB158_80
.LBB158_56:
	s_or_b64 exec, exec, s[8:9]
	s_and_saveexec_b64 s[8:9], s[4:5]
	s_cbranch_execnz .LBB158_81
.LBB158_57:
	s_or_b64 exec, exec, s[8:9]
	s_and_saveexec_b64 s[8:9], s[6:7]
	s_cbranch_execz .LBB158_59
.LBB158_58:
	v_bfe_u32 v6, v52, 16, 1
	s_movk_i32 s11, 0x7fff
	v_add3_u32 v6, v52, v6, s11
	v_cmp_o_f32_e32 vcc, v52, v52
	v_mov_b32_e32 v7, 0x7fc0
	s_nop 0
	v_cndmask_b32_sdwa v8, v7, v6, vcc dst_sel:DWORD dst_unused:UNUSED_PAD src0_sel:DWORD src1_sel:WORD_1
	v_add_u32_e32 v6, v5, v4
	v_mov_b32_e32 v7, 0
	s_waitcnt lgkmcnt(0)
	v_lshl_add_u64 v[6:7], v[6:7], 1, s[12:13]
	global_store_short v[6:7], v8, off
.LBB158_59:
	s_or_b64 exec, exec, s[8:9]
	v_add3_u32 v1, v1, s15, 56
	v_cmp_gt_u32_e32 vcc, s10, v1
	s_and_b64 exec, exec, vcc
	s_cbranch_execz .LBB158_3
; %bb.60:
	v_mul_lo_u32 v1, v1, s14
	s_and_saveexec_b64 s[8:9], s[0:1]
	s_cbranch_execnz .LBB158_82
; %bb.61:
	s_or_b64 exec, exec, s[8:9]
	s_and_saveexec_b64 s[0:1], s[2:3]
	s_cbranch_execnz .LBB158_83
.LBB158_62:
	s_or_b64 exec, exec, s[0:1]
	s_and_saveexec_b64 s[0:1], s[4:5]
	s_cbranch_execnz .LBB158_84
.LBB158_63:
	s_or_b64 exec, exec, s[0:1]
	s_and_b64 exec, exec, s[6:7]
	s_cbranch_execz .LBB158_3
	s_branch .LBB158_85
.LBB158_64:
	v_bfe_u32 v6, v117, 16, 1
	s_movk_i32 s11, 0x7fff
	v_add3_u32 v6, v117, v6, s11
	v_cmp_o_f32_e32 vcc, v117, v117
	v_mov_b32_e32 v7, 0x7fc0
	s_nop 0
	v_cndmask_b32_sdwa v8, v7, v6, vcc dst_sel:DWORD dst_unused:UNUSED_PAD src0_sel:DWORD src1_sel:WORD_1
	v_add_u32_e32 v6, v5, v0
	v_mov_b32_e32 v7, 0
	s_waitcnt lgkmcnt(0)
	v_lshl_add_u64 v[6:7], v[6:7], 1, s[12:13]
	global_store_short v[6:7], v8, off
	s_or_b64 exec, exec, s[8:9]
	s_and_saveexec_b64 s[8:9], s[2:3]
	s_cbranch_execz .LBB158_26
.LBB158_65:
	v_bfe_u32 v6, v119, 16, 1
	s_movk_i32 s11, 0x7fff
	v_add3_u32 v6, v119, v6, s11
	v_cmp_o_f32_e32 vcc, v119, v119
	v_mov_b32_e32 v7, 0x7fc0
	s_nop 0
	v_cndmask_b32_sdwa v8, v7, v6, vcc dst_sel:DWORD dst_unused:UNUSED_PAD src0_sel:DWORD src1_sel:WORD_1
	v_add_u32_e32 v6, v5, v2
	v_mov_b32_e32 v7, 0
	s_waitcnt lgkmcnt(0)
	v_lshl_add_u64 v[6:7], v[6:7], 1, s[12:13]
	global_store_short v[6:7], v8, off
	s_or_b64 exec, exec, s[8:9]
	s_and_saveexec_b64 s[8:9], s[4:5]
	s_cbranch_execz .LBB158_27
.LBB158_66:
	v_bfe_u32 v6, v115, 16, 1
	s_movk_i32 s11, 0x7fff
	v_add3_u32 v6, v115, v6, s11
	v_cmp_o_f32_e32 vcc, v115, v115
	v_mov_b32_e32 v7, 0x7fc0
	s_nop 0
	v_cndmask_b32_sdwa v8, v7, v6, vcc dst_sel:DWORD dst_unused:UNUSED_PAD src0_sel:DWORD src1_sel:WORD_1
	v_add_u32_e32 v6, v5, v3
	v_mov_b32_e32 v7, 0
	s_waitcnt lgkmcnt(0)
	v_lshl_add_u64 v[6:7], v[6:7], 1, s[12:13]
	global_store_short v[6:7], v8, off
	s_or_b64 exec, exec, s[8:9]
	s_and_saveexec_b64 s[8:9], s[6:7]
	s_cbranch_execnz .LBB158_28
	s_branch .LBB158_29
.LBB158_67:
	v_bfe_u32 v6, v74, 16, 1
	s_movk_i32 s11, 0x7fff
	v_add3_u32 v6, v74, v6, s11
	v_cmp_o_f32_e32 vcc, v74, v74
	v_mov_b32_e32 v7, 0x7fc0
	s_nop 0
	v_cndmask_b32_sdwa v8, v7, v6, vcc dst_sel:DWORD dst_unused:UNUSED_PAD src0_sel:DWORD src1_sel:WORD_1
	v_add_u32_e32 v6, v5, v0
	v_mov_b32_e32 v7, 0
	s_waitcnt lgkmcnt(0)
	v_lshl_add_u64 v[6:7], v[6:7], 1, s[12:13]
	global_store_short v[6:7], v8, off
	s_or_b64 exec, exec, s[8:9]
	s_and_saveexec_b64 s[8:9], s[2:3]
	s_cbranch_execz .LBB158_32
.LBB158_68:
	v_bfe_u32 v6, v72, 16, 1
	s_movk_i32 s11, 0x7fff
	v_add3_u32 v6, v72, v6, s11
	v_cmp_o_f32_e32 vcc, v72, v72
	v_mov_b32_e32 v7, 0x7fc0
	s_nop 0
	v_cndmask_b32_sdwa v8, v7, v6, vcc dst_sel:DWORD dst_unused:UNUSED_PAD src0_sel:DWORD src1_sel:WORD_1
	v_add_u32_e32 v6, v5, v2
	v_mov_b32_e32 v7, 0
	s_waitcnt lgkmcnt(0)
	v_lshl_add_u64 v[6:7], v[6:7], 1, s[12:13]
	global_store_short v[6:7], v8, off
	s_or_b64 exec, exec, s[8:9]
	s_and_saveexec_b64 s[8:9], s[4:5]
	s_cbranch_execz .LBB158_33
.LBB158_69:
	v_bfe_u32 v6, v70, 16, 1
	s_movk_i32 s11, 0x7fff
	v_add3_u32 v6, v70, v6, s11
	v_cmp_o_f32_e32 vcc, v70, v70
	v_mov_b32_e32 v7, 0x7fc0
	s_nop 0
	v_cndmask_b32_sdwa v8, v7, v6, vcc dst_sel:DWORD dst_unused:UNUSED_PAD src0_sel:DWORD src1_sel:WORD_1
	v_add_u32_e32 v6, v5, v3
	v_mov_b32_e32 v7, 0
	s_waitcnt lgkmcnt(0)
	v_lshl_add_u64 v[6:7], v[6:7], 1, s[12:13]
	global_store_short v[6:7], v8, off
	s_or_b64 exec, exec, s[8:9]
	s_and_saveexec_b64 s[8:9], s[6:7]
	s_cbranch_execnz .LBB158_34
	s_branch .LBB158_35
.LBB158_70:
	v_bfe_u32 v6, v75, 16, 1
	s_movk_i32 s11, 0x7fff
	v_add3_u32 v6, v75, v6, s11
	v_cmp_o_f32_e32 vcc, v75, v75
	v_mov_b32_e32 v7, 0x7fc0
	s_nop 0
	v_cndmask_b32_sdwa v8, v7, v6, vcc dst_sel:DWORD dst_unused:UNUSED_PAD src0_sel:DWORD src1_sel:WORD_1
	v_add_u32_e32 v6, v5, v0
	v_mov_b32_e32 v7, 0
	s_waitcnt lgkmcnt(0)
	v_lshl_add_u64 v[6:7], v[6:7], 1, s[12:13]
	global_store_short v[6:7], v8, off
	s_or_b64 exec, exec, s[8:9]
	s_and_saveexec_b64 s[8:9], s[2:3]
	s_cbranch_execz .LBB158_38
.LBB158_71:
	v_bfe_u32 v6, v73, 16, 1
	s_movk_i32 s11, 0x7fff
	v_add3_u32 v6, v73, v6, s11
	v_cmp_o_f32_e32 vcc, v73, v73
	v_mov_b32_e32 v7, 0x7fc0
	s_nop 0
	v_cndmask_b32_sdwa v8, v7, v6, vcc dst_sel:DWORD dst_unused:UNUSED_PAD src0_sel:DWORD src1_sel:WORD_1
	v_add_u32_e32 v6, v5, v2
	v_mov_b32_e32 v7, 0
	s_waitcnt lgkmcnt(0)
	v_lshl_add_u64 v[6:7], v[6:7], 1, s[12:13]
	global_store_short v[6:7], v8, off
	s_or_b64 exec, exec, s[8:9]
	s_and_saveexec_b64 s[8:9], s[4:5]
	s_cbranch_execz .LBB158_39
.LBB158_72:
	v_bfe_u32 v6, v71, 16, 1
	s_movk_i32 s11, 0x7fff
	v_add3_u32 v6, v71, v6, s11
	v_cmp_o_f32_e32 vcc, v71, v71
	v_mov_b32_e32 v7, 0x7fc0
	s_nop 0
	v_cndmask_b32_sdwa v8, v7, v6, vcc dst_sel:DWORD dst_unused:UNUSED_PAD src0_sel:DWORD src1_sel:WORD_1
	v_add_u32_e32 v6, v5, v3
	v_mov_b32_e32 v7, 0
	s_waitcnt lgkmcnt(0)
	v_lshl_add_u64 v[6:7], v[6:7], 1, s[12:13]
	global_store_short v[6:7], v8, off
	s_or_b64 exec, exec, s[8:9]
	s_and_saveexec_b64 s[8:9], s[6:7]
	s_cbranch_execnz .LBB158_40
	s_branch .LBB158_41
.LBB158_73:
	v_bfe_u32 v6, v66, 16, 1
	s_movk_i32 s11, 0x7fff
	v_add3_u32 v6, v66, v6, s11
	v_cmp_o_f32_e32 vcc, v66, v66
	v_mov_b32_e32 v7, 0x7fc0
	s_nop 0
	v_cndmask_b32_sdwa v8, v7, v6, vcc dst_sel:DWORD dst_unused:UNUSED_PAD src0_sel:DWORD src1_sel:WORD_1
	v_add_u32_e32 v6, v5, v0
	v_mov_b32_e32 v7, 0
	s_waitcnt lgkmcnt(0)
	v_lshl_add_u64 v[6:7], v[6:7], 1, s[12:13]
	global_store_short v[6:7], v8, off
	s_or_b64 exec, exec, s[8:9]
	s_and_saveexec_b64 s[8:9], s[2:3]
	s_cbranch_execz .LBB158_44
.LBB158_74:
	v_bfe_u32 v6, v64, 16, 1
	s_movk_i32 s11, 0x7fff
	v_add3_u32 v6, v64, v6, s11
	v_cmp_o_f32_e32 vcc, v64, v64
	v_mov_b32_e32 v7, 0x7fc0
	s_nop 0
	v_cndmask_b32_sdwa v8, v7, v6, vcc dst_sel:DWORD dst_unused:UNUSED_PAD src0_sel:DWORD src1_sel:WORD_1
	v_add_u32_e32 v6, v5, v2
	v_mov_b32_e32 v7, 0
	s_waitcnt lgkmcnt(0)
	v_lshl_add_u64 v[6:7], v[6:7], 1, s[12:13]
	global_store_short v[6:7], v8, off
	s_or_b64 exec, exec, s[8:9]
	s_and_saveexec_b64 s[8:9], s[4:5]
	s_cbranch_execz .LBB158_45
.LBB158_75:
	v_bfe_u32 v6, v62, 16, 1
	s_movk_i32 s11, 0x7fff
	v_add3_u32 v6, v62, v6, s11
	v_cmp_o_f32_e32 vcc, v62, v62
	v_mov_b32_e32 v7, 0x7fc0
	s_nop 0
	v_cndmask_b32_sdwa v8, v7, v6, vcc dst_sel:DWORD dst_unused:UNUSED_PAD src0_sel:DWORD src1_sel:WORD_1
	v_add_u32_e32 v6, v5, v3
	v_mov_b32_e32 v7, 0
	s_waitcnt lgkmcnt(0)
	v_lshl_add_u64 v[6:7], v[6:7], 1, s[12:13]
	global_store_short v[6:7], v8, off
	s_or_b64 exec, exec, s[8:9]
	s_and_saveexec_b64 s[8:9], s[6:7]
	s_cbranch_execnz .LBB158_46
	s_branch .LBB158_47
.LBB158_76:
	v_bfe_u32 v6, v67, 16, 1
	s_movk_i32 s11, 0x7fff
	v_add3_u32 v6, v67, v6, s11
	v_cmp_o_f32_e32 vcc, v67, v67
	v_mov_b32_e32 v7, 0x7fc0
	s_nop 0
	v_cndmask_b32_sdwa v8, v7, v6, vcc dst_sel:DWORD dst_unused:UNUSED_PAD src0_sel:DWORD src1_sel:WORD_1
	v_add_u32_e32 v6, v5, v0
	v_mov_b32_e32 v7, 0
	s_waitcnt lgkmcnt(0)
	v_lshl_add_u64 v[6:7], v[6:7], 1, s[12:13]
	global_store_short v[6:7], v8, off
	s_or_b64 exec, exec, s[8:9]
	s_and_saveexec_b64 s[8:9], s[2:3]
	s_cbranch_execz .LBB158_50
.LBB158_77:
	v_bfe_u32 v6, v65, 16, 1
	s_movk_i32 s11, 0x7fff
	v_add3_u32 v6, v65, v6, s11
	v_cmp_o_f32_e32 vcc, v65, v65
	v_mov_b32_e32 v7, 0x7fc0
	s_nop 0
	v_cndmask_b32_sdwa v8, v7, v6, vcc dst_sel:DWORD dst_unused:UNUSED_PAD src0_sel:DWORD src1_sel:WORD_1
	v_add_u32_e32 v6, v5, v2
	v_mov_b32_e32 v7, 0
	s_waitcnt lgkmcnt(0)
	v_lshl_add_u64 v[6:7], v[6:7], 1, s[12:13]
	global_store_short v[6:7], v8, off
	s_or_b64 exec, exec, s[8:9]
	s_and_saveexec_b64 s[8:9], s[4:5]
	s_cbranch_execz .LBB158_51
.LBB158_78:
	v_bfe_u32 v6, v63, 16, 1
	s_movk_i32 s11, 0x7fff
	v_add3_u32 v6, v63, v6, s11
	v_cmp_o_f32_e32 vcc, v63, v63
	v_mov_b32_e32 v7, 0x7fc0
	s_nop 0
	v_cndmask_b32_sdwa v8, v7, v6, vcc dst_sel:DWORD dst_unused:UNUSED_PAD src0_sel:DWORD src1_sel:WORD_1
	v_add_u32_e32 v6, v5, v3
	v_mov_b32_e32 v7, 0
	s_waitcnt lgkmcnt(0)
	v_lshl_add_u64 v[6:7], v[6:7], 1, s[12:13]
	global_store_short v[6:7], v8, off
	s_or_b64 exec, exec, s[8:9]
	s_and_saveexec_b64 s[8:9], s[6:7]
	s_cbranch_execnz .LBB158_52
	s_branch .LBB158_53
.LBB158_79:
	v_bfe_u32 v6, v58, 16, 1
	s_movk_i32 s11, 0x7fff
	v_add3_u32 v6, v58, v6, s11
	v_cmp_o_f32_e32 vcc, v58, v58
	v_mov_b32_e32 v7, 0x7fc0
	s_nop 0
	v_cndmask_b32_sdwa v8, v7, v6, vcc dst_sel:DWORD dst_unused:UNUSED_PAD src0_sel:DWORD src1_sel:WORD_1
	v_add_u32_e32 v6, v5, v0
	v_mov_b32_e32 v7, 0
	s_waitcnt lgkmcnt(0)
	v_lshl_add_u64 v[6:7], v[6:7], 1, s[12:13]
	global_store_short v[6:7], v8, off
	s_or_b64 exec, exec, s[8:9]
	s_and_saveexec_b64 s[8:9], s[2:3]
	s_cbranch_execz .LBB158_56
.LBB158_80:
	v_bfe_u32 v6, v56, 16, 1
	s_movk_i32 s11, 0x7fff
	v_add3_u32 v6, v56, v6, s11
	v_cmp_o_f32_e32 vcc, v56, v56
	v_mov_b32_e32 v7, 0x7fc0
	s_nop 0
	v_cndmask_b32_sdwa v8, v7, v6, vcc dst_sel:DWORD dst_unused:UNUSED_PAD src0_sel:DWORD src1_sel:WORD_1
	v_add_u32_e32 v6, v5, v2
	v_mov_b32_e32 v7, 0
	s_waitcnt lgkmcnt(0)
	v_lshl_add_u64 v[6:7], v[6:7], 1, s[12:13]
	global_store_short v[6:7], v8, off
	s_or_b64 exec, exec, s[8:9]
	s_and_saveexec_b64 s[8:9], s[4:5]
	s_cbranch_execz .LBB158_57
.LBB158_81:
	v_bfe_u32 v6, v54, 16, 1
	s_movk_i32 s11, 0x7fff
	v_add3_u32 v6, v54, v6, s11
	v_cmp_o_f32_e32 vcc, v54, v54
	v_mov_b32_e32 v7, 0x7fc0
	s_nop 0
	v_cndmask_b32_sdwa v8, v7, v6, vcc dst_sel:DWORD dst_unused:UNUSED_PAD src0_sel:DWORD src1_sel:WORD_1
	v_add_u32_e32 v6, v5, v3
	v_mov_b32_e32 v7, 0
	s_waitcnt lgkmcnt(0)
	v_lshl_add_u64 v[6:7], v[6:7], 1, s[12:13]
	global_store_short v[6:7], v8, off
	s_or_b64 exec, exec, s[8:9]
	s_and_saveexec_b64 s[8:9], s[6:7]
	s_cbranch_execnz .LBB158_58
	s_branch .LBB158_59
.LBB158_82:
	v_bfe_u32 v5, v59, 16, 1
	s_movk_i32 s0, 0x7fff
	v_add3_u32 v5, v59, v5, s0
	v_cmp_o_f32_e32 vcc, v59, v59
	v_mov_b32_e32 v6, 0x7fc0
	v_mov_b32_e32 v7, 0
	v_cndmask_b32_sdwa v5, v6, v5, vcc dst_sel:DWORD dst_unused:UNUSED_PAD src0_sel:DWORD src1_sel:WORD_1
	v_add_u32_e32 v6, v1, v0
	s_waitcnt lgkmcnt(0)
	v_lshl_add_u64 v[6:7], v[6:7], 1, s[12:13]
	global_store_short v[6:7], v5, off
	s_or_b64 exec, exec, s[8:9]
	s_and_saveexec_b64 s[0:1], s[2:3]
	s_cbranch_execz .LBB158_62
.LBB158_83:
	v_bfe_u32 v0, v57, 16, 1
	s_movk_i32 s2, 0x7fff
	v_add3_u32 v0, v57, v0, s2
	v_cmp_o_f32_e32 vcc, v57, v57
	v_mov_b32_e32 v5, 0x7fc0
	v_add_u32_e32 v6, v1, v2
	v_mov_b32_e32 v7, 0
	v_cndmask_b32_sdwa v0, v5, v0, vcc dst_sel:DWORD dst_unused:UNUSED_PAD src0_sel:DWORD src1_sel:WORD_1
	s_waitcnt lgkmcnt(0)
	v_lshl_add_u64 v[6:7], v[6:7], 1, s[12:13]
	global_store_short v[6:7], v0, off
	s_or_b64 exec, exec, s[0:1]
	s_and_saveexec_b64 s[0:1], s[4:5]
	s_cbranch_execz .LBB158_63
.LBB158_84:
	v_bfe_u32 v0, v55, 16, 1
	s_movk_i32 s2, 0x7fff
	v_add3_u32 v0, v55, v0, s2
	v_cmp_o_f32_e32 vcc, v55, v55
	v_mov_b32_e32 v2, 0x7fc0
	s_nop 0
	v_cndmask_b32_sdwa v0, v2, v0, vcc dst_sel:DWORD dst_unused:UNUSED_PAD src0_sel:DWORD src1_sel:WORD_1
	v_add_u32_e32 v2, v1, v3
	v_mov_b32_e32 v3, 0
	s_waitcnt lgkmcnt(0)
	v_lshl_add_u64 v[2:3], v[2:3], 1, s[12:13]
	global_store_short v[2:3], v0, off
	s_or_b64 exec, exec, s[0:1]
	s_and_b64 exec, exec, s[6:7]
	s_cbranch_execz .LBB158_3
.LBB158_85:
	v_bfe_u32 v0, v53, 16, 1
	s_movk_i32 s0, 0x7fff
	v_add3_u32 v0, v53, v0, s0
	v_cmp_o_f32_e32 vcc, v53, v53
	v_mov_b32_e32 v2, 0x7fc0
	s_nop 0
	v_cndmask_b32_sdwa v2, v2, v0, vcc dst_sel:DWORD dst_unused:UNUSED_PAD src0_sel:DWORD src1_sel:WORD_1
	v_add_u32_e32 v0, v1, v4
	v_mov_b32_e32 v1, 0
	s_waitcnt lgkmcnt(0)
	v_lshl_add_u64 v[0:1], v[0:1], 1, s[12:13]
	global_store_short v[0:1], v2, off
	s_endpgm
	.section	.rodata,"a",@progbits
	.p2align	6, 0x0
	.amdhsa_kernel _ZL12mul_mat_q4_0IN3c108BFloat16ELb1EEvPKvS3_PT_iiiii
		.amdhsa_group_segment_fixed_size 30336
		.amdhsa_private_segment_fixed_size 0
		.amdhsa_kernarg_size 44
		.amdhsa_user_sgpr_count 2
		.amdhsa_user_sgpr_dispatch_ptr 0
		.amdhsa_user_sgpr_queue_ptr 0
		.amdhsa_user_sgpr_kernarg_segment_ptr 1
		.amdhsa_user_sgpr_dispatch_id 0
		.amdhsa_user_sgpr_kernarg_preload_length 0
		.amdhsa_user_sgpr_kernarg_preload_offset 0
		.amdhsa_user_sgpr_private_segment_size 0
		.amdhsa_uses_dynamic_stack 0
		.amdhsa_enable_private_segment 0
		.amdhsa_system_sgpr_workgroup_id_x 1
		.amdhsa_system_sgpr_workgroup_id_y 1
		.amdhsa_system_sgpr_workgroup_id_z 0
		.amdhsa_system_sgpr_workgroup_info 0
		.amdhsa_system_vgpr_workitem_id 1
		.amdhsa_next_free_vgpr 243
		.amdhsa_next_free_sgpr 96
		.amdhsa_accum_offset 244
		.amdhsa_reserve_vcc 1
		.amdhsa_float_round_mode_32 0
		.amdhsa_float_round_mode_16_64 0
		.amdhsa_float_denorm_mode_32 3
		.amdhsa_float_denorm_mode_16_64 3
		.amdhsa_dx10_clamp 1
		.amdhsa_ieee_mode 1
		.amdhsa_fp16_overflow 0
		.amdhsa_tg_split 0
		.amdhsa_exception_fp_ieee_invalid_op 0
		.amdhsa_exception_fp_denorm_src 0
		.amdhsa_exception_fp_ieee_div_zero 0
		.amdhsa_exception_fp_ieee_overflow 0
		.amdhsa_exception_fp_ieee_underflow 0
		.amdhsa_exception_fp_ieee_inexact 0
		.amdhsa_exception_int_div_zero 0
	.end_amdhsa_kernel
	.section	.text._ZL12mul_mat_q4_0IN3c108BFloat16ELb1EEvPKvS3_PT_iiiii,"axG",@progbits,_ZL12mul_mat_q4_0IN3c108BFloat16ELb1EEvPKvS3_PT_iiiii,comdat
.Lfunc_end158:
	.size	_ZL12mul_mat_q4_0IN3c108BFloat16ELb1EEvPKvS3_PT_iiiii, .Lfunc_end158-_ZL12mul_mat_q4_0IN3c108BFloat16ELb1EEvPKvS3_PT_iiiii
                                        ; -- End function
	.set _ZL12mul_mat_q4_0IN3c108BFloat16ELb1EEvPKvS3_PT_iiiii.num_vgpr, 243
	.set _ZL12mul_mat_q4_0IN3c108BFloat16ELb1EEvPKvS3_PT_iiiii.num_agpr, 0
	.set _ZL12mul_mat_q4_0IN3c108BFloat16ELb1EEvPKvS3_PT_iiiii.numbered_sgpr, 18
	.set _ZL12mul_mat_q4_0IN3c108BFloat16ELb1EEvPKvS3_PT_iiiii.num_named_barrier, 0
	.set _ZL12mul_mat_q4_0IN3c108BFloat16ELb1EEvPKvS3_PT_iiiii.private_seg_size, 0
	.set _ZL12mul_mat_q4_0IN3c108BFloat16ELb1EEvPKvS3_PT_iiiii.uses_vcc, 1
	.set _ZL12mul_mat_q4_0IN3c108BFloat16ELb1EEvPKvS3_PT_iiiii.uses_flat_scratch, 0
	.set _ZL12mul_mat_q4_0IN3c108BFloat16ELb1EEvPKvS3_PT_iiiii.has_dyn_sized_stack, 0
	.set _ZL12mul_mat_q4_0IN3c108BFloat16ELb1EEvPKvS3_PT_iiiii.has_recursion, 0
	.set _ZL12mul_mat_q4_0IN3c108BFloat16ELb1EEvPKvS3_PT_iiiii.has_indirect_call, 0
	.section	.AMDGPU.csdata,"",@progbits
; Kernel info:
; codeLenInByte = 11056
; TotalNumSgprs: 24
; NumVgprs: 243
; NumAgprs: 0
; TotalNumVgprs: 243
; ScratchSize: 0
; MemoryBound: 0
; FloatMode: 240
; IeeeMode: 1
; LDSByteSize: 30336 bytes/workgroup (compile time only)
; SGPRBlocks: 12
; VGPRBlocks: 30
; NumSGPRsForWavesPerEU: 102
; NumVGPRsForWavesPerEU: 243
; AccumOffset: 244
; Occupancy: 2
; WaveLimiterHint : 0
; COMPUTE_PGM_RSRC2:SCRATCH_EN: 0
; COMPUTE_PGM_RSRC2:USER_SGPR: 2
; COMPUTE_PGM_RSRC2:TRAP_HANDLER: 0
; COMPUTE_PGM_RSRC2:TGID_X_EN: 1
; COMPUTE_PGM_RSRC2:TGID_Y_EN: 1
; COMPUTE_PGM_RSRC2:TGID_Z_EN: 0
; COMPUTE_PGM_RSRC2:TIDIG_COMP_CNT: 1
; COMPUTE_PGM_RSRC3_GFX90A:ACCUM_OFFSET: 60
; COMPUTE_PGM_RSRC3_GFX90A:TG_SPLIT: 0
	.section	.text._ZL12mul_mat_q4_1IN3c108BFloat16ELb0EEvPKvS3_PT_iiiii,"axG",@progbits,_ZL12mul_mat_q4_1IN3c108BFloat16ELb0EEvPKvS3_PT_iiiii,comdat
	.globl	_ZL12mul_mat_q4_1IN3c108BFloat16ELb0EEvPKvS3_PT_iiiii ; -- Begin function _ZL12mul_mat_q4_1IN3c108BFloat16ELb0EEvPKvS3_PT_iiiii
	.p2align	8
	.type	_ZL12mul_mat_q4_1IN3c108BFloat16ELb0EEvPKvS3_PT_iiiii,@function
_ZL12mul_mat_q4_1IN3c108BFloat16ELb0EEvPKvS3_PT_iiiii: ; @_ZL12mul_mat_q4_1IN3c108BFloat16ELb0EEvPKvS3_PT_iiiii
; %bb.0:
	s_load_dword s6, s[0:1], 0x18
	s_load_dwordx4 s[8:11], s[0:1], 0x20
	s_waitcnt lgkmcnt(0)
	s_lshl_b32 s11, s3, 6
	v_bfe_u32 v89, v0, 10, 10
	s_cmp_gt_i32 s6, 31
	s_cbranch_scc1 .LBB159_4
; %bb.1:
	v_bfe_u32 v1, v0, 10, 10
	v_and_b32_e32 v83, 0x3ff, v0
	v_add_u32_e32 v91, s11, v1
	s_load_dwordx2 s[12:13], s[0:1], 0x10
	s_lshl_b32 s4, s2, 7
	s_cbranch_execz .LBB159_5
; %bb.2:
	v_mov_b32_e32 v56, 0
	v_mov_b32_e32 v57, v56
	v_mov_b64_e32 v[64:65], v[56:57]
	v_mov_b64_e32 v[72:73], v[56:57]
	;; [unrolled: 1-line block ×15, first 2 shown]
	v_cmp_gt_u32_e32 vcc, s8, v91
	s_and_saveexec_b64 s[0:1], vcc
	s_cbranch_execnz .LBB159_15
.LBB159_3:
	s_endpgm
.LBB159_4:
                                        ; implicit-def: $vgpr1
                                        ; implicit-def: $vgpr83
                                        ; implicit-def: $vgpr91
	s_load_dwordx2 s[12:13], s[0:1], 0x10
	s_lshl_b32 s4, s2, 7
.LBB159_5:
	s_ashr_i32 s5, s6, 31
	s_lshr_b32 s5, s5, 27
	s_load_dwordx4 s[0:3], s[0:1], 0x0
	s_add_i32 s14, s6, s5
	s_ashr_i32 s6, s9, 31
	s_lshr_b32 s6, s6, 27
	s_ashr_i32 s5, s14, 5
	s_add_i32 s6, s9, s6
	s_ashr_i32 s15, s6, 5
	s_mul_i32 s6, s5, s4
	v_bfe_u32 v133, v0, 3, 7
	s_mul_hi_i32 s7, s6, 20
	s_mul_i32 s6, s6, 20
	v_and_b32_e32 v116, 7, v0
	v_lshl_add_u32 v2, v89, 2, v133
	s_waitcnt lgkmcnt(0)
	s_add_u32 s6, s0, s6
	v_and_b32_e32 v3, 0x7fc, v2
	v_lshlrev_b32_e32 v4, 2, v116
	s_movk_i32 s0, 0x6200
	v_add3_u32 v8, v3, v4, s0
	v_add_u32_e32 v3, 32, v2
	v_and_b32_e32 v83, 0x3ff, v0
	v_mul_lo_u32 v118, s5, v2
	v_lshlrev_b32_e32 v9, 5, v2
	v_and_b32_e32 v5, 0xffc, v3
	v_lshlrev_b32_e32 v11, 5, v3
	v_add_u32_e32 v3, 64, v2
	v_add_u32_e32 v2, 0x60, v2
	v_lshlrev_b32_e32 v1, 2, v83
	s_movk_i32 s16, 0x84
	v_add3_u32 v10, v5, v4, s0
	v_and_b32_e32 v5, 0xffc, v3
	v_lshlrev_b32_e32 v13, 5, v3
	v_and_b32_e32 v3, 0xffc, v2
	v_bfe_u32 v82, v0, 2, 8
	v_and_b32_e32 v84, 12, v1
	v_mad_u32_u24 v93, v89, s16, v1
	v_add3_u32 v12, v5, v4, s0
	v_add3_u32 v14, v3, v4, s0
	v_and_b32_e32 v6, 31, v0
	v_and_b32_e32 v4, 28, v1
	v_mov_b32_e32 v1, 0x4200
	v_lshl_or_b32 v1, v6, 2, v1
	v_lshl_add_u32 v6, v89, 3, v82
	v_and_b32_e32 v7, 63, v6
	s_addc_u32 s7, s1, s7
	s_add_i32 s0, s8, -1
	v_or_b32_e32 v16, s11, v7
	v_and_b32_e32 v6, 3, v0
	v_min_i32_e32 v16, s0, v16
	v_lshlrev_b32_e32 v15, 5, v2
	v_cvt_f64_i32_e32 v[2:3], s0
	v_mad_u64_u32 v[120:121], s[0:1], v16, s15, v[6:7]
	v_lshlrev_b32_e32 v6, 2, v6
	v_add_u32_e32 v91, s11, v89
	v_lshl_or_b32 v6, v7, 4, v6
	v_add_u32_e32 v121, 0x7280, v6
	v_cvt_f64_u32_e32 v[6:7], v91
	v_min_f64 v[6:7], v[6:7], v[2:3]
	v_cvt_i32_f64_e32 v6, v[6:7]
	v_mul_lo_u32 v135, s15, v6
	v_add_u32_e32 v6, 8, v91
	v_cvt_f64_u32_e32 v[6:7], v6
	v_min_f64 v[6:7], v[6:7], v[2:3]
	v_cvt_i32_f64_e32 v6, v[6:7]
	v_mul_lo_u32 v137, s15, v6
	;; [unrolled: 5-line block ×4, first 2 shown]
	v_add_u32_e32 v6, 32, v91
	v_cvt_f64_u32_e32 v[6:7], v6
	v_min_f64 v[6:7], v[6:7], v[2:3]
	v_mul_lo_u32 v88, s5, v89
	s_lshl_b32 s17, s5, 3
	v_cvt_i32_f64_e32 v6, v[6:7]
	v_add_u32_e32 v90, s17, v88
	v_mul_lo_u32 v156, s15, v6
	v_add_u32_e32 v6, 40, v91
	v_add_u32_e32 v92, s17, v90
	v_cvt_f64_u32_e32 v[6:7], v6
	v_add_u32_e32 v94, s17, v92
	v_min_f64 v[6:7], v[6:7], v[2:3]
	v_add_u32_e32 v96, s17, v94
	v_cvt_i32_f64_e32 v6, v[6:7]
	v_add_u32_e32 v98, s17, v96
	v_mul_lo_u32 v157, s15, v6
	v_add_u32_e32 v6, 48, v91
	v_add_u32_e32 v100, s17, v98
	v_cvt_f64_u32_e32 v[6:7], v6
	v_add_u32_e32 v104, s17, v100
	v_min_f64 v[6:7], v[6:7], v[2:3]
	v_add_u32_e32 v106, s17, v104
	v_cvt_i32_f64_e32 v6, v[6:7]
	v_add_u32_e32 v108, s17, v106
	v_mul_lo_u32 v158, s15, v6
	v_add_u32_e32 v6, 56, v91
	v_add_u32_e32 v112, s17, v108
	v_cvt_f64_u32_e32 v[6:7], v6
	v_mov_b32_e32 v85, 0
	v_add_u32_e32 v114, s17, v112
	v_min_f64 v[2:3], v[6:7], v[2:3]
	s_and_b32 s18, s14, 0xffffffe0
	v_mov_b32_e32 v5, v85
	v_cvt_i32_f64_e32 v2, v[2:3]
	v_add_u32_e32 v3, 32, v83
	v_add_u32_e32 v6, 64, v83
	;; [unrolled: 1-line block ×4, first 2 shown]
	v_lshlrev_b32_e32 v16, 7, v89
	v_lshrrev_b32_e32 v161, 3, v3
	v_lshl_add_u64 v[122:123], s[2:3], 0, v[4:5]
	v_lshlrev_b32_e32 v4, 5, v83
	v_and_b32_e32 v5, 0x1fc, v7
	v_and_b32_e32 v6, 0x1fc, v6
	;; [unrolled: 1-line block ×4, first 2 shown]
	v_add_u32_e32 v126, s17, v124
	v_add_u32_e32 v132, s18, v118
	;; [unrolled: 1-line block ×8, first 2 shown]
	v_mul_lo_u32 v159, s15, v2
	v_add_u32_e32 v2, 0x1c00, v16
	v_add_u32_e32 v5, v4, v5
	;; [unrolled: 1-line block ×5, first 2 shown]
	v_mov_b32_e32 v4, 0x7280
	v_mov_b32_e32 v110, v85
	;; [unrolled: 1-line block ×3, first 2 shown]
	v_add_u32_e32 v128, s17, v126
	v_add_u32_e32 v134, s18, v132
	;; [unrolled: 1-line block ×17, first 2 shown]
	s_add_i32 s9, s5, 3
	v_mul_u32_u24_e32 v160, 0x84, v83
	v_add_u32_e32 v162, 0x6e00, v5
	v_add_u32_e32 v163, 0x6a00, v6
	;; [unrolled: 1-line block ×5, first 2 shown]
	v_lshl_add_u32 v167, v89, 4, v4
	v_add_u32_e32 v168, v10, v11
	v_add_u32_e32 v169, 0x4200, v16
	;; [unrolled: 1-line block ×3, first 2 shown]
	v_mad_u32_u24 v171, v83, s16, 64
	v_add_u32_e32 v172, 0x6e10, v5
	v_add_u32_e32 v173, 0x6a10, v6
	;; [unrolled: 1-line block ×4, first 2 shown]
	s_mov_b32 s14, 0
	v_add_u32_e32 v176, v14, v15
	v_add_u32_e32 v177, v1, v16
	;; [unrolled: 1-line block ×11, first 2 shown]
	v_mov_b64_e32 v[78:79], v[110:111]
	v_mov_b64_e32 v[70:71], v[110:111]
	;; [unrolled: 1-line block ×15, first 2 shown]
	s_branch .LBB159_7
.LBB159_6:                              ;   in Loop: Header=BB159_7 Depth=1
	s_add_i32 s14, s14, 8
	s_add_i32 s9, s9, -8
	s_cmp_ge_i32 s14, s5
	s_cbranch_scc1 .LBB159_14
.LBB159_7:                              ; =>This Loop Header: Depth=1
                                        ;     Child Loop BB159_9 Depth 2
                                        ;     Child Loop BB159_12 Depth 2
	s_mul_i32 s0, s14, 20
	s_mul_hi_u32 s1, s14, 20
	s_add_u32 s0, s6, s0
	s_addc_u32 s1, s7, s1
	v_mad_u64_u32 v[0:1], s[16:17], v82, 20, s[0:1]
	v_mad_u64_u32 v[2:3], s[16:17], v88, 20, v[0:1]
	v_lshl_add_u64 v[2:3], v[2:3], 0, v[84:85]
	global_load_dword v2, v[2:3], off offset:4
	s_cmp_gt_u32 s9, 3
	s_waitcnt vmcnt(0)
	ds_write_b32 v93, v2
	v_mad_u64_u32 v[2:3], s[16:17], v90, 20, v[0:1]
	v_lshl_add_u64 v[2:3], v[2:3], 0, v[84:85]
	global_load_dword v2, v[2:3], off offset:4
	s_waitcnt vmcnt(0)
	ds_write_b32 v95, v2
	v_mad_u64_u32 v[2:3], s[16:17], v92, 20, v[0:1]
	v_lshl_add_u64 v[2:3], v[2:3], 0, v[84:85]
	global_load_dword v2, v[2:3], off offset:4
	;; [unrolled: 5-line block ×13, first 2 shown]
	s_waitcnt vmcnt(0)
	ds_write_b32 v127, v2
	v_mad_u64_u32 v[2:3], s[16:17], v128, 20, v[0:1]
	v_mad_u64_u32 v[0:1], s[16:17], v130, 20, v[0:1]
	v_lshl_add_u64 v[2:3], v[2:3], 0, v[84:85]
	v_lshl_add_u64 v[0:1], v[0:1], 0, v[84:85]
	global_load_dword v2, v[2:3], off offset:4
	s_nop 0
	global_load_dword v0, v[0:1], off offset:4
	s_waitcnt vmcnt(1)
	ds_write_b32 v129, v2
	s_waitcnt vmcnt(0)
	ds_write_b32 v131, v0
	v_mad_u64_u32 v[0:1], s[0:1], v116, 20, s[0:1]
	v_mad_u64_u32 v[2:3], s[0:1], v118, 20, v[0:1]
	global_load_dword v2, v[2:3], off
	s_waitcnt vmcnt(0)
	ds_write_b32 v166, v2
	v_mad_u64_u32 v[2:3], s[0:1], v132, 20, v[0:1]
	global_load_dword v2, v[2:3], off
	s_waitcnt vmcnt(0)
	ds_write_b32 v168, v2
	v_mad_u64_u32 v[2:3], s[0:1], v134, 20, v[0:1]
	v_mad_u64_u32 v[0:1], s[0:1], v136, 20, v[0:1]
	global_load_dword v2, v[2:3], off
	s_nop 0
	global_load_dword v0, v[0:1], off
	s_waitcnt vmcnt(1)
	ds_write_b32 v170, v2
	s_waitcnt vmcnt(0)
	ds_write_b32 v176, v0
	s_cbranch_scc0 .LBB159_6
; %bb.8:                                ;   in Loop: Header=BB159_7 Depth=1
	v_add_u32_e32 v2, s14, v133
	v_add_u32_e32 v0, v2, v135
	v_mad_i64_i32 v[0:1], s[0:1], v0, 36, v[122:123]
	global_load_dword v0, v[0:1], off offset:4
	v_add_u32_e32 v185, s14, v120
	v_mov_b32_e32 v186, v169
	v_mov_b32_e32 v187, v167
	;; [unrolled: 1-line block ×7, first 2 shown]
	s_waitcnt vmcnt(0)
	ds_write_b32 v177, v0
	v_add_u32_e32 v0, v2, v137
	v_mad_i64_i32 v[0:1], s[0:1], v0, 36, v[122:123]
	global_load_dword v0, v[0:1], off offset:4
	s_waitcnt vmcnt(0)
	ds_write_b32 v178, v0
	v_add_u32_e32 v0, v2, v154
	v_mad_i64_i32 v[0:1], s[0:1], v0, 36, v[122:123]
	global_load_dword v0, v[0:1], off offset:4
	;; [unrolled: 5-line block ×7, first 2 shown]
	s_waitcnt vmcnt(0)
	ds_write_b32 v184, v0
	v_mad_u64_u32 v[0:1], s[0:1], v185, 36, s[2:3]
	global_load_dword v0, v[0:1], off
	s_mov_b32 s0, -4
	s_waitcnt vmcnt(0)
	ds_write_b32 v121, v0
	s_waitcnt lgkmcnt(0)
	s_barrier
.LBB159_9:                              ;   Parent Loop BB159_7 Depth=1
                                        ; =>  This Inner Loop Header: Depth=2
	ds_read_b128 v[40:43], v186
	ds_read_b128 v[0:3], v186 offset:16
	ds_read2_b32 v[138:139], v192 offset0:2 offset1:3
	v_add_u32_e32 v140, 0x1080, v192
	v_add_u32_e32 v141, 0x1088, v192
	;; [unrolled: 1-line block ×5, first 2 shown]
	ds_read2_b32 v[146:147], v192 offset1:1
	ds_read_b32 v148, v191
	v_add_u32_e32 v145, 0x3188, v192
	ds_read_b128 v[28:31], v186 offset:1024
	ds_read_b128 v[8:11], v186 offset:1040
	ds_read_b128 v[32:35], v186 offset:2048
	ds_read_b128 v[20:23], v186 offset:2064
	ds_read_b128 v[36:39], v186 offset:3072
	ds_read_b128 v[16:19], v186 offset:3088
	ds_read_b128 v[44:47], v186 offset:4096
	ds_read_b128 v[4:7], v186 offset:4112
	ds_read_b128 v[48:51], v186 offset:5120
	ds_read_b128 v[12:15], v186 offset:5136
	ds_read_b128 v[52:55], v186 offset:6144
	ds_read_b128 v[24:27], v186 offset:6160
	ds_read2_b32 v[152:153], v140 offset1:1
	ds_read2_b32 v[140:141], v141 offset1:1
	;; [unrolled: 1-line block ×6, first 2 shown]
	s_waitcnt lgkmcnt(14)
	v_and_b32_e32 v149, 0xf0f0f0f, v147
	v_lshrrev_b32_e32 v147, 4, v147
	v_lshrrev_b32_e32 v220, 4, v138
	v_mov_b32_e32 v193, 0
	v_mov_b32_e32 v194, 0
	v_mov_b32_e32 v195, 0
	v_mov_b32_e32 v196, 0
	v_and_b32_e32 v237, 0xf0f0f0f, v146
	v_lshrrev_b32_e32 v150, 4, v146
	v_and_b32_e32 v151, 0xf0f0f0f, v147
	v_and_b32_e32 v147, 0xf0f0f0f, v220
	s_waitcnt lgkmcnt(5)
	v_and_b32_e32 v224, 0xf0f0f0f, v152
	v_lshrrev_b32_e32 v220, 4, v152
	s_waitcnt lgkmcnt(3)
	v_and_b32_e32 v227, 0xf0f0f0f, v218
	v_lshrrev_b32_e32 v218, 4, v218
	s_waitcnt lgkmcnt(1)
	v_and_b32_e32 v231, 0xf0f0f0f, v228
	v_lshrrev_b32_e32 v236, 4, v228
	v_and_b32_e32 v223, 0xf0f0f0f, v150
	v_dot4c_i32_i8_e32 v193, v237, v40
	v_and_b32_e32 v233, 0xf0f0f0f, v220
	v_dot4c_i32_i8_e32 v194, v224, v40
	;; [unrolled: 2-line block ×4, first 2 shown]
	v_mov_b32_e32 v197, 0
	v_mov_b32_e32 v198, 0
	;; [unrolled: 1-line block ×4, first 2 shown]
	v_and_b32_e32 v152, 0xf0f0f0f, v153
	v_lshrrev_b32_e32 v225, 4, v153
	v_lshrrev_b32_e32 v232, 4, v140
	v_and_b32_e32 v221, 0xf0f0f0f, v219
	v_lshrrev_b32_e32 v219, 4, v219
	v_lshrrev_b32_e32 v234, 4, v142
	v_and_b32_e32 v226, 0xf0f0f0f, v229
	v_lshrrev_b32_e32 v229, 4, v229
	v_dot4c_i32_i8_e32 v193, v223, v0
	v_dot4c_i32_i8_e32 v194, v233, v0
	;; [unrolled: 1-line block ×4, first 2 shown]
	v_and_b32_e32 v230, 0xf0f0f0f, v225
	v_and_b32_e32 v225, 0xf0f0f0f, v232
	;; [unrolled: 1-line block ×5, first 2 shown]
	v_dot4c_i32_i8_e32 v193, v149, v41
	v_dot4c_i32_i8_e32 v194, v152, v41
	;; [unrolled: 1-line block ×8, first 2 shown]
	v_and_b32_e32 v146, 0xf0f0f0f, v138
	v_and_b32_e32 v150, 0xf0f0f0f, v140
	;; [unrolled: 1-line block ×3, first 2 shown]
	s_waitcnt lgkmcnt(0)
	v_and_b32_e32 v222, 0xf0f0f0f, v144
	v_lshrrev_b32_e32 v238, 4, v144
	v_dot4c_i32_i8_e32 v193, v151, v1
	v_dot4c_i32_i8_e32 v194, v230, v1
	;; [unrolled: 1-line block ×8, first 2 shown]
	v_mov_b32_e32 v201, 0
	v_mov_b32_e32 v202, 0
	;; [unrolled: 1-line block ×8, first 2 shown]
	v_and_b32_e32 v229, 0xf0f0f0f, v238
	v_dot4c_i32_i8_e32 v193, v146, v42
	v_dot4c_i32_i8_e32 v194, v150, v42
	;; [unrolled: 1-line block ×12, first 2 shown]
	ds_read_b32 v2, v188
	v_dot4c_i32_i8_e32 v197, v151, v9
	v_dot4c_i32_i8_e32 v198, v230, v9
	;; [unrolled: 1-line block ×4, first 2 shown]
	ds_read_b32 v8, v189
	ds_read_b32 v9, v190
	ds_read2_b32 v[0:1], v187 offset1:32
	v_dot4c_i32_i8_e32 v201, v237, v32
	v_dot4c_i32_i8_e32 v202, v224, v32
	;; [unrolled: 1-line block ×32, first 2 shown]
	v_mov_b32_e32 v209, 0
	v_mov_b32_e32 v210, 0
	;; [unrolled: 1-line block ×4, first 2 shown]
	v_dot4c_i32_i8_e32 v197, v146, v30
	v_dot4c_i32_i8_e32 v198, v150, v30
	;; [unrolled: 1-line block ×12, first 2 shown]
	v_mov_b32_e32 v213, 0
	v_mov_b32_e32 v214, 0
	;; [unrolled: 1-line block ×4, first 2 shown]
	v_dot4c_i32_i8_e32 v197, v147, v10
	v_dot4c_i32_i8_e32 v198, v225, v10
	;; [unrolled: 1-line block ×8, first 2 shown]
	s_waitcnt lgkmcnt(0)
	v_pk_mul_f16 v10, v0, v2
	v_pk_mul_f16 v20, v0, v8
	v_pk_mul_f16 v22, v0, v9
	v_pk_mul_f16 v28, v0, v148
	v_dot4c_i32_i8_e32 v205, v147, v18
	v_dot4c_i32_i8_e32 v206, v225, v18
	;; [unrolled: 1-line block ×4, first 2 shown]
	v_pk_mul_f16 v16, v2, v1
	v_pk_mul_f16 v18, v8, v1
	;; [unrolled: 1-line block ×4, first 2 shown]
	ds_read2_b32 v[0:1], v187 offset0:64 offset1:96
	v_dot4c_i32_i8_e32 v209, v237, v44
	v_dot4c_i32_i8_e32 v210, v224, v44
	;; [unrolled: 1-line block ×12, first 2 shown]
	v_mov_b32_e32 v217, 0
	v_mov_b32_e32 v218, 0
	v_mov_b32_e32 v219, 0
	v_mov_b32_e32 v220, 0
	v_dot4c_i32_i8_e32 v209, v149, v45
	v_dot4c_i32_i8_e32 v210, v152, v45
	;; [unrolled: 1-line block ×20, first 2 shown]
	v_and_b32_e32 v138, 0xf0f0f0f, v139
	v_and_b32_e32 v140, 0xf0f0f0f, v141
	;; [unrolled: 1-line block ×4, first 2 shown]
	v_dot4c_i32_i8_e32 v209, v146, v46
	v_dot4c_i32_i8_e32 v210, v150, v46
	;; [unrolled: 1-line block ×24, first 2 shown]
	s_waitcnt lgkmcnt(0)
	v_pk_mul_f16 v30, v2, v0
	v_pk_mul_f16 v31, v8, v0
	v_dot4c_i32_i8_e32 v213, v146, v50
	v_dot4c_i32_i8_e32 v214, v150, v50
	;; [unrolled: 1-line block ×4, first 2 shown]
	v_pk_mul_f16 v36, v8, v1
	v_dot4c_i32_i8_e32 v217, v149, v53
	v_dot4c_i32_i8_e32 v218, v152, v53
	;; [unrolled: 1-line block ×4, first 2 shown]
	ds_read_b128 v[42:45], v186 offset:7168
	v_dot4c_i32_i8_e32 v201, v138, v35
	v_dot4c_i32_i8_e32 v202, v140, v35
	;; [unrolled: 1-line block ×8, first 2 shown]
	v_pk_mul_f16 v46, v9, v0
	v_pk_mul_f16 v238, v148, v0
	v_dot4c_i32_i8_e32 v213, v147, v14
	v_dot4c_i32_i8_e32 v214, v225, v14
	;; [unrolled: 1-line block ×4, first 2 shown]
	v_pk_mul_f16 v14, v2, v1
	v_pk_mul_f16 v47, v9, v1
	;; [unrolled: 1-line block ×3, first 2 shown]
	ds_read2_b32 v[0:1], v187 offset0:128 offset1:160
	v_dot4c_i32_i8_e32 v217, v151, v25
	v_dot4c_i32_i8_e32 v218, v230, v25
	;; [unrolled: 1-line block ×4, first 2 shown]
	v_cvt_f32_f16_e32 v25, v29
	v_cvt_f32_f16_e32 v24, v28
	v_cvt_f32_f16_sdwa v33, v29 dst_sel:DWORD dst_unused:UNUSED_PAD src0_sel:WORD_1
	v_cvt_f32_f16_sdwa v32, v28 dst_sel:DWORD dst_unused:UNUSED_PAD src0_sel:WORD_1
	v_cvt_f32_f16_e32 v38, v30
	v_cvt_f32_f16_sdwa v40, v30 dst_sel:DWORD dst_unused:UNUSED_PAD src0_sel:WORD_1
	v_cvt_f32_f16_e32 v35, v36
	v_cvt_f32_f16_e32 v34, v31
	v_cvt_f32_f16_sdwa v37, v36 dst_sel:DWORD dst_unused:UNUSED_PAD src0_sel:WORD_1
	v_cvt_f32_f16_sdwa v36, v31 dst_sel:DWORD dst_unused:UNUSED_PAD src0_sel:WORD_1
	ds_read_b128 v[28:31], v186 offset:7184
	v_mov_b32_e32 v6, 0
	v_dot4c_i32_i8_e32 v217, v146, v54
	v_dot4c_i32_i8_e32 v218, v150, v54
	;; [unrolled: 1-line block ×4, first 2 shown]
	s_waitcnt lgkmcnt(2)
	v_dot4c_i32_i8_e32 v6, v237, v42
	v_dot4c_i32_i8_e32 v205, v138, v39
	;; [unrolled: 1-line block ×13, first 2 shown]
	s_waitcnt lgkmcnt(1)
	v_pk_mul_f16 v50, v2, v0
	v_pk_mul_f16 v52, v8, v0
	;; [unrolled: 1-line block ×8, first 2 shown]
	ds_read2_b32 v[0:1], v187 offset0:192 offset1:224
	v_cvt_f32_f16_e32 v39, v14
	v_cvt_f32_f16_sdwa v41, v14 dst_sel:DWORD dst_unused:UNUSED_PAD src0_sel:WORD_1
	s_waitcnt lgkmcnt(1)
	v_dot4c_i32_i8_e32 v6, v223, v28
	v_mov_b32_e32 v14, 0
	v_mov_b32_e32 v26, 0
	;; [unrolled: 1-line block ×3, first 2 shown]
	v_dot4c_i32_i8_e32 v14, v224, v42
	v_dot4c_i32_i8_e32 v26, v227, v42
	v_dot4c_i32_i8_e32 v223, v231, v42
	v_dot4c_i32_i8_e32 v6, v149, v43
	v_dot4c_i32_i8_e32 v14, v233, v28
	v_dot4c_i32_i8_e32 v26, v235, v28
	v_dot4c_i32_i8_e32 v223, v236, v28
	v_dot4c_i32_i8_e32 v6, v151, v29
	v_dot4c_i32_i8_e32 v14, v152, v43
	v_dot4c_i32_i8_e32 v26, v221, v43
	v_dot4c_i32_i8_e32 v223, v226, v43
	v_dot4c_i32_i8_e32 v6, v146, v44
	v_dot4c_i32_i8_e32 v14, v230, v29
	v_dot4c_i32_i8_e32 v26, v232, v29
	v_dot4c_i32_i8_e32 v223, v234, v29
	s_waitcnt lgkmcnt(0)
	v_pk_mul_f16 v243, v2, v0
	v_pk_mul_f16 v244, v2, v1
	v_lshrrev_b32_e32 v2, 4, v139
	v_dot4c_i32_i8_e32 v6, v147, v30
	v_dot4c_i32_i8_e32 v14, v150, v44
	v_dot4c_i32_i8_e32 v26, v153, v44
	v_dot4c_i32_i8_e32 v223, v222, v44
	v_dot4c_i32_i8_e32 v217, v138, v55
	v_dot4c_i32_i8_e32 v218, v140, v55
	v_dot4c_i32_i8_e32 v219, v142, v55
	v_dot4c_i32_i8_e32 v220, v144, v55
	v_lshrrev_b32_e32 v54, 4, v141
	v_lshrrev_b32_e32 v55, 4, v143
	;; [unrolled: 1-line block ×3, first 2 shown]
	v_dot4c_i32_i8_e32 v6, v138, v45
	v_dot4c_i32_i8_e32 v14, v225, v30
	;; [unrolled: 1-line block ×4, first 2 shown]
	v_and_b32_e32 v224, 0xf0f0f0f, v2
	v_dot4c_i32_i8_e32 v14, v140, v45
	v_dot4c_i32_i8_e32 v26, v142, v45
	;; [unrolled: 1-line block ×3, first 2 shown]
	v_and_b32_e32 v30, 0xf0f0f0f, v54
	v_and_b32_e32 v221, 0xf0f0f0f, v55
	v_and_b32_e32 v222, 0xf0f0f0f, v139
	v_dot4c_i32_i8_e32 v193, v224, v3
	v_dot4c_i32_i8_e32 v197, v224, v11
	;; [unrolled: 1-line block ×6, first 2 shown]
	v_pk_mul_f16 v245, v8, v0
	v_pk_mul_f16 v246, v8, v1
	;; [unrolled: 1-line block ×6, first 2 shown]
	v_cvt_f32_f16_e32 v5, v16
	v_cvt_f32_f16_e32 v4, v10
	v_cvt_f32_f16_sdwa v17, v16 dst_sel:DWORD dst_unused:UNUSED_PAD src0_sel:WORD_1
	v_cvt_f32_f16_sdwa v16, v10 dst_sel:DWORD dst_unused:UNUSED_PAD src0_sel:WORD_1
	v_dot4c_i32_i8_e32 v194, v30, v3
	v_dot4c_i32_i8_e32 v195, v221, v3
	;; [unrolled: 1-line block ×6, first 2 shown]
	v_cvt_f32_f16_e32 v149, v244
	v_cvt_f32_f16_e32 v148, v243
	v_cvt_f32_f16_sdwa v151, v244 dst_sel:DWORD dst_unused:UNUSED_PAD src0_sel:WORD_1
	v_cvt_f32_f16_sdwa v150, v243 dst_sel:DWORD dst_unused:UNUSED_PAD src0_sel:WORD_1
	v_dot4c_i32_i8_e32 v202, v30, v23
	v_dot4c_i32_i8_e32 v203, v221, v23
	;; [unrolled: 1-line block ×20, first 2 shown]
	v_cvt_f32_i32_e32 v31, v197
	v_cvt_f32_i32_e32 v30, v193
	;; [unrolled: 1-line block ×6, first 2 shown]
	v_cvt_f32_f16_e32 v1, v18
	v_cvt_f32_f16_e32 v0, v20
	v_cvt_f32_f16_sdwa v9, v18 dst_sel:DWORD dst_unused:UNUSED_PAD src0_sel:WORD_1
	v_cvt_f32_f16_sdwa v8, v20 dst_sel:DWORD dst_unused:UNUSED_PAD src0_sel:WORD_1
	v_cvt_f32_f16_e32 v13, v21
	v_cvt_f32_f16_e32 v12, v22
	v_cvt_f32_f16_sdwa v21, v21 dst_sel:DWORD dst_unused:UNUSED_PAD src0_sel:WORD_1
	v_cvt_f32_f16_sdwa v20, v22 dst_sel:DWORD dst_unused:UNUSED_PAD src0_sel:WORD_1
	v_cvt_f32_f16_e32 v29, v47
	v_cvt_f32_f16_e32 v28, v46
	v_cvt_f32_f16_sdwa v43, v47 dst_sel:DWORD dst_unused:UNUSED_PAD src0_sel:WORD_1
	v_cvt_f32_f16_sdwa v42, v46 dst_sel:DWORD dst_unused:UNUSED_PAD src0_sel:WORD_1
	v_cvt_f32_f16_e32 v45, v48
	v_cvt_f32_f16_e32 v44, v238
	v_cvt_f32_f16_sdwa v47, v48 dst_sel:DWORD dst_unused:UNUSED_PAD src0_sel:WORD_1
	v_cvt_f32_f16_sdwa v46, v238 dst_sel:DWORD dst_unused:UNUSED_PAD src0_sel:WORD_1
	v_cvt_f32_f16_e32 v49, v51
	v_cvt_f32_f16_e32 v48, v50
	v_cvt_f32_f16_sdwa v51, v51 dst_sel:DWORD dst_unused:UNUSED_PAD src0_sel:WORD_1
	v_cvt_f32_f16_sdwa v50, v50 dst_sel:DWORD dst_unused:UNUSED_PAD src0_sel:WORD_1
	v_cvt_f32_f16_e32 v3, v53
	v_cvt_f32_f16_e32 v2, v52
	v_cvt_f32_f16_sdwa v53, v53 dst_sel:DWORD dst_unused:UNUSED_PAD src0_sel:WORD_1
	v_cvt_f32_f16_sdwa v52, v52 dst_sel:DWORD dst_unused:UNUSED_PAD src0_sel:WORD_1
	v_cvt_f32_f16_e32 v55, v241
	v_cvt_f32_f16_e32 v54, v239
	v_cvt_f32_f16_sdwa v139, v241 dst_sel:DWORD dst_unused:UNUSED_PAD src0_sel:WORD_1
	v_cvt_f32_f16_sdwa v138, v239 dst_sel:DWORD dst_unused:UNUSED_PAD src0_sel:WORD_1
	v_cvt_f32_f16_e32 v11, v242
	v_cvt_f32_f16_e32 v10, v240
	v_cvt_f32_f16_sdwa v141, v242 dst_sel:DWORD dst_unused:UNUSED_PAD src0_sel:WORD_1
	v_cvt_f32_f16_sdwa v140, v240 dst_sel:DWORD dst_unused:UNUSED_PAD src0_sel:WORD_1
	v_cvt_f32_f16_e32 v23, v246
	v_cvt_f32_f16_e32 v22, v245
	v_cvt_f32_f16_sdwa v143, v246 dst_sel:DWORD dst_unused:UNUSED_PAD src0_sel:WORD_1
	v_cvt_f32_f16_sdwa v142, v245 dst_sel:DWORD dst_unused:UNUSED_PAD src0_sel:WORD_1
	v_cvt_f32_f16_e32 v145, v248
	v_cvt_f32_f16_e32 v144, v247
	v_cvt_f32_f16_sdwa v147, v248 dst_sel:DWORD dst_unused:UNUSED_PAD src0_sel:WORD_1
	v_cvt_f32_f16_sdwa v146, v247 dst_sel:DWORD dst_unused:UNUSED_PAD src0_sel:WORD_1
	v_cvt_f32_f16_e32 v19, v250
	v_cvt_f32_f16_e32 v18, v249
	v_cvt_f32_f16_sdwa v153, v250 dst_sel:DWORD dst_unused:UNUSED_PAD src0_sel:WORD_1
	v_cvt_f32_f16_sdwa v152, v249 dst_sel:DWORD dst_unused:UNUSED_PAD src0_sel:WORD_1
	v_cvt_f32_i32_e32 v227, v213
	v_cvt_f32_i32_e32 v226, v209
	;; [unrolled: 1-line block ×26, first 2 shown]
	v_pk_fma_f32 v[4:5], v[4:5], v[30:31], v[16:17]
	v_pk_fma_f32 v[16:17], v[224:225], v[38:39], v[40:41]
	;; [unrolled: 1-line block ×3, first 2 shown]
	s_add_i32 s0, s0, 4
	v_pk_fma_f32 v[30:31], v[226:227], v[48:49], v[50:51]
	v_pk_add_f32 v[110:111], v[110:111], v[4:5]
	v_pk_fma_f32 v[0:1], v[0:1], v[228:229], v[8:9]
	v_pk_fma_f32 v[4:5], v[12:13], v[198:199], v[20:21]
	;; [unrolled: 1-line block ×3, first 2 shown]
	v_pk_add_f32 v[78:79], v[78:79], v[16:17]
	v_pk_fma_f32 v[12:13], v[196:197], v[34:35], v[36:37]
	v_pk_fma_f32 v[16:17], v[200:201], v[28:29], v[42:43]
	;; [unrolled: 1-line block ×6, first 2 shown]
	v_pk_add_f32 v[62:63], v[62:63], v[6:7]
	v_pk_fma_f32 v[6:7], v[14:15], v[22:23], v[142:143]
	v_pk_fma_f32 v[14:15], v[26:27], v[144:145], v[146:147]
	;; [unrolled: 1-line block ×3, first 2 shown]
	v_add_u32_e32 v192, 16, v192
	v_add_u32_e32 v191, 4, v191
	;; [unrolled: 1-line block ×7, first 2 shown]
	s_cmp_lt_u32 s0, 12
	v_pk_add_f32 v[70:71], v[70:71], v[30:31]
	v_pk_add_f32 v[102:103], v[102:103], v[0:1]
	;; [unrolled: 1-line block ×13, first 2 shown]
	s_cbranch_scc1 .LBB159_9
; %bb.10:                               ;   in Loop: Header=BB159_7 Depth=1
	s_and_b32 s0, s9, -4
	s_cmp_eq_u32 s0, 4
	s_barrier
	s_cbranch_scc1 .LBB159_6
; %bb.11:                               ;   in Loop: Header=BB159_7 Depth=1
	v_add_u32_e32 v14, s14, v161
	v_add_u32_e32 v0, v14, v135
	;; [unrolled: 1-line block ×6, first 2 shown]
	v_mad_i64_i32 v[0:1], s[0:1], v0, 36, v[122:123]
	v_mad_i64_i32 v[2:3], s[0:1], v2, 36, v[122:123]
	;; [unrolled: 1-line block ×4, first 2 shown]
	v_add_u32_e32 v8, v14, v156
	v_add_u32_e32 v10, v14, v157
	;; [unrolled: 1-line block ×4, first 2 shown]
	v_mad_u64_u32 v[16:17], s[0:1], v16, 36, s[2:3]
	v_mad_i64_i32 v[8:9], s[0:1], v8, 36, v[122:123]
	v_mad_i64_i32 v[10:11], s[0:1], v10, 36, v[122:123]
	;; [unrolled: 1-line block ×4, first 2 shown]
	global_load_dword v16, v[16:17], off
	s_nop 0
	global_load_dword v0, v[0:1], off offset:4
	s_nop 0
	global_load_dword v1, v[2:3], off offset:4
	;; [unrolled: 2-line block ×3, first 2 shown]
	global_load_dword v3, v[6:7], off offset:4
	s_nop 0
	global_load_dword v4, v[8:9], off offset:4
	global_load_dword v5, v[10:11], off offset:4
                                        ; kill: killed $vgpr8_vgpr9
                                        ; kill: killed $vgpr10_vgpr11
	global_load_dword v6, v[12:13], off offset:4
	global_load_dword v7, v[14:15], off offset:4
	s_mov_b32 s0, 12
	v_mov_b32_e32 v10, v167
	v_mov_b32_e32 v11, v169
	;; [unrolled: 1-line block ×6, first 2 shown]
	s_waitcnt vmcnt(8)
	ds_write_b32 v121, v16
	s_waitcnt vmcnt(7)
	ds_write_b32 v177, v0
	;; [unrolled: 2-line block ×9, first 2 shown]
	v_mov_b32_e32 v16, v171
	s_waitcnt lgkmcnt(0)
	s_barrier
.LBB159_12:                             ;   Parent Loop BB159_7 Depth=1
                                        ; =>  This Inner Loop Header: Depth=2
	ds_read_b128 v[0:3], v11
	ds_read_b128 v[4:7], v11 offset:16
	ds_read2_b32 v[8:9], v10 offset1:32
	ds_read_b32 v17, v12
	ds_read2_b32 v[22:23], v16 offset1:1
	ds_read2_b32 v[24:25], v16 offset0:2 offset1:3
	v_add_u32_e32 v36, 0x2108, v16
	v_add_u32_e32 v41, 0x3180, v16
	v_mov_b32_e32 v53, 0
	s_waitcnt lgkmcnt(1)
	v_lshrrev_b32_e32 v20, 4, v23
	v_and_b32_e32 v18, 0xf0f0f0f, v22
	v_lshrrev_b32_e32 v19, 4, v22
	v_and_b32_e32 v22, 0xf0f0f0f, v20
	s_waitcnt lgkmcnt(0)
	v_lshrrev_b32_e32 v20, 4, v24
	v_and_b32_e32 v31, 0xf0f0f0f, v20
	v_lshrrev_b32_e32 v20, 4, v25
	v_and_b32_e32 v21, 0xf0f0f0f, v23
	v_and_b32_e32 v30, 0xf0f0f0f, v24
	;; [unrolled: 1-line block ×4, first 2 shown]
	v_add_u32_e32 v23, 0x1080, v16
	ds_read_b32 v20, v13
	ds_read2_b32 v[24:25], v23 offset1:1
	v_mov_b32_e32 v142, 0
	v_mov_b32_e32 v144, 0
	;; [unrolled: 1-line block ×3, first 2 shown]
	v_and_b32_e32 v19, 0xf0f0f0f, v19
	s_waitcnt lgkmcnt(0)
	v_and_b32_e32 v26, 0xf0f0f0f, v25
	v_lshrrev_b32_e32 v25, 4, v25
	v_and_b32_e32 v27, 0xf0f0f0f, v25
	v_add_u32_e32 v25, 0x1088, v16
	ds_read2_b32 v[28:29], v25 offset1:1
	v_and_b32_e32 v23, 0xf0f0f0f, v24
	v_lshrrev_b32_e32 v24, 4, v24
	v_dot4c_i32_i8_e32 v53, v18, v0
	v_and_b32_e32 v24, 0xf0f0f0f, v24
	s_waitcnt lgkmcnt(0)
	v_lshrrev_b32_e32 v25, 4, v28
	v_and_b32_e32 v38, 0xf0f0f0f, v25
	v_lshrrev_b32_e32 v25, 4, v29
	v_and_b32_e32 v37, 0xf0f0f0f, v28
	v_and_b32_e32 v40, 0xf0f0f0f, v25
	v_add_u32_e32 v28, 0x2100, v16
	ds_read_b32 v25, v14
	ds_read2_b32 v[34:35], v28 offset1:1
	ds_read2_b32 v[48:49], v36 offset1:1
	v_and_b32_e32 v39, 0xf0f0f0f, v29
	v_dot4c_i32_i8_e32 v142, v23, v0
	v_dot4c_i32_i8_e32 v53, v19, v4
	s_waitcnt lgkmcnt(1)
	v_and_b32_e32 v28, 0xf0f0f0f, v34
	s_waitcnt lgkmcnt(0)
	v_lshrrev_b32_e32 v36, 4, v48
	v_and_b32_e32 v45, 0xf0f0f0f, v36
	v_lshrrev_b32_e32 v36, 4, v49
	v_and_b32_e32 v43, 0xf0f0f0f, v48
	v_and_b32_e32 v48, 0xf0f0f0f, v36
	ds_read_b32 v36, v15
	ds_read2_b32 v[50:51], v41 offset1:1
	v_lshrrev_b32_e32 v29, 4, v34
	v_and_b32_e32 v29, 0xf0f0f0f, v29
	v_dot4c_i32_i8_e32 v144, v28, v0
	v_dot4c_i32_i8_e32 v142, v24, v4
	s_waitcnt lgkmcnt(0)
	v_and_b32_e32 v41, 0xf0f0f0f, v50
	v_lshrrev_b32_e32 v42, 4, v50
	v_and_b32_e32 v42, 0xf0f0f0f, v42
	v_dot4c_i32_i8_e32 v146, v41, v0
	v_lshrrev_b32_e32 v0, 4, v51
	v_dot4c_i32_i8_e32 v144, v29, v4
	v_and_b32_e32 v34, 0xf0f0f0f, v35
	v_dot4c_i32_i8_e32 v146, v42, v4
	v_and_b32_e32 v44, 0xf0f0f0f, v51
	v_and_b32_e32 v46, 0xf0f0f0f, v0
	v_add_u32_e32 v0, 0x3188, v16
	v_dot4c_i32_i8_e32 v53, v21, v1
	v_dot4c_i32_i8_e32 v142, v26, v1
	;; [unrolled: 1-line block ×4, first 2 shown]
	ds_read2_b32 v[0:1], v0 offset1:1
	v_lshrrev_b32_e32 v35, 4, v35
	v_and_b32_e32 v35, 0xf0f0f0f, v35
	v_dot4c_i32_i8_e32 v53, v22, v5
	v_dot4c_i32_i8_e32 v142, v27, v5
	;; [unrolled: 1-line block ×3, first 2 shown]
	v_and_b32_e32 v47, 0xf0f0f0f, v49
	v_dot4c_i32_i8_e32 v146, v46, v5
	s_waitcnt lgkmcnt(0)
	v_and_b32_e32 v49, 0xf0f0f0f, v0
	v_lshrrev_b32_e32 v0, 4, v0
	v_dot4c_i32_i8_e32 v53, v30, v2
	v_dot4c_i32_i8_e32 v142, v37, v2
	;; [unrolled: 1-line block ×3, first 2 shown]
	v_and_b32_e32 v50, 0xf0f0f0f, v0
	v_dot4c_i32_i8_e32 v146, v49, v2
	v_dot4c_i32_i8_e32 v53, v31, v6
	;; [unrolled: 1-line block ×5, first 2 shown]
	v_and_b32_e32 v51, 0xf0f0f0f, v1
	v_lshrrev_b32_e32 v0, 4, v1
	v_dot4c_i32_i8_e32 v53, v32, v3
	v_dot4c_i32_i8_e32 v142, v39, v3
	;; [unrolled: 1-line block ×3, first 2 shown]
	v_and_b32_e32 v52, 0xf0f0f0f, v0
	v_dot4c_i32_i8_e32 v146, v51, v3
	v_dot4c_i32_i8_e32 v53, v33, v7
	;; [unrolled: 1-line block ×5, first 2 shown]
	ds_read_b128 v[0:3], v11 offset:1024
	ds_read_b128 v[4:7], v11 offset:1040
	v_mov_b32_e32 v140, 0
	v_pk_mul_f16 v138, v8, v17
	v_pk_mul_f16 v139, v17, v9
	s_waitcnt lgkmcnt(1)
	v_dot4c_i32_i8_e32 v140, v18, v0
	s_waitcnt lgkmcnt(0)
	v_dot4c_i32_i8_e32 v140, v19, v4
	v_dot4c_i32_i8_e32 v140, v21, v1
	;; [unrolled: 1-line block ×7, first 2 shown]
	v_cvt_f32_f16_e32 v55, v139
	v_cvt_f32_f16_e32 v54, v138
	v_cvt_f32_f16_sdwa v139, v139 dst_sel:DWORD dst_unused:UNUSED_PAD src0_sel:WORD_1
	v_cvt_f32_i32_e32 v141, v140
	v_cvt_f32_i32_e32 v140, v53
	v_mov_b32_e32 v53, 0
	v_dot4c_i32_i8_e32 v53, v23, v0
	v_dot4c_i32_i8_e32 v53, v24, v4
	;; [unrolled: 1-line block ×4, first 2 shown]
	v_cvt_f32_f16_sdwa v138, v138 dst_sel:DWORD dst_unused:UNUSED_PAD src0_sel:WORD_1
	v_dot4c_i32_i8_e32 v53, v37, v2
	v_dot4c_i32_i8_e32 v53, v38, v6
	;; [unrolled: 1-line block ×4, first 2 shown]
	v_pk_fma_f32 v[54:55], v[54:55], v[140:141], v[138:139]
	v_pk_mul_f16 v143, v8, v20
	v_pk_mul_f16 v138, v20, v9
	v_cvt_f32_i32_e32 v141, v53
	v_mov_b32_e32 v53, 0
	v_dot4c_i32_i8_e32 v53, v28, v0
	v_dot4c_i32_i8_e32 v53, v29, v4
	;; [unrolled: 1-line block ×4, first 2 shown]
	v_pk_add_f32 v[110:111], v[110:111], v[54:55]
	v_cvt_f32_f16_e32 v55, v138
	v_cvt_f32_f16_e32 v54, v143
	v_cvt_f32_f16_sdwa v139, v138 dst_sel:DWORD dst_unused:UNUSED_PAD src0_sel:WORD_1
	v_cvt_f32_f16_sdwa v138, v143 dst_sel:DWORD dst_unused:UNUSED_PAD src0_sel:WORD_1
	v_cvt_f32_i32_e32 v140, v142
	v_dot4c_i32_i8_e32 v53, v43, v2
	v_dot4c_i32_i8_e32 v53, v45, v6
	;; [unrolled: 1-line block ×4, first 2 shown]
	v_pk_fma_f32 v[54:55], v[54:55], v[140:141], v[138:139]
	v_pk_mul_f16 v145, v8, v25
	v_pk_mul_f16 v8, v8, v36
	v_cvt_f32_i32_e32 v141, v53
	v_mov_b32_e32 v53, 0
	v_dot4c_i32_i8_e32 v53, v41, v0
	v_dot4c_i32_i8_e32 v53, v42, v4
	;; [unrolled: 1-line block ×8, first 2 shown]
	v_pk_mul_f16 v2, v36, v9
	v_cvt_f32_f16_e32 v0, v8
	v_cvt_f32_f16_e32 v1, v2
	v_cvt_f32_f16_sdwa v3, v2 dst_sel:DWORD dst_unused:UNUSED_PAD src0_sel:WORD_1
	v_cvt_f32_f16_sdwa v2, v8 dst_sel:DWORD dst_unused:UNUSED_PAD src0_sel:WORD_1
	v_cvt_f32_i32_e32 v5, v53
	v_cvt_f32_i32_e32 v4, v146
	v_pk_mul_f16 v138, v25, v9
	v_cvt_f32_i32_e32 v140, v144
	v_mov_b32_e32 v53, 0
	v_pk_fma_f32 v[0:1], v[0:1], v[4:5], v[2:3]
	v_mov_b32_e32 v142, 0
	v_pk_add_f32 v[80:81], v[80:81], v[0:1]
	ds_read_b128 v[0:3], v11 offset:2048
	ds_read_b128 v[4:7], v11 offset:2064
	ds_read2_b32 v[8:9], v10 offset0:64 offset1:96
	v_mov_b32_e32 v144, 0
	v_mov_b32_e32 v146, 0
	s_waitcnt lgkmcnt(2)
	v_dot4c_i32_i8_e32 v53, v18, v0
	v_dot4c_i32_i8_e32 v142, v23, v0
	;; [unrolled: 1-line block ×4, first 2 shown]
	s_waitcnt lgkmcnt(1)
	v_dot4c_i32_i8_e32 v53, v19, v4
	v_dot4c_i32_i8_e32 v142, v24, v4
	;; [unrolled: 1-line block ×20, first 2 shown]
	v_pk_add_f32 v[102:103], v[102:103], v[54:55]
	v_cvt_f32_f16_e32 v55, v138
	v_cvt_f32_f16_e32 v54, v145
	v_cvt_f32_f16_sdwa v139, v138 dst_sel:DWORD dst_unused:UNUSED_PAD src0_sel:WORD_1
	v_cvt_f32_f16_sdwa v138, v145 dst_sel:DWORD dst_unused:UNUSED_PAD src0_sel:WORD_1
	v_dot4c_i32_i8_e32 v53, v32, v3
	v_dot4c_i32_i8_e32 v142, v39, v3
	;; [unrolled: 1-line block ×8, first 2 shown]
	ds_read_b128 v[0:3], v11 offset:3072
	ds_read_b128 v[4:7], v11 offset:3088
	v_pk_fma_f32 v[54:55], v[54:55], v[140:141], v[138:139]
	v_mov_b32_e32 v140, 0
	s_waitcnt lgkmcnt(2)
	v_pk_mul_f16 v138, v17, v8
	s_waitcnt lgkmcnt(1)
	v_dot4c_i32_i8_e32 v140, v18, v0
	s_waitcnt lgkmcnt(0)
	v_dot4c_i32_i8_e32 v140, v19, v4
	v_dot4c_i32_i8_e32 v140, v21, v1
	;; [unrolled: 1-line block ×7, first 2 shown]
	v_pk_mul_f16 v139, v17, v9
	v_pk_add_f32 v[86:87], v[86:87], v[54:55]
	v_cvt_f32_f16_e32 v55, v139
	v_cvt_f32_i32_e32 v141, v140
	v_cvt_f32_i32_e32 v140, v53
	v_mov_b32_e32 v53, 0
	v_dot4c_i32_i8_e32 v53, v23, v0
	v_dot4c_i32_i8_e32 v53, v24, v4
	v_dot4c_i32_i8_e32 v53, v26, v1
	v_dot4c_i32_i8_e32 v53, v27, v5
	v_cvt_f32_f16_e32 v54, v138
	v_cvt_f32_f16_sdwa v139, v139 dst_sel:DWORD dst_unused:UNUSED_PAD src0_sel:WORD_1
	v_cvt_f32_f16_sdwa v138, v138 dst_sel:DWORD dst_unused:UNUSED_PAD src0_sel:WORD_1
	v_dot4c_i32_i8_e32 v53, v37, v2
	v_dot4c_i32_i8_e32 v53, v38, v6
	;; [unrolled: 1-line block ×4, first 2 shown]
	v_pk_fma_f32 v[54:55], v[140:141], v[54:55], v[138:139]
	v_pk_mul_f16 v143, v20, v8
	v_pk_mul_f16 v138, v20, v9
	v_cvt_f32_i32_e32 v141, v53
	v_mov_b32_e32 v53, 0
	v_dot4c_i32_i8_e32 v53, v28, v0
	v_dot4c_i32_i8_e32 v53, v29, v4
	;; [unrolled: 1-line block ×4, first 2 shown]
	v_pk_add_f32 v[78:79], v[78:79], v[54:55]
	v_cvt_f32_f16_e32 v55, v138
	v_cvt_f32_f16_e32 v54, v143
	v_cvt_f32_f16_sdwa v139, v138 dst_sel:DWORD dst_unused:UNUSED_PAD src0_sel:WORD_1
	v_cvt_f32_f16_sdwa v138, v143 dst_sel:DWORD dst_unused:UNUSED_PAD src0_sel:WORD_1
	v_cvt_f32_i32_e32 v140, v142
	v_dot4c_i32_i8_e32 v53, v43, v2
	v_dot4c_i32_i8_e32 v53, v45, v6
	;; [unrolled: 1-line block ×4, first 2 shown]
	v_pk_fma_f32 v[54:55], v[140:141], v[54:55], v[138:139]
	v_pk_mul_f16 v145, v25, v8
	v_pk_mul_f16 v8, v36, v8
	v_cvt_f32_i32_e32 v141, v53
	v_mov_b32_e32 v53, 0
	v_dot4c_i32_i8_e32 v53, v41, v0
	v_dot4c_i32_i8_e32 v53, v42, v4
	;; [unrolled: 1-line block ×8, first 2 shown]
	v_pk_mul_f16 v2, v36, v9
	v_cvt_f32_f16_e32 v0, v8
	v_cvt_f32_f16_e32 v1, v2
	v_cvt_f32_f16_sdwa v3, v2 dst_sel:DWORD dst_unused:UNUSED_PAD src0_sel:WORD_1
	v_cvt_f32_f16_sdwa v2, v8 dst_sel:DWORD dst_unused:UNUSED_PAD src0_sel:WORD_1
	v_cvt_f32_i32_e32 v5, v53
	v_cvt_f32_i32_e32 v4, v146
	v_pk_mul_f16 v138, v25, v9
	v_cvt_f32_i32_e32 v140, v144
	v_mov_b32_e32 v53, 0
	v_pk_fma_f32 v[0:1], v[4:5], v[0:1], v[2:3]
	v_mov_b32_e32 v142, 0
	v_pk_add_f32 v[72:73], v[72:73], v[0:1]
	ds_read_b128 v[0:3], v11 offset:4096
	ds_read_b128 v[4:7], v11 offset:4112
	ds_read2_b32 v[8:9], v10 offset0:128 offset1:160
	v_mov_b32_e32 v144, 0
	v_mov_b32_e32 v146, 0
	s_waitcnt lgkmcnt(2)
	v_dot4c_i32_i8_e32 v53, v18, v0
	v_dot4c_i32_i8_e32 v142, v23, v0
	;; [unrolled: 1-line block ×4, first 2 shown]
	s_waitcnt lgkmcnt(1)
	v_dot4c_i32_i8_e32 v53, v19, v4
	v_dot4c_i32_i8_e32 v142, v24, v4
	;; [unrolled: 1-line block ×20, first 2 shown]
	v_pk_add_f32 v[76:77], v[76:77], v[54:55]
	v_cvt_f32_f16_e32 v55, v138
	v_cvt_f32_f16_e32 v54, v145
	v_cvt_f32_f16_sdwa v139, v138 dst_sel:DWORD dst_unused:UNUSED_PAD src0_sel:WORD_1
	v_cvt_f32_f16_sdwa v138, v145 dst_sel:DWORD dst_unused:UNUSED_PAD src0_sel:WORD_1
	v_dot4c_i32_i8_e32 v53, v32, v3
	v_dot4c_i32_i8_e32 v142, v39, v3
	v_dot4c_i32_i8_e32 v144, v47, v3
	v_dot4c_i32_i8_e32 v146, v51, v3
	v_dot4c_i32_i8_e32 v53, v33, v7
	v_dot4c_i32_i8_e32 v142, v40, v7
	v_dot4c_i32_i8_e32 v144, v48, v7
	v_dot4c_i32_i8_e32 v146, v52, v7
	ds_read_b128 v[0:3], v11 offset:5120
	ds_read_b128 v[4:7], v11 offset:5136
	v_pk_fma_f32 v[54:55], v[140:141], v[54:55], v[138:139]
	v_mov_b32_e32 v140, 0
	s_waitcnt lgkmcnt(2)
	v_pk_mul_f16 v138, v17, v8
	s_waitcnt lgkmcnt(1)
	v_dot4c_i32_i8_e32 v140, v18, v0
	s_waitcnt lgkmcnt(0)
	v_dot4c_i32_i8_e32 v140, v19, v4
	v_dot4c_i32_i8_e32 v140, v21, v1
	;; [unrolled: 1-line block ×7, first 2 shown]
	v_pk_mul_f16 v139, v17, v9
	v_pk_add_f32 v[74:75], v[74:75], v[54:55]
	v_cvt_f32_f16_e32 v55, v139
	v_cvt_f32_i32_e32 v141, v140
	v_cvt_f32_i32_e32 v140, v53
	v_mov_b32_e32 v53, 0
	v_dot4c_i32_i8_e32 v53, v23, v0
	v_dot4c_i32_i8_e32 v53, v24, v4
	;; [unrolled: 1-line block ×4, first 2 shown]
	v_cvt_f32_f16_e32 v54, v138
	v_cvt_f32_f16_sdwa v139, v139 dst_sel:DWORD dst_unused:UNUSED_PAD src0_sel:WORD_1
	v_cvt_f32_f16_sdwa v138, v138 dst_sel:DWORD dst_unused:UNUSED_PAD src0_sel:WORD_1
	v_dot4c_i32_i8_e32 v53, v37, v2
	v_dot4c_i32_i8_e32 v53, v38, v6
	;; [unrolled: 1-line block ×4, first 2 shown]
	v_pk_fma_f32 v[54:55], v[140:141], v[54:55], v[138:139]
	v_pk_mul_f16 v143, v20, v8
	v_pk_mul_f16 v138, v20, v9
	v_cvt_f32_i32_e32 v141, v53
	v_mov_b32_e32 v53, 0
	v_dot4c_i32_i8_e32 v53, v28, v0
	v_dot4c_i32_i8_e32 v53, v29, v4
	;; [unrolled: 1-line block ×4, first 2 shown]
	v_pk_add_f32 v[70:71], v[70:71], v[54:55]
	v_cvt_f32_f16_e32 v55, v138
	v_cvt_f32_f16_e32 v54, v143
	v_cvt_f32_f16_sdwa v139, v138 dst_sel:DWORD dst_unused:UNUSED_PAD src0_sel:WORD_1
	v_cvt_f32_f16_sdwa v138, v143 dst_sel:DWORD dst_unused:UNUSED_PAD src0_sel:WORD_1
	v_cvt_f32_i32_e32 v140, v142
	v_dot4c_i32_i8_e32 v53, v43, v2
	v_dot4c_i32_i8_e32 v53, v45, v6
	;; [unrolled: 1-line block ×4, first 2 shown]
	v_pk_fma_f32 v[54:55], v[140:141], v[54:55], v[138:139]
	v_pk_mul_f16 v145, v25, v8
	v_pk_mul_f16 v8, v36, v8
	v_cvt_f32_i32_e32 v141, v53
	v_mov_b32_e32 v53, 0
	v_dot4c_i32_i8_e32 v53, v41, v0
	v_dot4c_i32_i8_e32 v53, v42, v4
	v_dot4c_i32_i8_e32 v53, v44, v1
	v_dot4c_i32_i8_e32 v53, v46, v5
	v_dot4c_i32_i8_e32 v53, v49, v2
	v_dot4c_i32_i8_e32 v53, v50, v6
	v_dot4c_i32_i8_e32 v53, v51, v3
	v_dot4c_i32_i8_e32 v53, v52, v7
	v_pk_mul_f16 v2, v36, v9
	v_cvt_f32_f16_e32 v0, v8
	v_cvt_f32_f16_e32 v1, v2
	v_cvt_f32_f16_sdwa v3, v2 dst_sel:DWORD dst_unused:UNUSED_PAD src0_sel:WORD_1
	v_cvt_f32_f16_sdwa v2, v8 dst_sel:DWORD dst_unused:UNUSED_PAD src0_sel:WORD_1
	v_cvt_f32_i32_e32 v5, v53
	v_cvt_f32_i32_e32 v4, v146
	v_pk_mul_f16 v138, v25, v9
	v_pk_add_f32 v[68:69], v[68:69], v[54:55]
	v_cvt_f32_f16_e32 v55, v138
	v_cvt_f32_f16_e32 v54, v145
	v_cvt_f32_f16_sdwa v139, v138 dst_sel:DWORD dst_unused:UNUSED_PAD src0_sel:WORD_1
	v_cvt_f32_f16_sdwa v138, v145 dst_sel:DWORD dst_unused:UNUSED_PAD src0_sel:WORD_1
	v_cvt_f32_i32_e32 v140, v144
	v_pk_fma_f32 v[0:1], v[4:5], v[0:1], v[2:3]
	v_mov_b32_e32 v53, 0
	v_pk_add_f32 v[64:65], v[64:65], v[0:1]
	ds_read_b128 v[0:3], v11 offset:6144
	ds_read_b128 v[4:7], v11 offset:6160
	ds_read2_b32 v[8:9], v10 offset0:192 offset1:224
	v_pk_fma_f32 v[54:55], v[140:141], v[54:55], v[138:139]
	v_mov_b32_e32 v139, 0
	v_pk_add_f32 v[66:67], v[66:67], v[54:55]
	v_mov_b32_e32 v55, 0
	v_mov_b32_e32 v141, 0
	s_waitcnt lgkmcnt(2)
	v_dot4c_i32_i8_e32 v53, v18, v0
	v_dot4c_i32_i8_e32 v55, v23, v0
	;; [unrolled: 1-line block ×4, first 2 shown]
	s_waitcnt lgkmcnt(1)
	v_dot4c_i32_i8_e32 v53, v19, v4
	v_dot4c_i32_i8_e32 v55, v24, v4
	;; [unrolled: 1-line block ×28, first 2 shown]
	ds_read_b128 v[0:3], v11 offset:7168
	ds_read_b128 v[4:7], v11 offset:7184
	v_mov_b32_e32 v142, 0
	s_waitcnt lgkmcnt(2)
	v_pk_mul_f16 v54, v17, v8
	v_pk_mul_f16 v17, v17, v9
	s_waitcnt lgkmcnt(1)
	v_dot4c_i32_i8_e32 v142, v18, v0
	s_waitcnt lgkmcnt(0)
	v_dot4c_i32_i8_e32 v142, v19, v4
	v_dot4c_i32_i8_e32 v142, v21, v1
	v_dot4c_i32_i8_e32 v142, v22, v5
	v_dot4c_i32_i8_e32 v142, v30, v2
	v_dot4c_i32_i8_e32 v142, v31, v6
	v_cvt_f32_f16_e32 v19, v17
	v_cvt_f32_f16_sdwa v31, v17 dst_sel:DWORD dst_unused:UNUSED_PAD src0_sel:WORD_1
	v_mov_b32_e32 v17, 0
	v_dot4c_i32_i8_e32 v17, v23, v0
	v_dot4c_i32_i8_e32 v17, v24, v4
	;; [unrolled: 1-line block ×10, first 2 shown]
	v_cvt_f32_f16_e32 v18, v54
	v_cvt_f32_f16_sdwa v30, v54 dst_sel:DWORD dst_unused:UNUSED_PAD src0_sel:WORD_1
	v_cvt_f32_i32_e32 v33, v142
	v_cvt_f32_i32_e32 v32, v53
	;; [unrolled: 1-line block ×3, first 2 shown]
	v_mov_b32_e32 v17, 0
	v_dot4c_i32_i8_e32 v17, v28, v0
	v_dot4c_i32_i8_e32 v17, v29, v4
	;; [unrolled: 1-line block ×3, first 2 shown]
	v_pk_mul_f16 v138, v20, v8
	v_pk_fma_f32 v[18:19], v[32:33], v[18:19], v[30:31]
	v_pk_mul_f16 v20, v20, v9
	v_dot4c_i32_i8_e32 v17, v35, v5
	v_pk_add_f32 v[62:63], v[62:63], v[18:19]
	v_cvt_f32_f16_e32 v19, v20
	v_cvt_f32_f16_e32 v18, v138
	v_cvt_f32_f16_sdwa v21, v20 dst_sel:DWORD dst_unused:UNUSED_PAD src0_sel:WORD_1
	v_cvt_f32_f16_sdwa v20, v138 dst_sel:DWORD dst_unused:UNUSED_PAD src0_sel:WORD_1
	v_cvt_f32_i32_e32 v22, v55
	v_dot4c_i32_i8_e32 v17, v43, v2
	v_dot4c_i32_i8_e32 v17, v45, v6
	;; [unrolled: 1-line block ×4, first 2 shown]
	v_pk_fma_f32 v[18:19], v[22:23], v[18:19], v[20:21]
	v_pk_mul_f16 v140, v25, v8
	v_pk_mul_f16 v8, v36, v8
	v_cvt_f32_i32_e32 v23, v17
	v_mov_b32_e32 v17, 0
	v_dot4c_i32_i8_e32 v17, v41, v0
	v_dot4c_i32_i8_e32 v17, v42, v4
	;; [unrolled: 1-line block ×7, first 2 shown]
	v_pk_mul_f16 v20, v25, v9
	v_dot4c_i32_i8_e32 v17, v52, v7
	v_pk_mul_f16 v2, v36, v9
	v_pk_add_f32 v[60:61], v[60:61], v[18:19]
	v_cvt_f32_f16_e32 v19, v20
	v_cvt_f32_f16_e32 v18, v140
	v_cvt_f32_f16_sdwa v21, v20 dst_sel:DWORD dst_unused:UNUSED_PAD src0_sel:WORD_1
	v_cvt_f32_f16_sdwa v20, v140 dst_sel:DWORD dst_unused:UNUSED_PAD src0_sel:WORD_1
	v_cvt_f32_i32_e32 v22, v139
	v_cvt_f32_f16_e32 v1, v2
	v_cvt_f32_f16_e32 v0, v8
	v_cvt_f32_f16_sdwa v3, v2 dst_sel:DWORD dst_unused:UNUSED_PAD src0_sel:WORD_1
	v_cvt_f32_f16_sdwa v2, v8 dst_sel:DWORD dst_unused:UNUSED_PAD src0_sel:WORD_1
	v_cvt_f32_i32_e32 v5, v17
	v_cvt_f32_i32_e32 v4, v141
	v_pk_fma_f32 v[18:19], v[22:23], v[18:19], v[20:21]
	s_add_i32 s0, s0, 4
	v_pk_add_f32 v[58:59], v[58:59], v[18:19]
	v_pk_fma_f32 v[0:1], v[4:5], v[0:1], v[2:3]
	v_add_u32_e32 v16, 16, v16
	v_pk_add_f32 v[56:57], v[56:57], v[0:1]
	v_add_u32_e32 v15, 4, v15
	v_add_u32_e32 v14, 4, v14
	;; [unrolled: 1-line block ×6, first 2 shown]
	s_cmp_lt_u32 s0, 28
	s_cbranch_scc1 .LBB159_12
; %bb.13:                               ;   in Loop: Header=BB159_7 Depth=1
	s_barrier
	s_branch .LBB159_6
.LBB159_14:
	v_mov_b32_e32 v1, v89
	v_cmp_gt_u32_e32 vcc, s8, v91
	s_and_saveexec_b64 s[0:1], vcc
	s_cbranch_execz .LBB159_3
.LBB159_15:
	v_add_u32_e32 v0, s4, v83
	v_mul_lo_u32 v5, v91, s10
	v_cmp_gt_u32_e64 s[0:1], s10, v0
	s_and_saveexec_b64 s[2:3], s[0:1]
	s_cbranch_execz .LBB159_17
; %bb.16:
	v_bfe_u32 v2, v110, 16, 1
	s_movk_i32 s4, 0x7fff
	v_add3_u32 v2, v110, v2, s4
	v_cmp_o_f32_e32 vcc, v110, v110
	v_mov_b32_e32 v3, 0x7fc0
	s_nop 0
	v_cndmask_b32_sdwa v4, v3, v2, vcc dst_sel:DWORD dst_unused:UNUSED_PAD src0_sel:DWORD src1_sel:WORD_1
	v_add_u32_e32 v2, v0, v5
	v_mov_b32_e32 v3, 0
	s_waitcnt lgkmcnt(0)
	v_lshl_add_u64 v[2:3], v[2:3], 1, s[12:13]
	global_store_short v[2:3], v4, off
.LBB159_17:
	s_or_b64 exec, exec, s[2:3]
	v_add_u32_e32 v2, 32, v0
	v_cmp_gt_u32_e64 s[2:3], s10, v2
	s_and_saveexec_b64 s[4:5], s[2:3]
	s_cbranch_execz .LBB159_19
; %bb.18:
	v_bfe_u32 v3, v102, 16, 1
	s_movk_i32 s6, 0x7fff
	v_add3_u32 v3, v102, v3, s6
	v_cmp_o_f32_e32 vcc, v102, v102
	v_mov_b32_e32 v4, 0x7fc0
	v_add_u32_e32 v6, v2, v5
	v_mov_b32_e32 v7, 0
	v_cndmask_b32_sdwa v3, v4, v3, vcc dst_sel:DWORD dst_unused:UNUSED_PAD src0_sel:DWORD src1_sel:WORD_1
	s_waitcnt lgkmcnt(0)
	v_lshl_add_u64 v[6:7], v[6:7], 1, s[12:13]
	global_store_short v[6:7], v3, off
.LBB159_19:
	s_or_b64 exec, exec, s[4:5]
	v_add_u32_e32 v3, 64, v0
	v_cmp_gt_u32_e64 s[4:5], s10, v3
	s_and_saveexec_b64 s[6:7], s[4:5]
	s_cbranch_execz .LBB159_21
; %bb.20:
	v_bfe_u32 v4, v86, 16, 1
	s_movk_i32 s9, 0x7fff
	v_add3_u32 v4, v86, v4, s9
	v_cmp_o_f32_e32 vcc, v86, v86
	v_mov_b32_e32 v6, 0x7fc0
	v_mov_b32_e32 v7, 0
	v_cndmask_b32_sdwa v4, v6, v4, vcc dst_sel:DWORD dst_unused:UNUSED_PAD src0_sel:DWORD src1_sel:WORD_1
	v_add_u32_e32 v6, v3, v5
	s_waitcnt lgkmcnt(0)
	v_lshl_add_u64 v[6:7], v[6:7], 1, s[12:13]
	global_store_short v[6:7], v4, off
.LBB159_21:
	s_or_b64 exec, exec, s[6:7]
	v_add_u32_e32 v4, 0x60, v0
	v_cmp_gt_u32_e64 s[6:7], s10, v4
	s_and_saveexec_b64 s[14:15], s[6:7]
	s_cbranch_execz .LBB159_23
; %bb.22:
	v_bfe_u32 v6, v80, 16, 1
	s_movk_i32 s9, 0x7fff
	v_add3_u32 v6, v80, v6, s9
	v_cmp_o_f32_e32 vcc, v80, v80
	v_mov_b32_e32 v7, 0x7fc0
	s_nop 0
	v_cndmask_b32_sdwa v8, v7, v6, vcc dst_sel:DWORD dst_unused:UNUSED_PAD src0_sel:DWORD src1_sel:WORD_1
	v_add_u32_e32 v6, v4, v5
	v_mov_b32_e32 v7, 0
	s_waitcnt lgkmcnt(0)
	v_lshl_add_u64 v[6:7], v[6:7], 1, s[12:13]
	global_store_short v[6:7], v8, off
.LBB159_23:
	s_or_b64 exec, exec, s[14:15]
	v_add3_u32 v5, v1, s11, 8
	v_cmp_gt_u32_e32 vcc, s8, v5
	s_and_b64 exec, exec, vcc
	s_cbranch_execz .LBB159_3
; %bb.24:
	v_mul_lo_u32 v5, v5, s10
	s_and_saveexec_b64 s[14:15], s[0:1]
	s_cbranch_execnz .LBB159_64
; %bb.25:
	s_or_b64 exec, exec, s[14:15]
	s_and_saveexec_b64 s[14:15], s[2:3]
	s_cbranch_execnz .LBB159_65
.LBB159_26:
	s_or_b64 exec, exec, s[14:15]
	s_and_saveexec_b64 s[14:15], s[4:5]
	s_cbranch_execnz .LBB159_66
.LBB159_27:
	s_or_b64 exec, exec, s[14:15]
	s_and_saveexec_b64 s[14:15], s[6:7]
	s_cbranch_execz .LBB159_29
.LBB159_28:
	v_bfe_u32 v6, v81, 16, 1
	s_movk_i32 s9, 0x7fff
	v_add3_u32 v6, v81, v6, s9
	v_cmp_o_f32_e32 vcc, v81, v81
	v_mov_b32_e32 v7, 0x7fc0
	s_nop 0
	v_cndmask_b32_sdwa v8, v7, v6, vcc dst_sel:DWORD dst_unused:UNUSED_PAD src0_sel:DWORD src1_sel:WORD_1
	v_add_u32_e32 v6, v5, v4
	v_mov_b32_e32 v7, 0
	s_waitcnt lgkmcnt(0)
	v_lshl_add_u64 v[6:7], v[6:7], 1, s[12:13]
	global_store_short v[6:7], v8, off
.LBB159_29:
	s_or_b64 exec, exec, s[14:15]
	v_add3_u32 v5, v1, s11, 16
	v_cmp_gt_u32_e32 vcc, s8, v5
	s_and_b64 exec, exec, vcc
	s_cbranch_execz .LBB159_3
; %bb.30:
	v_mul_lo_u32 v5, v5, s10
	s_and_saveexec_b64 s[14:15], s[0:1]
	s_cbranch_execnz .LBB159_67
; %bb.31:
	s_or_b64 exec, exec, s[14:15]
	s_and_saveexec_b64 s[14:15], s[2:3]
	s_cbranch_execnz .LBB159_68
.LBB159_32:
	s_or_b64 exec, exec, s[14:15]
	s_and_saveexec_b64 s[14:15], s[4:5]
	s_cbranch_execnz .LBB159_69
.LBB159_33:
	s_or_b64 exec, exec, s[14:15]
	s_and_saveexec_b64 s[14:15], s[6:7]
	s_cbranch_execz .LBB159_35
.LBB159_34:
	v_bfe_u32 v6, v72, 16, 1
	s_movk_i32 s9, 0x7fff
	v_add3_u32 v6, v72, v6, s9
	v_cmp_o_f32_e32 vcc, v72, v72
	v_mov_b32_e32 v7, 0x7fc0
	s_nop 0
	v_cndmask_b32_sdwa v8, v7, v6, vcc dst_sel:DWORD dst_unused:UNUSED_PAD src0_sel:DWORD src1_sel:WORD_1
	v_add_u32_e32 v6, v5, v4
	v_mov_b32_e32 v7, 0
	s_waitcnt lgkmcnt(0)
	v_lshl_add_u64 v[6:7], v[6:7], 1, s[12:13]
	global_store_short v[6:7], v8, off
.LBB159_35:
	s_or_b64 exec, exec, s[14:15]
	v_add3_u32 v5, v1, s11, 24
	v_cmp_gt_u32_e32 vcc, s8, v5
	s_and_b64 exec, exec, vcc
	s_cbranch_execz .LBB159_3
; %bb.36:
	v_mul_lo_u32 v5, v5, s10
	s_and_saveexec_b64 s[14:15], s[0:1]
	s_cbranch_execnz .LBB159_70
; %bb.37:
	s_or_b64 exec, exec, s[14:15]
	s_and_saveexec_b64 s[14:15], s[2:3]
	s_cbranch_execnz .LBB159_71
.LBB159_38:
	s_or_b64 exec, exec, s[14:15]
	s_and_saveexec_b64 s[14:15], s[4:5]
	s_cbranch_execnz .LBB159_72
.LBB159_39:
	s_or_b64 exec, exec, s[14:15]
	s_and_saveexec_b64 s[14:15], s[6:7]
	s_cbranch_execz .LBB159_41
.LBB159_40:
	v_bfe_u32 v6, v73, 16, 1
	s_movk_i32 s9, 0x7fff
	v_add3_u32 v6, v73, v6, s9
	v_cmp_o_f32_e32 vcc, v73, v73
	v_mov_b32_e32 v7, 0x7fc0
	s_nop 0
	v_cndmask_b32_sdwa v8, v7, v6, vcc dst_sel:DWORD dst_unused:UNUSED_PAD src0_sel:DWORD src1_sel:WORD_1
	v_add_u32_e32 v6, v5, v4
	v_mov_b32_e32 v7, 0
	s_waitcnt lgkmcnt(0)
	v_lshl_add_u64 v[6:7], v[6:7], 1, s[12:13]
	global_store_short v[6:7], v8, off
.LBB159_41:
	s_or_b64 exec, exec, s[14:15]
	v_add3_u32 v5, v1, s11, 32
	v_cmp_gt_u32_e32 vcc, s8, v5
	s_and_b64 exec, exec, vcc
	s_cbranch_execz .LBB159_3
; %bb.42:
	v_mul_lo_u32 v5, v5, s10
	s_and_saveexec_b64 s[14:15], s[0:1]
	s_cbranch_execnz .LBB159_73
; %bb.43:
	s_or_b64 exec, exec, s[14:15]
	s_and_saveexec_b64 s[14:15], s[2:3]
	s_cbranch_execnz .LBB159_74
.LBB159_44:
	s_or_b64 exec, exec, s[14:15]
	s_and_saveexec_b64 s[14:15], s[4:5]
	s_cbranch_execnz .LBB159_75
.LBB159_45:
	s_or_b64 exec, exec, s[14:15]
	s_and_saveexec_b64 s[14:15], s[6:7]
	s_cbranch_execz .LBB159_47
.LBB159_46:
	v_bfe_u32 v6, v64, 16, 1
	s_movk_i32 s9, 0x7fff
	v_add3_u32 v6, v64, v6, s9
	v_cmp_o_f32_e32 vcc, v64, v64
	v_mov_b32_e32 v7, 0x7fc0
	s_nop 0
	v_cndmask_b32_sdwa v8, v7, v6, vcc dst_sel:DWORD dst_unused:UNUSED_PAD src0_sel:DWORD src1_sel:WORD_1
	v_add_u32_e32 v6, v5, v4
	v_mov_b32_e32 v7, 0
	s_waitcnt lgkmcnt(0)
	v_lshl_add_u64 v[6:7], v[6:7], 1, s[12:13]
	global_store_short v[6:7], v8, off
.LBB159_47:
	s_or_b64 exec, exec, s[14:15]
	v_add3_u32 v5, v1, s11, 40
	v_cmp_gt_u32_e32 vcc, s8, v5
	s_and_b64 exec, exec, vcc
	s_cbranch_execz .LBB159_3
; %bb.48:
	v_mul_lo_u32 v5, v5, s10
	s_and_saveexec_b64 s[14:15], s[0:1]
	s_cbranch_execnz .LBB159_76
; %bb.49:
	s_or_b64 exec, exec, s[14:15]
	s_and_saveexec_b64 s[14:15], s[2:3]
	s_cbranch_execnz .LBB159_77
.LBB159_50:
	s_or_b64 exec, exec, s[14:15]
	s_and_saveexec_b64 s[14:15], s[4:5]
	s_cbranch_execnz .LBB159_78
.LBB159_51:
	s_or_b64 exec, exec, s[14:15]
	s_and_saveexec_b64 s[14:15], s[6:7]
	s_cbranch_execz .LBB159_53
.LBB159_52:
	v_bfe_u32 v6, v65, 16, 1
	s_movk_i32 s9, 0x7fff
	v_add3_u32 v6, v65, v6, s9
	v_cmp_o_f32_e32 vcc, v65, v65
	v_mov_b32_e32 v7, 0x7fc0
	s_nop 0
	v_cndmask_b32_sdwa v8, v7, v6, vcc dst_sel:DWORD dst_unused:UNUSED_PAD src0_sel:DWORD src1_sel:WORD_1
	v_add_u32_e32 v6, v5, v4
	v_mov_b32_e32 v7, 0
	s_waitcnt lgkmcnt(0)
	v_lshl_add_u64 v[6:7], v[6:7], 1, s[12:13]
	global_store_short v[6:7], v8, off
.LBB159_53:
	s_or_b64 exec, exec, s[14:15]
	v_add3_u32 v5, v1, s11, 48
	v_cmp_gt_u32_e32 vcc, s8, v5
	s_and_b64 exec, exec, vcc
	s_cbranch_execz .LBB159_3
; %bb.54:
	v_mul_lo_u32 v5, v5, s10
	s_and_saveexec_b64 s[14:15], s[0:1]
	s_cbranch_execnz .LBB159_79
; %bb.55:
	s_or_b64 exec, exec, s[14:15]
	s_and_saveexec_b64 s[14:15], s[2:3]
	s_cbranch_execnz .LBB159_80
.LBB159_56:
	s_or_b64 exec, exec, s[14:15]
	s_and_saveexec_b64 s[14:15], s[4:5]
	s_cbranch_execnz .LBB159_81
.LBB159_57:
	s_or_b64 exec, exec, s[14:15]
	s_and_saveexec_b64 s[14:15], s[6:7]
	s_cbranch_execz .LBB159_59
.LBB159_58:
	v_bfe_u32 v6, v56, 16, 1
	s_movk_i32 s9, 0x7fff
	v_add3_u32 v6, v56, v6, s9
	v_cmp_o_f32_e32 vcc, v56, v56
	v_mov_b32_e32 v7, 0x7fc0
	s_nop 0
	v_cndmask_b32_sdwa v8, v7, v6, vcc dst_sel:DWORD dst_unused:UNUSED_PAD src0_sel:DWORD src1_sel:WORD_1
	v_add_u32_e32 v6, v5, v4
	v_mov_b32_e32 v7, 0
	s_waitcnt lgkmcnt(0)
	v_lshl_add_u64 v[6:7], v[6:7], 1, s[12:13]
	global_store_short v[6:7], v8, off
.LBB159_59:
	s_or_b64 exec, exec, s[14:15]
	v_add3_u32 v1, v1, s11, 56
	v_cmp_gt_u32_e32 vcc, s8, v1
	s_and_b64 exec, exec, vcc
	s_cbranch_execz .LBB159_3
; %bb.60:
	v_mul_lo_u32 v1, v1, s10
	s_and_saveexec_b64 s[8:9], s[0:1]
	s_cbranch_execnz .LBB159_82
; %bb.61:
	s_or_b64 exec, exec, s[8:9]
	s_and_saveexec_b64 s[0:1], s[2:3]
	s_cbranch_execnz .LBB159_83
.LBB159_62:
	s_or_b64 exec, exec, s[0:1]
	s_and_saveexec_b64 s[0:1], s[4:5]
	s_cbranch_execnz .LBB159_84
.LBB159_63:
	s_or_b64 exec, exec, s[0:1]
	s_and_b64 exec, exec, s[6:7]
	s_cbranch_execz .LBB159_3
	s_branch .LBB159_85
.LBB159_64:
	v_bfe_u32 v6, v111, 16, 1
	s_movk_i32 s9, 0x7fff
	v_add3_u32 v6, v111, v6, s9
	v_cmp_o_f32_e32 vcc, v111, v111
	v_mov_b32_e32 v7, 0x7fc0
	s_nop 0
	v_cndmask_b32_sdwa v8, v7, v6, vcc dst_sel:DWORD dst_unused:UNUSED_PAD src0_sel:DWORD src1_sel:WORD_1
	v_add_u32_e32 v6, v5, v0
	v_mov_b32_e32 v7, 0
	s_waitcnt lgkmcnt(0)
	v_lshl_add_u64 v[6:7], v[6:7], 1, s[12:13]
	global_store_short v[6:7], v8, off
	s_or_b64 exec, exec, s[14:15]
	s_and_saveexec_b64 s[14:15], s[2:3]
	s_cbranch_execz .LBB159_26
.LBB159_65:
	v_bfe_u32 v6, v103, 16, 1
	s_movk_i32 s9, 0x7fff
	v_add3_u32 v6, v103, v6, s9
	v_cmp_o_f32_e32 vcc, v103, v103
	v_mov_b32_e32 v7, 0x7fc0
	s_nop 0
	v_cndmask_b32_sdwa v8, v7, v6, vcc dst_sel:DWORD dst_unused:UNUSED_PAD src0_sel:DWORD src1_sel:WORD_1
	v_add_u32_e32 v6, v5, v2
	v_mov_b32_e32 v7, 0
	s_waitcnt lgkmcnt(0)
	v_lshl_add_u64 v[6:7], v[6:7], 1, s[12:13]
	global_store_short v[6:7], v8, off
	s_or_b64 exec, exec, s[14:15]
	s_and_saveexec_b64 s[14:15], s[4:5]
	s_cbranch_execz .LBB159_27
.LBB159_66:
	v_bfe_u32 v6, v87, 16, 1
	s_movk_i32 s9, 0x7fff
	v_add3_u32 v6, v87, v6, s9
	v_cmp_o_f32_e32 vcc, v87, v87
	v_mov_b32_e32 v7, 0x7fc0
	s_nop 0
	v_cndmask_b32_sdwa v8, v7, v6, vcc dst_sel:DWORD dst_unused:UNUSED_PAD src0_sel:DWORD src1_sel:WORD_1
	v_add_u32_e32 v6, v5, v3
	v_mov_b32_e32 v7, 0
	s_waitcnt lgkmcnt(0)
	v_lshl_add_u64 v[6:7], v[6:7], 1, s[12:13]
	global_store_short v[6:7], v8, off
	s_or_b64 exec, exec, s[14:15]
	s_and_saveexec_b64 s[14:15], s[6:7]
	s_cbranch_execnz .LBB159_28
	s_branch .LBB159_29
.LBB159_67:
	v_bfe_u32 v6, v78, 16, 1
	s_movk_i32 s9, 0x7fff
	v_add3_u32 v6, v78, v6, s9
	v_cmp_o_f32_e32 vcc, v78, v78
	v_mov_b32_e32 v7, 0x7fc0
	s_nop 0
	v_cndmask_b32_sdwa v8, v7, v6, vcc dst_sel:DWORD dst_unused:UNUSED_PAD src0_sel:DWORD src1_sel:WORD_1
	v_add_u32_e32 v6, v5, v0
	v_mov_b32_e32 v7, 0
	s_waitcnt lgkmcnt(0)
	v_lshl_add_u64 v[6:7], v[6:7], 1, s[12:13]
	global_store_short v[6:7], v8, off
	s_or_b64 exec, exec, s[14:15]
	s_and_saveexec_b64 s[14:15], s[2:3]
	s_cbranch_execz .LBB159_32
.LBB159_68:
	v_bfe_u32 v6, v76, 16, 1
	s_movk_i32 s9, 0x7fff
	v_add3_u32 v6, v76, v6, s9
	v_cmp_o_f32_e32 vcc, v76, v76
	v_mov_b32_e32 v7, 0x7fc0
	s_nop 0
	v_cndmask_b32_sdwa v8, v7, v6, vcc dst_sel:DWORD dst_unused:UNUSED_PAD src0_sel:DWORD src1_sel:WORD_1
	v_add_u32_e32 v6, v5, v2
	v_mov_b32_e32 v7, 0
	s_waitcnt lgkmcnt(0)
	v_lshl_add_u64 v[6:7], v[6:7], 1, s[12:13]
	global_store_short v[6:7], v8, off
	s_or_b64 exec, exec, s[14:15]
	s_and_saveexec_b64 s[14:15], s[4:5]
	s_cbranch_execz .LBB159_33
.LBB159_69:
	v_bfe_u32 v6, v74, 16, 1
	s_movk_i32 s9, 0x7fff
	v_add3_u32 v6, v74, v6, s9
	v_cmp_o_f32_e32 vcc, v74, v74
	v_mov_b32_e32 v7, 0x7fc0
	s_nop 0
	v_cndmask_b32_sdwa v8, v7, v6, vcc dst_sel:DWORD dst_unused:UNUSED_PAD src0_sel:DWORD src1_sel:WORD_1
	v_add_u32_e32 v6, v5, v3
	v_mov_b32_e32 v7, 0
	s_waitcnt lgkmcnt(0)
	v_lshl_add_u64 v[6:7], v[6:7], 1, s[12:13]
	global_store_short v[6:7], v8, off
	s_or_b64 exec, exec, s[14:15]
	s_and_saveexec_b64 s[14:15], s[6:7]
	s_cbranch_execnz .LBB159_34
	s_branch .LBB159_35
.LBB159_70:
	v_bfe_u32 v6, v79, 16, 1
	s_movk_i32 s9, 0x7fff
	v_add3_u32 v6, v79, v6, s9
	v_cmp_o_f32_e32 vcc, v79, v79
	v_mov_b32_e32 v7, 0x7fc0
	s_nop 0
	v_cndmask_b32_sdwa v8, v7, v6, vcc dst_sel:DWORD dst_unused:UNUSED_PAD src0_sel:DWORD src1_sel:WORD_1
	v_add_u32_e32 v6, v5, v0
	v_mov_b32_e32 v7, 0
	s_waitcnt lgkmcnt(0)
	v_lshl_add_u64 v[6:7], v[6:7], 1, s[12:13]
	global_store_short v[6:7], v8, off
	s_or_b64 exec, exec, s[14:15]
	s_and_saveexec_b64 s[14:15], s[2:3]
	s_cbranch_execz .LBB159_38
.LBB159_71:
	v_bfe_u32 v6, v77, 16, 1
	s_movk_i32 s9, 0x7fff
	v_add3_u32 v6, v77, v6, s9
	v_cmp_o_f32_e32 vcc, v77, v77
	v_mov_b32_e32 v7, 0x7fc0
	s_nop 0
	v_cndmask_b32_sdwa v8, v7, v6, vcc dst_sel:DWORD dst_unused:UNUSED_PAD src0_sel:DWORD src1_sel:WORD_1
	v_add_u32_e32 v6, v5, v2
	v_mov_b32_e32 v7, 0
	s_waitcnt lgkmcnt(0)
	v_lshl_add_u64 v[6:7], v[6:7], 1, s[12:13]
	global_store_short v[6:7], v8, off
	s_or_b64 exec, exec, s[14:15]
	s_and_saveexec_b64 s[14:15], s[4:5]
	s_cbranch_execz .LBB159_39
.LBB159_72:
	v_bfe_u32 v6, v75, 16, 1
	s_movk_i32 s9, 0x7fff
	v_add3_u32 v6, v75, v6, s9
	v_cmp_o_f32_e32 vcc, v75, v75
	v_mov_b32_e32 v7, 0x7fc0
	s_nop 0
	v_cndmask_b32_sdwa v8, v7, v6, vcc dst_sel:DWORD dst_unused:UNUSED_PAD src0_sel:DWORD src1_sel:WORD_1
	v_add_u32_e32 v6, v5, v3
	v_mov_b32_e32 v7, 0
	s_waitcnt lgkmcnt(0)
	v_lshl_add_u64 v[6:7], v[6:7], 1, s[12:13]
	global_store_short v[6:7], v8, off
	s_or_b64 exec, exec, s[14:15]
	s_and_saveexec_b64 s[14:15], s[6:7]
	s_cbranch_execnz .LBB159_40
	s_branch .LBB159_41
.LBB159_73:
	v_bfe_u32 v6, v70, 16, 1
	s_movk_i32 s9, 0x7fff
	v_add3_u32 v6, v70, v6, s9
	v_cmp_o_f32_e32 vcc, v70, v70
	v_mov_b32_e32 v7, 0x7fc0
	s_nop 0
	v_cndmask_b32_sdwa v8, v7, v6, vcc dst_sel:DWORD dst_unused:UNUSED_PAD src0_sel:DWORD src1_sel:WORD_1
	v_add_u32_e32 v6, v5, v0
	v_mov_b32_e32 v7, 0
	s_waitcnt lgkmcnt(0)
	v_lshl_add_u64 v[6:7], v[6:7], 1, s[12:13]
	global_store_short v[6:7], v8, off
	s_or_b64 exec, exec, s[14:15]
	s_and_saveexec_b64 s[14:15], s[2:3]
	s_cbranch_execz .LBB159_44
.LBB159_74:
	v_bfe_u32 v6, v68, 16, 1
	s_movk_i32 s9, 0x7fff
	v_add3_u32 v6, v68, v6, s9
	v_cmp_o_f32_e32 vcc, v68, v68
	v_mov_b32_e32 v7, 0x7fc0
	s_nop 0
	v_cndmask_b32_sdwa v8, v7, v6, vcc dst_sel:DWORD dst_unused:UNUSED_PAD src0_sel:DWORD src1_sel:WORD_1
	v_add_u32_e32 v6, v5, v2
	v_mov_b32_e32 v7, 0
	s_waitcnt lgkmcnt(0)
	v_lshl_add_u64 v[6:7], v[6:7], 1, s[12:13]
	global_store_short v[6:7], v8, off
	s_or_b64 exec, exec, s[14:15]
	s_and_saveexec_b64 s[14:15], s[4:5]
	s_cbranch_execz .LBB159_45
.LBB159_75:
	v_bfe_u32 v6, v66, 16, 1
	s_movk_i32 s9, 0x7fff
	v_add3_u32 v6, v66, v6, s9
	v_cmp_o_f32_e32 vcc, v66, v66
	v_mov_b32_e32 v7, 0x7fc0
	s_nop 0
	v_cndmask_b32_sdwa v8, v7, v6, vcc dst_sel:DWORD dst_unused:UNUSED_PAD src0_sel:DWORD src1_sel:WORD_1
	v_add_u32_e32 v6, v5, v3
	v_mov_b32_e32 v7, 0
	s_waitcnt lgkmcnt(0)
	v_lshl_add_u64 v[6:7], v[6:7], 1, s[12:13]
	global_store_short v[6:7], v8, off
	s_or_b64 exec, exec, s[14:15]
	s_and_saveexec_b64 s[14:15], s[6:7]
	s_cbranch_execnz .LBB159_46
	s_branch .LBB159_47
.LBB159_76:
	v_bfe_u32 v6, v71, 16, 1
	s_movk_i32 s9, 0x7fff
	v_add3_u32 v6, v71, v6, s9
	v_cmp_o_f32_e32 vcc, v71, v71
	v_mov_b32_e32 v7, 0x7fc0
	s_nop 0
	v_cndmask_b32_sdwa v8, v7, v6, vcc dst_sel:DWORD dst_unused:UNUSED_PAD src0_sel:DWORD src1_sel:WORD_1
	v_add_u32_e32 v6, v5, v0
	v_mov_b32_e32 v7, 0
	s_waitcnt lgkmcnt(0)
	v_lshl_add_u64 v[6:7], v[6:7], 1, s[12:13]
	global_store_short v[6:7], v8, off
	s_or_b64 exec, exec, s[14:15]
	s_and_saveexec_b64 s[14:15], s[2:3]
	s_cbranch_execz .LBB159_50
.LBB159_77:
	v_bfe_u32 v6, v69, 16, 1
	s_movk_i32 s9, 0x7fff
	v_add3_u32 v6, v69, v6, s9
	v_cmp_o_f32_e32 vcc, v69, v69
	v_mov_b32_e32 v7, 0x7fc0
	s_nop 0
	v_cndmask_b32_sdwa v8, v7, v6, vcc dst_sel:DWORD dst_unused:UNUSED_PAD src0_sel:DWORD src1_sel:WORD_1
	v_add_u32_e32 v6, v5, v2
	v_mov_b32_e32 v7, 0
	s_waitcnt lgkmcnt(0)
	v_lshl_add_u64 v[6:7], v[6:7], 1, s[12:13]
	global_store_short v[6:7], v8, off
	s_or_b64 exec, exec, s[14:15]
	s_and_saveexec_b64 s[14:15], s[4:5]
	s_cbranch_execz .LBB159_51
.LBB159_78:
	v_bfe_u32 v6, v67, 16, 1
	s_movk_i32 s9, 0x7fff
	v_add3_u32 v6, v67, v6, s9
	v_cmp_o_f32_e32 vcc, v67, v67
	v_mov_b32_e32 v7, 0x7fc0
	s_nop 0
	v_cndmask_b32_sdwa v8, v7, v6, vcc dst_sel:DWORD dst_unused:UNUSED_PAD src0_sel:DWORD src1_sel:WORD_1
	v_add_u32_e32 v6, v5, v3
	v_mov_b32_e32 v7, 0
	s_waitcnt lgkmcnt(0)
	v_lshl_add_u64 v[6:7], v[6:7], 1, s[12:13]
	global_store_short v[6:7], v8, off
	s_or_b64 exec, exec, s[14:15]
	s_and_saveexec_b64 s[14:15], s[6:7]
	s_cbranch_execnz .LBB159_52
	s_branch .LBB159_53
.LBB159_79:
	v_bfe_u32 v6, v62, 16, 1
	s_movk_i32 s9, 0x7fff
	v_add3_u32 v6, v62, v6, s9
	v_cmp_o_f32_e32 vcc, v62, v62
	v_mov_b32_e32 v7, 0x7fc0
	s_nop 0
	v_cndmask_b32_sdwa v8, v7, v6, vcc dst_sel:DWORD dst_unused:UNUSED_PAD src0_sel:DWORD src1_sel:WORD_1
	v_add_u32_e32 v6, v5, v0
	v_mov_b32_e32 v7, 0
	s_waitcnt lgkmcnt(0)
	v_lshl_add_u64 v[6:7], v[6:7], 1, s[12:13]
	global_store_short v[6:7], v8, off
	s_or_b64 exec, exec, s[14:15]
	s_and_saveexec_b64 s[14:15], s[2:3]
	s_cbranch_execz .LBB159_56
.LBB159_80:
	v_bfe_u32 v6, v60, 16, 1
	s_movk_i32 s9, 0x7fff
	v_add3_u32 v6, v60, v6, s9
	v_cmp_o_f32_e32 vcc, v60, v60
	v_mov_b32_e32 v7, 0x7fc0
	s_nop 0
	v_cndmask_b32_sdwa v8, v7, v6, vcc dst_sel:DWORD dst_unused:UNUSED_PAD src0_sel:DWORD src1_sel:WORD_1
	v_add_u32_e32 v6, v5, v2
	v_mov_b32_e32 v7, 0
	s_waitcnt lgkmcnt(0)
	v_lshl_add_u64 v[6:7], v[6:7], 1, s[12:13]
	global_store_short v[6:7], v8, off
	s_or_b64 exec, exec, s[14:15]
	s_and_saveexec_b64 s[14:15], s[4:5]
	s_cbranch_execz .LBB159_57
.LBB159_81:
	v_bfe_u32 v6, v58, 16, 1
	s_movk_i32 s9, 0x7fff
	v_add3_u32 v6, v58, v6, s9
	v_cmp_o_f32_e32 vcc, v58, v58
	v_mov_b32_e32 v7, 0x7fc0
	s_nop 0
	v_cndmask_b32_sdwa v8, v7, v6, vcc dst_sel:DWORD dst_unused:UNUSED_PAD src0_sel:DWORD src1_sel:WORD_1
	v_add_u32_e32 v6, v5, v3
	v_mov_b32_e32 v7, 0
	s_waitcnt lgkmcnt(0)
	v_lshl_add_u64 v[6:7], v[6:7], 1, s[12:13]
	global_store_short v[6:7], v8, off
	s_or_b64 exec, exec, s[14:15]
	s_and_saveexec_b64 s[14:15], s[6:7]
	s_cbranch_execnz .LBB159_58
	s_branch .LBB159_59
.LBB159_82:
	v_bfe_u32 v5, v63, 16, 1
	s_movk_i32 s0, 0x7fff
	v_add3_u32 v5, v63, v5, s0
	v_cmp_o_f32_e32 vcc, v63, v63
	v_mov_b32_e32 v6, 0x7fc0
	v_mov_b32_e32 v7, 0
	v_cndmask_b32_sdwa v5, v6, v5, vcc dst_sel:DWORD dst_unused:UNUSED_PAD src0_sel:DWORD src1_sel:WORD_1
	v_add_u32_e32 v6, v1, v0
	s_waitcnt lgkmcnt(0)
	v_lshl_add_u64 v[6:7], v[6:7], 1, s[12:13]
	global_store_short v[6:7], v5, off
	s_or_b64 exec, exec, s[8:9]
	s_and_saveexec_b64 s[0:1], s[2:3]
	s_cbranch_execz .LBB159_62
.LBB159_83:
	v_bfe_u32 v0, v61, 16, 1
	s_movk_i32 s2, 0x7fff
	v_add3_u32 v0, v61, v0, s2
	v_cmp_o_f32_e32 vcc, v61, v61
	v_mov_b32_e32 v5, 0x7fc0
	v_add_u32_e32 v6, v1, v2
	v_mov_b32_e32 v7, 0
	v_cndmask_b32_sdwa v0, v5, v0, vcc dst_sel:DWORD dst_unused:UNUSED_PAD src0_sel:DWORD src1_sel:WORD_1
	s_waitcnt lgkmcnt(0)
	v_lshl_add_u64 v[6:7], v[6:7], 1, s[12:13]
	global_store_short v[6:7], v0, off
	s_or_b64 exec, exec, s[0:1]
	s_and_saveexec_b64 s[0:1], s[4:5]
	s_cbranch_execz .LBB159_63
.LBB159_84:
	v_bfe_u32 v0, v59, 16, 1
	s_movk_i32 s2, 0x7fff
	v_add3_u32 v0, v59, v0, s2
	v_cmp_o_f32_e32 vcc, v59, v59
	v_mov_b32_e32 v2, 0x7fc0
	s_nop 0
	v_cndmask_b32_sdwa v0, v2, v0, vcc dst_sel:DWORD dst_unused:UNUSED_PAD src0_sel:DWORD src1_sel:WORD_1
	v_add_u32_e32 v2, v1, v3
	v_mov_b32_e32 v3, 0
	s_waitcnt lgkmcnt(0)
	v_lshl_add_u64 v[2:3], v[2:3], 1, s[12:13]
	global_store_short v[2:3], v0, off
	s_or_b64 exec, exec, s[0:1]
	s_and_b64 exec, exec, s[6:7]
	s_cbranch_execz .LBB159_3
.LBB159_85:
	v_bfe_u32 v0, v57, 16, 1
	s_movk_i32 s0, 0x7fff
	v_add3_u32 v0, v57, v0, s0
	v_cmp_o_f32_e32 vcc, v57, v57
	v_mov_b32_e32 v2, 0x7fc0
	s_nop 0
	v_cndmask_b32_sdwa v2, v2, v0, vcc dst_sel:DWORD dst_unused:UNUSED_PAD src0_sel:DWORD src1_sel:WORD_1
	v_add_u32_e32 v0, v1, v4
	v_mov_b32_e32 v1, 0
	s_waitcnt lgkmcnt(0)
	v_lshl_add_u64 v[0:1], v[0:1], 1, s[12:13]
	global_store_short v[0:1], v2, off
	s_endpgm
	.section	.rodata,"a",@progbits
	.p2align	6, 0x0
	.amdhsa_kernel _ZL12mul_mat_q4_1IN3c108BFloat16ELb0EEvPKvS3_PT_iiiii
		.amdhsa_group_segment_fixed_size 30336
		.amdhsa_private_segment_fixed_size 0
		.amdhsa_kernarg_size 44
		.amdhsa_user_sgpr_count 2
		.amdhsa_user_sgpr_dispatch_ptr 0
		.amdhsa_user_sgpr_queue_ptr 0
		.amdhsa_user_sgpr_kernarg_segment_ptr 1
		.amdhsa_user_sgpr_dispatch_id 0
		.amdhsa_user_sgpr_kernarg_preload_length 0
		.amdhsa_user_sgpr_kernarg_preload_offset 0
		.amdhsa_user_sgpr_private_segment_size 0
		.amdhsa_uses_dynamic_stack 0
		.amdhsa_enable_private_segment 0
		.amdhsa_system_sgpr_workgroup_id_x 1
		.amdhsa_system_sgpr_workgroup_id_y 1
		.amdhsa_system_sgpr_workgroup_id_z 0
		.amdhsa_system_sgpr_workgroup_info 0
		.amdhsa_system_vgpr_workitem_id 1
		.amdhsa_next_free_vgpr 251
		.amdhsa_next_free_sgpr 96
		.amdhsa_accum_offset 252
		.amdhsa_reserve_vcc 1
		.amdhsa_float_round_mode_32 0
		.amdhsa_float_round_mode_16_64 0
		.amdhsa_float_denorm_mode_32 3
		.amdhsa_float_denorm_mode_16_64 3
		.amdhsa_dx10_clamp 1
		.amdhsa_ieee_mode 1
		.amdhsa_fp16_overflow 0
		.amdhsa_tg_split 0
		.amdhsa_exception_fp_ieee_invalid_op 0
		.amdhsa_exception_fp_denorm_src 0
		.amdhsa_exception_fp_ieee_div_zero 0
		.amdhsa_exception_fp_ieee_overflow 0
		.amdhsa_exception_fp_ieee_underflow 0
		.amdhsa_exception_fp_ieee_inexact 0
		.amdhsa_exception_int_div_zero 0
	.end_amdhsa_kernel
	.section	.text._ZL12mul_mat_q4_1IN3c108BFloat16ELb0EEvPKvS3_PT_iiiii,"axG",@progbits,_ZL12mul_mat_q4_1IN3c108BFloat16ELb0EEvPKvS3_PT_iiiii,comdat
.Lfunc_end159:
	.size	_ZL12mul_mat_q4_1IN3c108BFloat16ELb0EEvPKvS3_PT_iiiii, .Lfunc_end159-_ZL12mul_mat_q4_1IN3c108BFloat16ELb0EEvPKvS3_PT_iiiii
                                        ; -- End function
	.set _ZL12mul_mat_q4_1IN3c108BFloat16ELb0EEvPKvS3_PT_iiiii.num_vgpr, 251
	.set _ZL12mul_mat_q4_1IN3c108BFloat16ELb0EEvPKvS3_PT_iiiii.num_agpr, 0
	.set _ZL12mul_mat_q4_1IN3c108BFloat16ELb0EEvPKvS3_PT_iiiii.numbered_sgpr, 19
	.set _ZL12mul_mat_q4_1IN3c108BFloat16ELb0EEvPKvS3_PT_iiiii.num_named_barrier, 0
	.set _ZL12mul_mat_q4_1IN3c108BFloat16ELb0EEvPKvS3_PT_iiiii.private_seg_size, 0
	.set _ZL12mul_mat_q4_1IN3c108BFloat16ELb0EEvPKvS3_PT_iiiii.uses_vcc, 1
	.set _ZL12mul_mat_q4_1IN3c108BFloat16ELb0EEvPKvS3_PT_iiiii.uses_flat_scratch, 0
	.set _ZL12mul_mat_q4_1IN3c108BFloat16ELb0EEvPKvS3_PT_iiiii.has_dyn_sized_stack, 0
	.set _ZL12mul_mat_q4_1IN3c108BFloat16ELb0EEvPKvS3_PT_iiiii.has_recursion, 0
	.set _ZL12mul_mat_q4_1IN3c108BFloat16ELb0EEvPKvS3_PT_iiiii.has_indirect_call, 0
	.section	.AMDGPU.csdata,"",@progbits
; Kernel info:
; codeLenInByte = 11808
; TotalNumSgprs: 25
; NumVgprs: 251
; NumAgprs: 0
; TotalNumVgprs: 251
; ScratchSize: 0
; MemoryBound: 0
; FloatMode: 240
; IeeeMode: 1
; LDSByteSize: 30336 bytes/workgroup (compile time only)
; SGPRBlocks: 12
; VGPRBlocks: 31
; NumSGPRsForWavesPerEU: 102
; NumVGPRsForWavesPerEU: 251
; AccumOffset: 252
; Occupancy: 2
; WaveLimiterHint : 0
; COMPUTE_PGM_RSRC2:SCRATCH_EN: 0
; COMPUTE_PGM_RSRC2:USER_SGPR: 2
; COMPUTE_PGM_RSRC2:TRAP_HANDLER: 0
; COMPUTE_PGM_RSRC2:TGID_X_EN: 1
; COMPUTE_PGM_RSRC2:TGID_Y_EN: 1
; COMPUTE_PGM_RSRC2:TGID_Z_EN: 0
; COMPUTE_PGM_RSRC2:TIDIG_COMP_CNT: 1
; COMPUTE_PGM_RSRC3_GFX90A:ACCUM_OFFSET: 62
; COMPUTE_PGM_RSRC3_GFX90A:TG_SPLIT: 0
	.section	.text._ZL12mul_mat_q4_1IN3c108BFloat16ELb1EEvPKvS3_PT_iiiii,"axG",@progbits,_ZL12mul_mat_q4_1IN3c108BFloat16ELb1EEvPKvS3_PT_iiiii,comdat
	.globl	_ZL12mul_mat_q4_1IN3c108BFloat16ELb1EEvPKvS3_PT_iiiii ; -- Begin function _ZL12mul_mat_q4_1IN3c108BFloat16ELb1EEvPKvS3_PT_iiiii
	.p2align	8
	.type	_ZL12mul_mat_q4_1IN3c108BFloat16ELb1EEvPKvS3_PT_iiiii,@function
_ZL12mul_mat_q4_1IN3c108BFloat16ELb1EEvPKvS3_PT_iiiii: ; @_ZL12mul_mat_q4_1IN3c108BFloat16ELb1EEvPKvS3_PT_iiiii
; %bb.0:
	s_load_dwordx4 s[8:11], s[0:1], 0x18
	s_load_dword s14, s[0:1], 0x28
	s_lshl_b32 s15, s3, 6
	v_bfe_u32 v117, v0, 10, 10
	s_waitcnt lgkmcnt(0)
	s_cmp_gt_i32 s8, 31
	s_cbranch_scc1 .LBB160_4
; %bb.1:
	v_bfe_u32 v1, v0, 10, 10
	v_and_b32_e32 v81, 0x3ff, v0
	v_add_u32_e32 v85, s15, v1
	s_load_dwordx2 s[12:13], s[0:1], 0x10
	s_lshl_b32 s4, s2, 7
	s_cbranch_execz .LBB160_5
; %bb.2:
	v_mov_b32_e32 v56, 0
	v_mov_b32_e32 v57, v56
	v_mov_b64_e32 v[64:65], v[56:57]
	v_mov_b64_e32 v[72:73], v[56:57]
	;; [unrolled: 1-line block ×15, first 2 shown]
	v_cmp_gt_u32_e32 vcc, s10, v85
	s_and_saveexec_b64 s[0:1], vcc
	s_cbranch_execnz .LBB160_15
.LBB160_3:
	s_endpgm
.LBB160_4:
                                        ; implicit-def: $vgpr1
                                        ; implicit-def: $vgpr81
                                        ; implicit-def: $vgpr85
	s_load_dwordx2 s[12:13], s[0:1], 0x10
	s_lshl_b32 s4, s2, 7
.LBB160_5:
	s_ashr_i32 s5, s8, 31
	s_load_dwordx4 s[0:3], s[0:1], 0x0
	s_lshr_b32 s5, s5, 27
	s_ashr_i32 s6, s11, 31
	s_add_i32 s5, s8, s5
	s_lshr_b32 s6, s6, 27
	s_ashr_i32 s5, s5, 5
	s_add_i32 s6, s11, s6
	s_ashr_i32 s11, s6, 5
	s_mul_i32 s6, s5, s4
	s_mul_hi_i32 s7, s6, 20
	s_mul_i32 s6, s6, 20
	s_waitcnt lgkmcnt(0)
	s_add_u32 s6, s0, s6
	s_addc_u32 s7, s1, s7
	s_not_b32 s0, s4
	s_add_i32 s1, s9, s0
	v_add_u32_e32 v1, 64, v117
	v_min_i32_e32 v22, s1, v1
	v_add_u32_e32 v1, 0x48, v117
	v_min_i32_e32 v23, s1, v1
	;; [unrolled: 2-line block ×3, first 2 shown]
	v_add_u32_e32 v1, 0x58, v117
	v_and_b32_e32 v81, 0x3ff, v0
	v_add_u32_e32 v8, 8, v117
	v_min_i32_e32 v25, s1, v1
	v_add_u32_e32 v1, 0x60, v117
	v_lshlrev_b32_e32 v2, 2, v81
	v_min_i32_e32 v3, s1, v117
	s_movk_i32 s0, 0x84
	v_min_i32_e32 v9, s1, v8
	v_min_i32_e32 v26, s1, v1
	v_add_u32_e32 v1, 0x68, v117
	v_mad_u64_u32 v[86:87], s[8:9], v9, s0, v[2:3]
	v_min_i32_e32 v27, s1, v1
	v_add_u32_e32 v1, 0x70, v117
	v_min_i32_e32 v28, s1, v1
	v_add_u32_e32 v1, 0x78, v117
	v_bfe_u32 v87, v0, 3, 7
	v_min_i32_e32 v29, s1, v1
	v_lshl_add_u32 v1, v117, 2, v87
	v_min_i32_e32 v30, s1, v1
	v_add_u32_e32 v10, 16, v117
	v_add_u32_e32 v12, 24, v117
	v_add_u32_e32 v14, 32, v117
	v_add_u32_e32 v16, 40, v117
	v_add_u32_e32 v18, 48, v117
	v_add_u32_e32 v20, 56, v117
	v_ashrrev_i32_e32 v4, 31, v30
	v_min_i32_e32 v11, s1, v10
	v_min_i32_e32 v13, s1, v12
	;; [unrolled: 1-line block ×6, first 2 shown]
	v_lshrrev_b32_e32 v4, 30, v4
	v_mad_u64_u32 v[84:85], s[8:9], v3, s0, v[2:3]
	v_mad_u64_u32 v[88:89], s[8:9], v11, s0, v[2:3]
	;; [unrolled: 1-line block ×14, first 2 shown]
	v_and_b32_e32 v116, 7, v0
	v_add_u32_e32 v4, v30, v4
	v_and_b32_e32 v4, -4, v4
	v_lshlrev_b32_e32 v5, 2, v116
	s_movk_i32 s8, 0x6200
	v_add3_u32 v31, v4, v5, s8
	v_add_u32_e32 v4, 32, v1
	v_min_i32_e32 v33, s1, v4
	v_ashrrev_i32_e32 v4, 31, v33
	v_lshrrev_b32_e32 v4, 30, v4
	v_add_u32_e32 v4, v33, v4
	v_and_b32_e32 v4, -4, v4
	v_add3_u32 v34, v4, v5, s8
	v_add_u32_e32 v4, 64, v1
	v_add_u32_e32 v1, 0x60, v1
	v_bfe_u32 v80, v0, 2, 8
	v_min_i32_e32 v35, s1, v4
	v_min_i32_e32 v37, s1, v1
	v_and_b32_e32 v6, 31, v0
	v_mov_b32_e32 v7, 0x4200
	v_ashrrev_i32_e32 v4, 31, v35
	v_ashrrev_i32_e32 v1, 31, v37
	v_lshl_or_b32 v38, v6, 2, v7
	v_lshl_add_u32 v6, v117, 3, v80
	v_lshrrev_b32_e32 v4, 30, v4
	v_lshrrev_b32_e32 v1, 30, v1
	v_and_b32_e32 v7, 63, v6
	v_add_u32_e32 v4, v35, v4
	v_add_u32_e32 v1, v37, v1
	s_add_i32 s1, s10, -1
	v_or_b32_e32 v39, s15, v7
	v_and_b32_e32 v4, -4, v4
	v_and_b32_e32 v1, -4, v1
	v_and_b32_e32 v6, 3, v0
	v_min_i32_e32 v39, s1, v39
	v_add3_u32 v36, v4, v5, s8
	v_add3_u32 v1, v1, v5, s8
	v_add_u32_e32 v85, s15, v117
	v_mad_u64_u32 v[124:125], s[8:9], v39, s11, v[6:7]
	v_lshlrev_b32_e32 v6, 2, v6
	v_cvt_f64_i32_e32 v[4:5], s1
	v_lshl_or_b32 v39, v7, 4, v6
	v_cvt_f64_u32_e32 v[6:7], v85
	v_min_f64 v[6:7], v[6:7], v[4:5]
	v_cvt_i32_f64_e32 v40, v[6:7]
	v_add_u32_e32 v6, 8, v85
	v_cvt_f64_u32_e32 v[6:7], v6
	v_min_f64 v[6:7], v[6:7], v[4:5]
	v_cvt_i32_f64_e32 v41, v[6:7]
	v_add_u32_e32 v6, 16, v85
	;; [unrolled: 4-line block ×8, first 2 shown]
	v_add_u32_e32 v6, 64, v81
	v_add_u32_e32 v7, 0x60, v81
	v_lshlrev_b32_e32 v47, 5, v81
	v_and_b32_e32 v7, 0x1fc, v7
	v_and_b32_e32 v6, 0x1fc, v6
	;; [unrolled: 1-line block ×4, first 2 shown]
	v_add_u32_e32 v7, v47, v7
	v_add_u32_e32 v6, v47, v6
	;; [unrolled: 1-line block ×4, first 2 shown]
	v_lshlrev_b32_e32 v0, 5, v33
	v_mov_b32_e32 v83, 0
	v_add_u32_e32 v91, v34, v0
	v_lshlrev_b32_e32 v0, 5, v37
	v_add_u32_e32 v95, v1, v0
	v_and_b32_e32 v0, 28, v2
	v_mov_b32_e32 v1, v83
	v_lshlrev_b32_e32 v32, 5, v30
	v_mad_u64_u32 v[126:127], s[8:9], v29, s0, v[2:3]
	v_lshl_add_u64 v[128:129], s[2:3], 0, v[0:1]
	v_mov_b32_e32 v0, 0x7280
	v_and_b32_e32 v82, 12, v2
	v_add_u32_e32 v89, v31, v32
	v_lshlrev_b32_e32 v31, 5, v35
	v_lshlrev_b32_e32 v2, 7, v8
	;; [unrolled: 1-line block ×7, first 2 shown]
	v_mul_lo_u32 v115, s11, v4
	v_lshlrev_b32_e32 v4, 7, v20
	v_lshl_add_u32 v127, v117, 4, v0
	v_lshlrev_b32_e32 v0, 7, v117
	v_mov_b32_e32 v120, v83
	v_mov_b32_e32 v121, v83
	v_add_u32_e32 v93, v36, v31
	v_add_u32_e32 v97, 0x7280, v39
	s_add_i32 s8, s5, 3
	v_mul_lo_u32 v99, s11, v40
	v_mul_lo_u32 v101, s11, v41
	;; [unrolled: 1-line block ×7, first 2 shown]
	v_lshrrev_b32_e32 v125, 3, v5
	v_add_u32_e32 v131, v38, v2
	v_add_u32_e32 v133, v38, v8
	;; [unrolled: 1-line block ×17, first 2 shown]
	s_mov_b32 s9, 0
	v_mul_lo_u32 v130, v3, s5
	v_mul_lo_u32 v132, v9, s5
	;; [unrolled: 1-line block ×20, first 2 shown]
	v_mul_u32_u24_e32 v165, 0x84, v81
	v_mad_u32_u24 v167, v81, s0, 64
	v_mov_b64_e32 v[78:79], v[120:121]
	v_mov_b64_e32 v[70:71], v[120:121]
	;; [unrolled: 1-line block ×15, first 2 shown]
	s_branch .LBB160_7
.LBB160_6:                              ;   in Loop: Header=BB160_7 Depth=1
	s_add_i32 s9, s9, 8
	s_add_i32 s8, s8, -8
	s_cmp_ge_i32 s9, s5
	s_cbranch_scc1 .LBB160_14
.LBB160_7:                              ; =>This Loop Header: Depth=1
                                        ;     Child Loop BB160_9 Depth 2
                                        ;     Child Loop BB160_12 Depth 2
	s_mul_i32 s0, s9, 20
	s_mul_hi_u32 s1, s9, 20
	s_add_u32 s0, s6, s0
	s_addc_u32 s1, s7, s1
	v_mad_u64_u32 v[0:1], s[16:17], v80, 20, s[0:1]
	v_mad_i64_i32 v[2:3], s[16:17], v130, 20, v[0:1]
	v_lshl_add_u64 v[2:3], v[2:3], 0, v[82:83]
	global_load_dword v2, v[2:3], off offset:4
	s_cmp_gt_u32 s8, 3
	s_waitcnt vmcnt(0)
	ds_write_b32 v84, v2
	v_mad_i64_i32 v[2:3], s[16:17], v132, 20, v[0:1]
	v_lshl_add_u64 v[2:3], v[2:3], 0, v[82:83]
	global_load_dword v2, v[2:3], off offset:4
	s_waitcnt vmcnt(0)
	ds_write_b32 v86, v2
	v_mad_i64_i32 v[2:3], s[16:17], v134, 20, v[0:1]
	v_lshl_add_u64 v[2:3], v[2:3], 0, v[82:83]
	global_load_dword v2, v[2:3], off offset:4
	;; [unrolled: 5-line block ×13, first 2 shown]
	s_waitcnt vmcnt(0)
	ds_write_b32 v112, v2
	v_mad_i64_i32 v[2:3], s[16:17], v158, 20, v[0:1]
	v_mad_i64_i32 v[0:1], s[16:17], v160, 20, v[0:1]
	v_lshl_add_u64 v[2:3], v[2:3], 0, v[82:83]
	v_lshl_add_u64 v[0:1], v[0:1], 0, v[82:83]
	global_load_dword v2, v[2:3], off offset:4
	s_nop 0
	global_load_dword v0, v[0:1], off offset:4
	s_waitcnt vmcnt(1)
	ds_write_b32 v114, v2
	s_waitcnt vmcnt(0)
	ds_write_b32 v126, v0
	v_mad_u64_u32 v[0:1], s[0:1], v116, 20, s[0:1]
	v_mad_i64_i32 v[2:3], s[0:1], v162, 20, v[0:1]
	global_load_dword v2, v[2:3], off
	s_waitcnt vmcnt(0)
	ds_write_b32 v89, v2
	v_mad_i64_i32 v[2:3], s[0:1], v164, 20, v[0:1]
	global_load_dword v2, v[2:3], off
	s_waitcnt vmcnt(0)
	ds_write_b32 v91, v2
	v_mad_i64_i32 v[2:3], s[0:1], v166, 20, v[0:1]
	v_mad_i64_i32 v[0:1], s[0:1], v168, 20, v[0:1]
	global_load_dword v2, v[2:3], off
	s_nop 0
	global_load_dword v0, v[0:1], off
	s_waitcnt vmcnt(1)
	ds_write_b32 v93, v2
	s_waitcnt vmcnt(0)
	ds_write_b32 v95, v0
	s_cbranch_scc0 .LBB160_6
; %bb.8:                                ;   in Loop: Header=BB160_7 Depth=1
	v_add_u32_e32 v2, s9, v87
	v_add_u32_e32 v0, v2, v99
	v_mad_i64_i32 v[0:1], s[0:1], v0, 36, v[128:129]
	global_load_dword v0, v[0:1], off offset:4
	v_add_u32_e32 v169, s9, v124
	v_mov_b32_e32 v186, v147
	v_mov_b32_e32 v187, v127
	;; [unrolled: 1-line block ×7, first 2 shown]
	s_waitcnt vmcnt(0)
	ds_write_b32 v145, v0
	v_add_u32_e32 v0, v2, v101
	v_mad_i64_i32 v[0:1], s[0:1], v0, 36, v[128:129]
	global_load_dword v0, v[0:1], off offset:4
	s_waitcnt vmcnt(0)
	ds_write_b32 v131, v0
	v_add_u32_e32 v0, v2, v103
	v_mad_i64_i32 v[0:1], s[0:1], v0, 36, v[128:129]
	global_load_dword v0, v[0:1], off offset:4
	;; [unrolled: 5-line block ×7, first 2 shown]
	s_waitcnt vmcnt(0)
	ds_write_b32 v143, v0
	v_mad_u64_u32 v[0:1], s[0:1], v169, 36, s[2:3]
	global_load_dword v0, v[0:1], off
	s_mov_b32 s0, -4
	s_waitcnt vmcnt(0)
	ds_write_b32 v97, v0
	s_waitcnt lgkmcnt(0)
	s_barrier
.LBB160_9:                              ;   Parent Loop BB160_7 Depth=1
                                        ; =>  This Inner Loop Header: Depth=2
	ds_read_b128 v[40:43], v186
	ds_read_b128 v[0:3], v186 offset:16
	ds_read2_b32 v[170:171], v192 offset0:2 offset1:3
	v_add_u32_e32 v172, 0x1080, v192
	v_add_u32_e32 v173, 0x1088, v192
	;; [unrolled: 1-line block ×5, first 2 shown]
	ds_read2_b32 v[178:179], v192 offset1:1
	ds_read_b32 v180, v191
	v_add_u32_e32 v177, 0x3188, v192
	ds_read_b128 v[28:31], v186 offset:1024
	ds_read_b128 v[8:11], v186 offset:1040
	;; [unrolled: 1-line block ×12, first 2 shown]
	ds_read2_b32 v[184:185], v172 offset1:1
	ds_read2_b32 v[172:173], v173 offset1:1
	;; [unrolled: 1-line block ×6, first 2 shown]
	s_waitcnt lgkmcnt(14)
	v_and_b32_e32 v181, 0xf0f0f0f, v179
	v_lshrrev_b32_e32 v179, 4, v179
	v_lshrrev_b32_e32 v220, 4, v170
	v_mov_b32_e32 v193, 0
	v_mov_b32_e32 v194, 0
	;; [unrolled: 1-line block ×4, first 2 shown]
	v_and_b32_e32 v237, 0xf0f0f0f, v178
	v_lshrrev_b32_e32 v182, 4, v178
	v_and_b32_e32 v183, 0xf0f0f0f, v179
	v_and_b32_e32 v179, 0xf0f0f0f, v220
	s_waitcnt lgkmcnt(5)
	v_and_b32_e32 v224, 0xf0f0f0f, v184
	v_lshrrev_b32_e32 v220, 4, v184
	s_waitcnt lgkmcnt(3)
	v_and_b32_e32 v227, 0xf0f0f0f, v218
	v_lshrrev_b32_e32 v218, 4, v218
	;; [unrolled: 3-line block ×3, first 2 shown]
	v_and_b32_e32 v223, 0xf0f0f0f, v182
	v_dot4c_i32_i8_e32 v193, v237, v40
	v_and_b32_e32 v233, 0xf0f0f0f, v220
	v_dot4c_i32_i8_e32 v194, v224, v40
	;; [unrolled: 2-line block ×4, first 2 shown]
	v_mov_b32_e32 v197, 0
	v_mov_b32_e32 v198, 0
	;; [unrolled: 1-line block ×4, first 2 shown]
	v_and_b32_e32 v184, 0xf0f0f0f, v185
	v_lshrrev_b32_e32 v225, 4, v185
	v_lshrrev_b32_e32 v232, 4, v172
	v_and_b32_e32 v221, 0xf0f0f0f, v219
	v_lshrrev_b32_e32 v219, 4, v219
	v_lshrrev_b32_e32 v234, 4, v174
	v_and_b32_e32 v226, 0xf0f0f0f, v229
	v_lshrrev_b32_e32 v229, 4, v229
	v_dot4c_i32_i8_e32 v193, v223, v0
	v_dot4c_i32_i8_e32 v194, v233, v0
	;; [unrolled: 1-line block ×4, first 2 shown]
	v_and_b32_e32 v230, 0xf0f0f0f, v225
	v_and_b32_e32 v225, 0xf0f0f0f, v232
	;; [unrolled: 1-line block ×5, first 2 shown]
	v_dot4c_i32_i8_e32 v193, v181, v41
	v_dot4c_i32_i8_e32 v194, v184, v41
	;; [unrolled: 1-line block ×8, first 2 shown]
	v_and_b32_e32 v178, 0xf0f0f0f, v170
	v_and_b32_e32 v182, 0xf0f0f0f, v172
	;; [unrolled: 1-line block ×3, first 2 shown]
	s_waitcnt lgkmcnt(0)
	v_and_b32_e32 v222, 0xf0f0f0f, v176
	v_lshrrev_b32_e32 v238, 4, v176
	v_dot4c_i32_i8_e32 v193, v183, v1
	v_dot4c_i32_i8_e32 v194, v230, v1
	;; [unrolled: 1-line block ×8, first 2 shown]
	v_mov_b32_e32 v201, 0
	v_mov_b32_e32 v202, 0
	;; [unrolled: 1-line block ×8, first 2 shown]
	v_and_b32_e32 v229, 0xf0f0f0f, v238
	v_dot4c_i32_i8_e32 v193, v178, v42
	v_dot4c_i32_i8_e32 v194, v182, v42
	;; [unrolled: 1-line block ×12, first 2 shown]
	ds_read_b32 v2, v188
	v_dot4c_i32_i8_e32 v197, v183, v9
	v_dot4c_i32_i8_e32 v198, v230, v9
	;; [unrolled: 1-line block ×4, first 2 shown]
	ds_read_b32 v8, v189
	ds_read_b32 v9, v190
	ds_read2_b32 v[0:1], v187 offset1:32
	v_dot4c_i32_i8_e32 v201, v237, v32
	v_dot4c_i32_i8_e32 v202, v224, v32
	;; [unrolled: 1-line block ×32, first 2 shown]
	v_mov_b32_e32 v209, 0
	v_mov_b32_e32 v210, 0
	;; [unrolled: 1-line block ×4, first 2 shown]
	v_dot4c_i32_i8_e32 v197, v178, v30
	v_dot4c_i32_i8_e32 v198, v182, v30
	;; [unrolled: 1-line block ×12, first 2 shown]
	v_mov_b32_e32 v213, 0
	v_mov_b32_e32 v214, 0
	;; [unrolled: 1-line block ×4, first 2 shown]
	v_dot4c_i32_i8_e32 v197, v179, v10
	v_dot4c_i32_i8_e32 v198, v225, v10
	;; [unrolled: 1-line block ×8, first 2 shown]
	s_waitcnt lgkmcnt(0)
	v_pk_mul_f16 v10, v0, v2
	v_pk_mul_f16 v20, v0, v8
	;; [unrolled: 1-line block ×4, first 2 shown]
	v_dot4c_i32_i8_e32 v205, v179, v18
	v_dot4c_i32_i8_e32 v206, v225, v18
	;; [unrolled: 1-line block ×4, first 2 shown]
	v_pk_mul_f16 v16, v2, v1
	v_pk_mul_f16 v18, v8, v1
	;; [unrolled: 1-line block ×4, first 2 shown]
	ds_read2_b32 v[0:1], v187 offset0:64 offset1:96
	v_dot4c_i32_i8_e32 v209, v237, v44
	v_dot4c_i32_i8_e32 v210, v224, v44
	;; [unrolled: 1-line block ×12, first 2 shown]
	v_mov_b32_e32 v217, 0
	v_mov_b32_e32 v218, 0
	;; [unrolled: 1-line block ×4, first 2 shown]
	v_dot4c_i32_i8_e32 v209, v181, v45
	v_dot4c_i32_i8_e32 v210, v184, v45
	;; [unrolled: 1-line block ×20, first 2 shown]
	v_and_b32_e32 v170, 0xf0f0f0f, v171
	v_and_b32_e32 v172, 0xf0f0f0f, v173
	;; [unrolled: 1-line block ×4, first 2 shown]
	v_dot4c_i32_i8_e32 v209, v178, v46
	v_dot4c_i32_i8_e32 v210, v182, v46
	;; [unrolled: 1-line block ×24, first 2 shown]
	s_waitcnt lgkmcnt(0)
	v_pk_mul_f16 v30, v2, v0
	v_pk_mul_f16 v31, v8, v0
	v_dot4c_i32_i8_e32 v213, v178, v50
	v_dot4c_i32_i8_e32 v214, v182, v50
	;; [unrolled: 1-line block ×4, first 2 shown]
	v_pk_mul_f16 v36, v8, v1
	v_dot4c_i32_i8_e32 v217, v181, v53
	v_dot4c_i32_i8_e32 v218, v184, v53
	;; [unrolled: 1-line block ×4, first 2 shown]
	ds_read_b128 v[42:45], v186 offset:7168
	v_dot4c_i32_i8_e32 v201, v170, v35
	v_dot4c_i32_i8_e32 v202, v172, v35
	;; [unrolled: 1-line block ×8, first 2 shown]
	v_pk_mul_f16 v46, v9, v0
	v_pk_mul_f16 v238, v180, v0
	v_dot4c_i32_i8_e32 v213, v179, v14
	v_dot4c_i32_i8_e32 v214, v225, v14
	;; [unrolled: 1-line block ×4, first 2 shown]
	v_pk_mul_f16 v14, v2, v1
	v_pk_mul_f16 v47, v9, v1
	;; [unrolled: 1-line block ×3, first 2 shown]
	ds_read2_b32 v[0:1], v187 offset0:128 offset1:160
	v_dot4c_i32_i8_e32 v217, v183, v25
	v_dot4c_i32_i8_e32 v218, v230, v25
	;; [unrolled: 1-line block ×4, first 2 shown]
	v_cvt_f32_f16_e32 v25, v29
	v_cvt_f32_f16_e32 v24, v28
	v_cvt_f32_f16_sdwa v33, v29 dst_sel:DWORD dst_unused:UNUSED_PAD src0_sel:WORD_1
	v_cvt_f32_f16_sdwa v32, v28 dst_sel:DWORD dst_unused:UNUSED_PAD src0_sel:WORD_1
	v_cvt_f32_f16_e32 v38, v30
	v_cvt_f32_f16_sdwa v40, v30 dst_sel:DWORD dst_unused:UNUSED_PAD src0_sel:WORD_1
	v_cvt_f32_f16_e32 v35, v36
	v_cvt_f32_f16_e32 v34, v31
	v_cvt_f32_f16_sdwa v37, v36 dst_sel:DWORD dst_unused:UNUSED_PAD src0_sel:WORD_1
	v_cvt_f32_f16_sdwa v36, v31 dst_sel:DWORD dst_unused:UNUSED_PAD src0_sel:WORD_1
	ds_read_b128 v[28:31], v186 offset:7184
	v_mov_b32_e32 v6, 0
	v_dot4c_i32_i8_e32 v217, v178, v54
	v_dot4c_i32_i8_e32 v218, v182, v54
	;; [unrolled: 1-line block ×4, first 2 shown]
	s_waitcnt lgkmcnt(2)
	v_dot4c_i32_i8_e32 v6, v237, v42
	v_dot4c_i32_i8_e32 v205, v170, v39
	;; [unrolled: 1-line block ×13, first 2 shown]
	s_waitcnt lgkmcnt(1)
	v_pk_mul_f16 v50, v2, v0
	v_pk_mul_f16 v52, v8, v0
	;; [unrolled: 1-line block ×8, first 2 shown]
	ds_read2_b32 v[0:1], v187 offset0:192 offset1:224
	v_cvt_f32_f16_e32 v39, v14
	v_cvt_f32_f16_sdwa v41, v14 dst_sel:DWORD dst_unused:UNUSED_PAD src0_sel:WORD_1
	s_waitcnt lgkmcnt(1)
	v_dot4c_i32_i8_e32 v6, v223, v28
	v_mov_b32_e32 v14, 0
	v_mov_b32_e32 v26, 0
	v_mov_b32_e32 v223, 0
	v_dot4c_i32_i8_e32 v14, v224, v42
	v_dot4c_i32_i8_e32 v26, v227, v42
	;; [unrolled: 1-line block ×15, first 2 shown]
	s_waitcnt lgkmcnt(0)
	v_pk_mul_f16 v243, v2, v0
	v_pk_mul_f16 v244, v2, v1
	v_lshrrev_b32_e32 v2, 4, v171
	v_dot4c_i32_i8_e32 v6, v179, v30
	v_dot4c_i32_i8_e32 v14, v182, v44
	;; [unrolled: 1-line block ×8, first 2 shown]
	v_lshrrev_b32_e32 v54, 4, v173
	v_lshrrev_b32_e32 v55, 4, v175
	;; [unrolled: 1-line block ×3, first 2 shown]
	v_dot4c_i32_i8_e32 v6, v170, v45
	v_dot4c_i32_i8_e32 v14, v225, v30
	v_dot4c_i32_i8_e32 v26, v228, v30
	v_dot4c_i32_i8_e32 v223, v229, v30
	v_and_b32_e32 v224, 0xf0f0f0f, v2
	v_dot4c_i32_i8_e32 v14, v172, v45
	v_dot4c_i32_i8_e32 v26, v174, v45
	;; [unrolled: 1-line block ×3, first 2 shown]
	v_and_b32_e32 v30, 0xf0f0f0f, v54
	v_and_b32_e32 v221, 0xf0f0f0f, v55
	;; [unrolled: 1-line block ×3, first 2 shown]
	v_dot4c_i32_i8_e32 v193, v224, v3
	v_dot4c_i32_i8_e32 v197, v224, v11
	;; [unrolled: 1-line block ×6, first 2 shown]
	v_pk_mul_f16 v245, v8, v0
	v_pk_mul_f16 v246, v8, v1
	;; [unrolled: 1-line block ×6, first 2 shown]
	v_cvt_f32_f16_e32 v5, v16
	v_cvt_f32_f16_e32 v4, v10
	v_cvt_f32_f16_sdwa v17, v16 dst_sel:DWORD dst_unused:UNUSED_PAD src0_sel:WORD_1
	v_cvt_f32_f16_sdwa v16, v10 dst_sel:DWORD dst_unused:UNUSED_PAD src0_sel:WORD_1
	v_dot4c_i32_i8_e32 v194, v30, v3
	v_dot4c_i32_i8_e32 v195, v221, v3
	;; [unrolled: 1-line block ×6, first 2 shown]
	v_cvt_f32_f16_e32 v181, v244
	v_cvt_f32_f16_e32 v180, v243
	v_cvt_f32_f16_sdwa v183, v244 dst_sel:DWORD dst_unused:UNUSED_PAD src0_sel:WORD_1
	v_cvt_f32_f16_sdwa v182, v243 dst_sel:DWORD dst_unused:UNUSED_PAD src0_sel:WORD_1
	v_dot4c_i32_i8_e32 v202, v30, v23
	v_dot4c_i32_i8_e32 v203, v221, v23
	;; [unrolled: 1-line block ×20, first 2 shown]
	v_cvt_f32_i32_e32 v31, v197
	v_cvt_f32_i32_e32 v30, v193
	;; [unrolled: 1-line block ×6, first 2 shown]
	v_cvt_f32_f16_e32 v1, v18
	v_cvt_f32_f16_e32 v0, v20
	v_cvt_f32_f16_sdwa v9, v18 dst_sel:DWORD dst_unused:UNUSED_PAD src0_sel:WORD_1
	v_cvt_f32_f16_sdwa v8, v20 dst_sel:DWORD dst_unused:UNUSED_PAD src0_sel:WORD_1
	v_cvt_f32_f16_e32 v13, v21
	v_cvt_f32_f16_e32 v12, v22
	v_cvt_f32_f16_sdwa v21, v21 dst_sel:DWORD dst_unused:UNUSED_PAD src0_sel:WORD_1
	v_cvt_f32_f16_sdwa v20, v22 dst_sel:DWORD dst_unused:UNUSED_PAD src0_sel:WORD_1
	;; [unrolled: 4-line block ×11, first 2 shown]
	v_cvt_f32_i32_e32 v227, v213
	v_cvt_f32_i32_e32 v226, v209
	;; [unrolled: 1-line block ×26, first 2 shown]
	v_pk_fma_f32 v[4:5], v[4:5], v[30:31], v[16:17]
	v_pk_fma_f32 v[16:17], v[224:225], v[38:39], v[40:41]
	;; [unrolled: 1-line block ×3, first 2 shown]
	s_add_i32 s0, s0, 4
	v_pk_fma_f32 v[30:31], v[226:227], v[48:49], v[50:51]
	v_pk_add_f32 v[120:121], v[120:121], v[4:5]
	v_pk_fma_f32 v[0:1], v[0:1], v[228:229], v[8:9]
	v_pk_fma_f32 v[4:5], v[12:13], v[198:199], v[20:21]
	;; [unrolled: 1-line block ×3, first 2 shown]
	v_pk_add_f32 v[78:79], v[78:79], v[16:17]
	v_pk_fma_f32 v[12:13], v[196:197], v[34:35], v[36:37]
	v_pk_fma_f32 v[16:17], v[200:201], v[28:29], v[42:43]
	;; [unrolled: 1-line block ×6, first 2 shown]
	v_pk_add_f32 v[62:63], v[62:63], v[6:7]
	v_pk_fma_f32 v[6:7], v[14:15], v[22:23], v[174:175]
	v_pk_fma_f32 v[14:15], v[26:27], v[176:177], v[178:179]
	;; [unrolled: 1-line block ×3, first 2 shown]
	v_add_u32_e32 v192, 16, v192
	v_add_u32_e32 v191, 4, v191
	;; [unrolled: 1-line block ×7, first 2 shown]
	s_cmp_lt_u32 s0, 12
	v_pk_add_f32 v[70:71], v[70:71], v[30:31]
	v_pk_add_f32 v[122:123], v[122:123], v[0:1]
	;; [unrolled: 1-line block ×13, first 2 shown]
	s_cbranch_scc1 .LBB160_9
; %bb.10:                               ;   in Loop: Header=BB160_7 Depth=1
	s_and_b32 s0, s8, -4
	s_cmp_eq_u32 s0, 4
	s_barrier
	s_cbranch_scc1 .LBB160_6
; %bb.11:                               ;   in Loop: Header=BB160_7 Depth=1
	v_add_u32_e32 v14, s9, v125
	v_add_u32_e32 v0, v14, v99
	;; [unrolled: 1-line block ×6, first 2 shown]
	v_mad_i64_i32 v[0:1], s[0:1], v0, 36, v[128:129]
	v_mad_i64_i32 v[2:3], s[0:1], v2, 36, v[128:129]
	v_mad_i64_i32 v[4:5], s[0:1], v4, 36, v[128:129]
	v_mad_i64_i32 v[6:7], s[0:1], v6, 36, v[128:129]
	v_add_u32_e32 v8, v14, v107
	v_add_u32_e32 v10, v14, v109
	v_add_u32_e32 v12, v14, v113
	v_add_u32_e32 v14, v14, v115
	v_mad_u64_u32 v[16:17], s[0:1], v16, 36, s[2:3]
	v_mad_i64_i32 v[8:9], s[0:1], v8, 36, v[128:129]
	v_mad_i64_i32 v[10:11], s[0:1], v10, 36, v[128:129]
	;; [unrolled: 1-line block ×4, first 2 shown]
	global_load_dword v16, v[16:17], off
	s_nop 0
	global_load_dword v0, v[0:1], off offset:4
	s_nop 0
	global_load_dword v1, v[2:3], off offset:4
	;; [unrolled: 2-line block ×3, first 2 shown]
	global_load_dword v3, v[6:7], off offset:4
	s_nop 0
	global_load_dword v4, v[8:9], off offset:4
	global_load_dword v5, v[10:11], off offset:4
                                        ; kill: killed $vgpr8_vgpr9
                                        ; kill: killed $vgpr10_vgpr11
	global_load_dword v6, v[12:13], off offset:4
	global_load_dword v7, v[14:15], off offset:4
	s_mov_b32 s0, 12
	v_mov_b32_e32 v10, v127
	v_mov_b32_e32 v11, v147
	;; [unrolled: 1-line block ×6, first 2 shown]
	s_waitcnt vmcnt(8)
	ds_write_b32 v97, v16
	s_waitcnt vmcnt(7)
	ds_write_b32 v145, v0
	;; [unrolled: 2-line block ×9, first 2 shown]
	v_mov_b32_e32 v16, v167
	s_waitcnt lgkmcnt(0)
	s_barrier
.LBB160_12:                             ;   Parent Loop BB160_7 Depth=1
                                        ; =>  This Inner Loop Header: Depth=2
	ds_read_b128 v[0:3], v11
	ds_read_b128 v[4:7], v11 offset:16
	ds_read2_b32 v[8:9], v10 offset1:32
	ds_read_b32 v17, v12
	ds_read2_b32 v[22:23], v16 offset1:1
	ds_read2_b32 v[24:25], v16 offset0:2 offset1:3
	v_add_u32_e32 v36, 0x2108, v16
	v_add_u32_e32 v41, 0x3180, v16
	v_mov_b32_e32 v53, 0
	s_waitcnt lgkmcnt(1)
	v_lshrrev_b32_e32 v20, 4, v23
	v_and_b32_e32 v18, 0xf0f0f0f, v22
	v_lshrrev_b32_e32 v19, 4, v22
	v_and_b32_e32 v22, 0xf0f0f0f, v20
	s_waitcnt lgkmcnt(0)
	v_lshrrev_b32_e32 v20, 4, v24
	v_and_b32_e32 v31, 0xf0f0f0f, v20
	v_lshrrev_b32_e32 v20, 4, v25
	v_and_b32_e32 v21, 0xf0f0f0f, v23
	v_and_b32_e32 v30, 0xf0f0f0f, v24
	;; [unrolled: 1-line block ×4, first 2 shown]
	v_add_u32_e32 v23, 0x1080, v16
	ds_read_b32 v20, v13
	ds_read2_b32 v[24:25], v23 offset1:1
	v_mov_b32_e32 v174, 0
	v_mov_b32_e32 v176, 0
	;; [unrolled: 1-line block ×3, first 2 shown]
	v_and_b32_e32 v19, 0xf0f0f0f, v19
	s_waitcnt lgkmcnt(0)
	v_and_b32_e32 v26, 0xf0f0f0f, v25
	v_lshrrev_b32_e32 v25, 4, v25
	v_and_b32_e32 v27, 0xf0f0f0f, v25
	v_add_u32_e32 v25, 0x1088, v16
	ds_read2_b32 v[28:29], v25 offset1:1
	v_and_b32_e32 v23, 0xf0f0f0f, v24
	v_lshrrev_b32_e32 v24, 4, v24
	v_dot4c_i32_i8_e32 v53, v18, v0
	v_and_b32_e32 v24, 0xf0f0f0f, v24
	s_waitcnt lgkmcnt(0)
	v_lshrrev_b32_e32 v25, 4, v28
	v_and_b32_e32 v38, 0xf0f0f0f, v25
	v_lshrrev_b32_e32 v25, 4, v29
	v_and_b32_e32 v37, 0xf0f0f0f, v28
	v_and_b32_e32 v40, 0xf0f0f0f, v25
	v_add_u32_e32 v28, 0x2100, v16
	ds_read_b32 v25, v14
	ds_read2_b32 v[34:35], v28 offset1:1
	ds_read2_b32 v[48:49], v36 offset1:1
	v_and_b32_e32 v39, 0xf0f0f0f, v29
	v_dot4c_i32_i8_e32 v174, v23, v0
	v_dot4c_i32_i8_e32 v53, v19, v4
	s_waitcnt lgkmcnt(1)
	v_and_b32_e32 v28, 0xf0f0f0f, v34
	s_waitcnt lgkmcnt(0)
	v_lshrrev_b32_e32 v36, 4, v48
	v_and_b32_e32 v45, 0xf0f0f0f, v36
	v_lshrrev_b32_e32 v36, 4, v49
	v_and_b32_e32 v43, 0xf0f0f0f, v48
	v_and_b32_e32 v48, 0xf0f0f0f, v36
	ds_read_b32 v36, v15
	ds_read2_b32 v[50:51], v41 offset1:1
	v_lshrrev_b32_e32 v29, 4, v34
	v_and_b32_e32 v29, 0xf0f0f0f, v29
	v_dot4c_i32_i8_e32 v176, v28, v0
	v_dot4c_i32_i8_e32 v174, v24, v4
	s_waitcnt lgkmcnt(0)
	v_and_b32_e32 v41, 0xf0f0f0f, v50
	v_lshrrev_b32_e32 v42, 4, v50
	v_and_b32_e32 v42, 0xf0f0f0f, v42
	v_dot4c_i32_i8_e32 v178, v41, v0
	v_lshrrev_b32_e32 v0, 4, v51
	v_dot4c_i32_i8_e32 v176, v29, v4
	v_and_b32_e32 v34, 0xf0f0f0f, v35
	v_dot4c_i32_i8_e32 v178, v42, v4
	v_and_b32_e32 v44, 0xf0f0f0f, v51
	v_and_b32_e32 v46, 0xf0f0f0f, v0
	v_add_u32_e32 v0, 0x3188, v16
	v_dot4c_i32_i8_e32 v53, v21, v1
	v_dot4c_i32_i8_e32 v174, v26, v1
	v_dot4c_i32_i8_e32 v176, v34, v1
	v_dot4c_i32_i8_e32 v178, v44, v1
	ds_read2_b32 v[0:1], v0 offset1:1
	v_lshrrev_b32_e32 v35, 4, v35
	v_and_b32_e32 v35, 0xf0f0f0f, v35
	v_dot4c_i32_i8_e32 v53, v22, v5
	v_dot4c_i32_i8_e32 v174, v27, v5
	;; [unrolled: 1-line block ×3, first 2 shown]
	v_and_b32_e32 v47, 0xf0f0f0f, v49
	v_dot4c_i32_i8_e32 v178, v46, v5
	s_waitcnt lgkmcnt(0)
	v_and_b32_e32 v49, 0xf0f0f0f, v0
	v_lshrrev_b32_e32 v0, 4, v0
	v_dot4c_i32_i8_e32 v53, v30, v2
	v_dot4c_i32_i8_e32 v174, v37, v2
	;; [unrolled: 1-line block ×3, first 2 shown]
	v_and_b32_e32 v50, 0xf0f0f0f, v0
	v_dot4c_i32_i8_e32 v178, v49, v2
	v_dot4c_i32_i8_e32 v53, v31, v6
	;; [unrolled: 1-line block ×5, first 2 shown]
	v_and_b32_e32 v51, 0xf0f0f0f, v1
	v_lshrrev_b32_e32 v0, 4, v1
	v_dot4c_i32_i8_e32 v53, v32, v3
	v_dot4c_i32_i8_e32 v174, v39, v3
	;; [unrolled: 1-line block ×3, first 2 shown]
	v_and_b32_e32 v52, 0xf0f0f0f, v0
	v_dot4c_i32_i8_e32 v178, v51, v3
	v_dot4c_i32_i8_e32 v53, v33, v7
	;; [unrolled: 1-line block ×5, first 2 shown]
	ds_read_b128 v[0:3], v11 offset:1024
	ds_read_b128 v[4:7], v11 offset:1040
	v_mov_b32_e32 v172, 0
	v_pk_mul_f16 v169, v8, v17
	v_pk_mul_f16 v170, v17, v9
	s_waitcnt lgkmcnt(1)
	v_dot4c_i32_i8_e32 v172, v18, v0
	s_waitcnt lgkmcnt(0)
	v_dot4c_i32_i8_e32 v172, v19, v4
	v_dot4c_i32_i8_e32 v172, v21, v1
	;; [unrolled: 1-line block ×7, first 2 shown]
	v_cvt_f32_f16_e32 v55, v170
	v_cvt_f32_f16_e32 v54, v169
	v_cvt_f32_f16_sdwa v171, v170 dst_sel:DWORD dst_unused:UNUSED_PAD src0_sel:WORD_1
	v_cvt_f32_i32_e32 v173, v172
	v_cvt_f32_i32_e32 v172, v53
	v_mov_b32_e32 v53, 0
	v_dot4c_i32_i8_e32 v53, v23, v0
	v_dot4c_i32_i8_e32 v53, v24, v4
	;; [unrolled: 1-line block ×4, first 2 shown]
	v_cvt_f32_f16_sdwa v170, v169 dst_sel:DWORD dst_unused:UNUSED_PAD src0_sel:WORD_1
	v_dot4c_i32_i8_e32 v53, v37, v2
	v_dot4c_i32_i8_e32 v53, v38, v6
	;; [unrolled: 1-line block ×4, first 2 shown]
	v_pk_fma_f32 v[54:55], v[54:55], v[172:173], v[170:171]
	v_pk_mul_f16 v175, v8, v20
	v_pk_mul_f16 v169, v20, v9
	v_cvt_f32_i32_e32 v173, v53
	v_mov_b32_e32 v53, 0
	v_dot4c_i32_i8_e32 v53, v28, v0
	v_dot4c_i32_i8_e32 v53, v29, v4
	;; [unrolled: 1-line block ×4, first 2 shown]
	v_pk_add_f32 v[120:121], v[120:121], v[54:55]
	v_cvt_f32_f16_e32 v55, v169
	v_cvt_f32_f16_e32 v54, v175
	v_cvt_f32_f16_sdwa v171, v169 dst_sel:DWORD dst_unused:UNUSED_PAD src0_sel:WORD_1
	v_cvt_f32_f16_sdwa v170, v175 dst_sel:DWORD dst_unused:UNUSED_PAD src0_sel:WORD_1
	v_cvt_f32_i32_e32 v172, v174
	v_dot4c_i32_i8_e32 v53, v43, v2
	v_dot4c_i32_i8_e32 v53, v45, v6
	;; [unrolled: 1-line block ×4, first 2 shown]
	v_pk_fma_f32 v[54:55], v[54:55], v[172:173], v[170:171]
	v_pk_mul_f16 v177, v8, v25
	v_pk_mul_f16 v8, v8, v36
	v_cvt_f32_i32_e32 v173, v53
	v_mov_b32_e32 v53, 0
	v_dot4c_i32_i8_e32 v53, v41, v0
	v_dot4c_i32_i8_e32 v53, v42, v4
	;; [unrolled: 1-line block ×8, first 2 shown]
	v_pk_mul_f16 v2, v36, v9
	v_cvt_f32_f16_e32 v0, v8
	v_cvt_f32_f16_e32 v1, v2
	v_cvt_f32_f16_sdwa v3, v2 dst_sel:DWORD dst_unused:UNUSED_PAD src0_sel:WORD_1
	v_cvt_f32_f16_sdwa v2, v8 dst_sel:DWORD dst_unused:UNUSED_PAD src0_sel:WORD_1
	v_cvt_f32_i32_e32 v5, v53
	v_cvt_f32_i32_e32 v4, v178
	v_pk_mul_f16 v169, v25, v9
	v_cvt_f32_i32_e32 v172, v176
	v_mov_b32_e32 v53, 0
	v_pk_fma_f32 v[0:1], v[0:1], v[4:5], v[2:3]
	v_mov_b32_e32 v174, 0
	v_pk_add_f32 v[110:111], v[110:111], v[0:1]
	ds_read_b128 v[0:3], v11 offset:2048
	ds_read_b128 v[4:7], v11 offset:2064
	ds_read2_b32 v[8:9], v10 offset0:64 offset1:96
	v_mov_b32_e32 v176, 0
	v_mov_b32_e32 v178, 0
	s_waitcnt lgkmcnt(2)
	v_dot4c_i32_i8_e32 v53, v18, v0
	v_dot4c_i32_i8_e32 v174, v23, v0
	;; [unrolled: 1-line block ×4, first 2 shown]
	s_waitcnt lgkmcnt(1)
	v_dot4c_i32_i8_e32 v53, v19, v4
	v_dot4c_i32_i8_e32 v174, v24, v4
	;; [unrolled: 1-line block ×20, first 2 shown]
	v_pk_add_f32 v[122:123], v[122:123], v[54:55]
	v_cvt_f32_f16_e32 v55, v169
	v_cvt_f32_f16_e32 v54, v177
	v_cvt_f32_f16_sdwa v171, v169 dst_sel:DWORD dst_unused:UNUSED_PAD src0_sel:WORD_1
	v_cvt_f32_f16_sdwa v170, v177 dst_sel:DWORD dst_unused:UNUSED_PAD src0_sel:WORD_1
	v_dot4c_i32_i8_e32 v53, v32, v3
	v_dot4c_i32_i8_e32 v174, v39, v3
	;; [unrolled: 1-line block ×8, first 2 shown]
	ds_read_b128 v[0:3], v11 offset:3072
	ds_read_b128 v[4:7], v11 offset:3088
	v_pk_fma_f32 v[54:55], v[54:55], v[172:173], v[170:171]
	v_mov_b32_e32 v172, 0
	s_waitcnt lgkmcnt(2)
	v_pk_mul_f16 v169, v17, v8
	s_waitcnt lgkmcnt(1)
	v_dot4c_i32_i8_e32 v172, v18, v0
	s_waitcnt lgkmcnt(0)
	v_dot4c_i32_i8_e32 v172, v19, v4
	v_dot4c_i32_i8_e32 v172, v21, v1
	;; [unrolled: 1-line block ×7, first 2 shown]
	v_pk_mul_f16 v170, v17, v9
	v_pk_add_f32 v[118:119], v[118:119], v[54:55]
	v_cvt_f32_f16_e32 v55, v170
	v_cvt_f32_i32_e32 v173, v172
	v_cvt_f32_i32_e32 v172, v53
	v_mov_b32_e32 v53, 0
	v_dot4c_i32_i8_e32 v53, v23, v0
	v_dot4c_i32_i8_e32 v53, v24, v4
	;; [unrolled: 1-line block ×4, first 2 shown]
	v_cvt_f32_f16_e32 v54, v169
	v_cvt_f32_f16_sdwa v171, v170 dst_sel:DWORD dst_unused:UNUSED_PAD src0_sel:WORD_1
	v_cvt_f32_f16_sdwa v170, v169 dst_sel:DWORD dst_unused:UNUSED_PAD src0_sel:WORD_1
	v_dot4c_i32_i8_e32 v53, v37, v2
	v_dot4c_i32_i8_e32 v53, v38, v6
	;; [unrolled: 1-line block ×4, first 2 shown]
	v_pk_fma_f32 v[54:55], v[172:173], v[54:55], v[170:171]
	v_pk_mul_f16 v175, v20, v8
	v_pk_mul_f16 v169, v20, v9
	v_cvt_f32_i32_e32 v173, v53
	v_mov_b32_e32 v53, 0
	v_dot4c_i32_i8_e32 v53, v28, v0
	v_dot4c_i32_i8_e32 v53, v29, v4
	;; [unrolled: 1-line block ×4, first 2 shown]
	v_pk_add_f32 v[78:79], v[78:79], v[54:55]
	v_cvt_f32_f16_e32 v55, v169
	v_cvt_f32_f16_e32 v54, v175
	v_cvt_f32_f16_sdwa v171, v169 dst_sel:DWORD dst_unused:UNUSED_PAD src0_sel:WORD_1
	v_cvt_f32_f16_sdwa v170, v175 dst_sel:DWORD dst_unused:UNUSED_PAD src0_sel:WORD_1
	v_cvt_f32_i32_e32 v172, v174
	v_dot4c_i32_i8_e32 v53, v43, v2
	v_dot4c_i32_i8_e32 v53, v45, v6
	v_dot4c_i32_i8_e32 v53, v47, v3
	v_dot4c_i32_i8_e32 v53, v48, v7
	v_pk_fma_f32 v[54:55], v[172:173], v[54:55], v[170:171]
	v_pk_mul_f16 v177, v25, v8
	v_pk_mul_f16 v8, v36, v8
	v_cvt_f32_i32_e32 v173, v53
	v_mov_b32_e32 v53, 0
	v_dot4c_i32_i8_e32 v53, v41, v0
	v_dot4c_i32_i8_e32 v53, v42, v4
	;; [unrolled: 1-line block ×8, first 2 shown]
	v_pk_mul_f16 v2, v36, v9
	v_cvt_f32_f16_e32 v0, v8
	v_cvt_f32_f16_e32 v1, v2
	v_cvt_f32_f16_sdwa v3, v2 dst_sel:DWORD dst_unused:UNUSED_PAD src0_sel:WORD_1
	v_cvt_f32_f16_sdwa v2, v8 dst_sel:DWORD dst_unused:UNUSED_PAD src0_sel:WORD_1
	v_cvt_f32_i32_e32 v5, v53
	v_cvt_f32_i32_e32 v4, v178
	v_pk_mul_f16 v169, v25, v9
	v_cvt_f32_i32_e32 v172, v176
	v_mov_b32_e32 v53, 0
	v_pk_fma_f32 v[0:1], v[4:5], v[0:1], v[2:3]
	v_mov_b32_e32 v174, 0
	v_pk_add_f32 v[72:73], v[72:73], v[0:1]
	ds_read_b128 v[0:3], v11 offset:4096
	ds_read_b128 v[4:7], v11 offset:4112
	ds_read2_b32 v[8:9], v10 offset0:128 offset1:160
	v_mov_b32_e32 v176, 0
	v_mov_b32_e32 v178, 0
	s_waitcnt lgkmcnt(2)
	v_dot4c_i32_i8_e32 v53, v18, v0
	v_dot4c_i32_i8_e32 v174, v23, v0
	;; [unrolled: 1-line block ×4, first 2 shown]
	s_waitcnt lgkmcnt(1)
	v_dot4c_i32_i8_e32 v53, v19, v4
	v_dot4c_i32_i8_e32 v174, v24, v4
	;; [unrolled: 1-line block ×20, first 2 shown]
	v_pk_add_f32 v[76:77], v[76:77], v[54:55]
	v_cvt_f32_f16_e32 v55, v169
	v_cvt_f32_f16_e32 v54, v177
	v_cvt_f32_f16_sdwa v171, v169 dst_sel:DWORD dst_unused:UNUSED_PAD src0_sel:WORD_1
	v_cvt_f32_f16_sdwa v170, v177 dst_sel:DWORD dst_unused:UNUSED_PAD src0_sel:WORD_1
	v_dot4c_i32_i8_e32 v53, v32, v3
	v_dot4c_i32_i8_e32 v174, v39, v3
	v_dot4c_i32_i8_e32 v176, v47, v3
	v_dot4c_i32_i8_e32 v178, v51, v3
	v_dot4c_i32_i8_e32 v53, v33, v7
	v_dot4c_i32_i8_e32 v174, v40, v7
	v_dot4c_i32_i8_e32 v176, v48, v7
	v_dot4c_i32_i8_e32 v178, v52, v7
	ds_read_b128 v[0:3], v11 offset:5120
	ds_read_b128 v[4:7], v11 offset:5136
	v_pk_fma_f32 v[54:55], v[172:173], v[54:55], v[170:171]
	v_mov_b32_e32 v172, 0
	s_waitcnt lgkmcnt(2)
	v_pk_mul_f16 v169, v17, v8
	s_waitcnt lgkmcnt(1)
	v_dot4c_i32_i8_e32 v172, v18, v0
	s_waitcnt lgkmcnt(0)
	v_dot4c_i32_i8_e32 v172, v19, v4
	v_dot4c_i32_i8_e32 v172, v21, v1
	;; [unrolled: 1-line block ×7, first 2 shown]
	v_pk_mul_f16 v170, v17, v9
	v_pk_add_f32 v[74:75], v[74:75], v[54:55]
	v_cvt_f32_f16_e32 v55, v170
	v_cvt_f32_i32_e32 v173, v172
	v_cvt_f32_i32_e32 v172, v53
	v_mov_b32_e32 v53, 0
	v_dot4c_i32_i8_e32 v53, v23, v0
	v_dot4c_i32_i8_e32 v53, v24, v4
	;; [unrolled: 1-line block ×4, first 2 shown]
	v_cvt_f32_f16_e32 v54, v169
	v_cvt_f32_f16_sdwa v171, v170 dst_sel:DWORD dst_unused:UNUSED_PAD src0_sel:WORD_1
	v_cvt_f32_f16_sdwa v170, v169 dst_sel:DWORD dst_unused:UNUSED_PAD src0_sel:WORD_1
	v_dot4c_i32_i8_e32 v53, v37, v2
	v_dot4c_i32_i8_e32 v53, v38, v6
	;; [unrolled: 1-line block ×4, first 2 shown]
	v_pk_fma_f32 v[54:55], v[172:173], v[54:55], v[170:171]
	v_pk_mul_f16 v175, v20, v8
	v_pk_mul_f16 v169, v20, v9
	v_cvt_f32_i32_e32 v173, v53
	v_mov_b32_e32 v53, 0
	v_dot4c_i32_i8_e32 v53, v28, v0
	v_dot4c_i32_i8_e32 v53, v29, v4
	;; [unrolled: 1-line block ×4, first 2 shown]
	v_pk_add_f32 v[70:71], v[70:71], v[54:55]
	v_cvt_f32_f16_e32 v55, v169
	v_cvt_f32_f16_e32 v54, v175
	v_cvt_f32_f16_sdwa v171, v169 dst_sel:DWORD dst_unused:UNUSED_PAD src0_sel:WORD_1
	v_cvt_f32_f16_sdwa v170, v175 dst_sel:DWORD dst_unused:UNUSED_PAD src0_sel:WORD_1
	v_cvt_f32_i32_e32 v172, v174
	v_dot4c_i32_i8_e32 v53, v43, v2
	v_dot4c_i32_i8_e32 v53, v45, v6
	;; [unrolled: 1-line block ×4, first 2 shown]
	v_pk_fma_f32 v[54:55], v[172:173], v[54:55], v[170:171]
	v_pk_mul_f16 v177, v25, v8
	v_pk_mul_f16 v8, v36, v8
	v_cvt_f32_i32_e32 v173, v53
	v_mov_b32_e32 v53, 0
	v_dot4c_i32_i8_e32 v53, v41, v0
	v_dot4c_i32_i8_e32 v53, v42, v4
	;; [unrolled: 1-line block ×8, first 2 shown]
	v_pk_mul_f16 v2, v36, v9
	v_cvt_f32_f16_e32 v0, v8
	v_cvt_f32_f16_e32 v1, v2
	v_cvt_f32_f16_sdwa v3, v2 dst_sel:DWORD dst_unused:UNUSED_PAD src0_sel:WORD_1
	v_cvt_f32_f16_sdwa v2, v8 dst_sel:DWORD dst_unused:UNUSED_PAD src0_sel:WORD_1
	v_cvt_f32_i32_e32 v5, v53
	v_cvt_f32_i32_e32 v4, v178
	v_pk_mul_f16 v169, v25, v9
	v_pk_add_f32 v[68:69], v[68:69], v[54:55]
	v_cvt_f32_f16_e32 v55, v169
	v_cvt_f32_f16_e32 v54, v177
	v_cvt_f32_f16_sdwa v171, v169 dst_sel:DWORD dst_unused:UNUSED_PAD src0_sel:WORD_1
	v_cvt_f32_f16_sdwa v170, v177 dst_sel:DWORD dst_unused:UNUSED_PAD src0_sel:WORD_1
	v_cvt_f32_i32_e32 v172, v176
	v_pk_fma_f32 v[0:1], v[4:5], v[0:1], v[2:3]
	v_mov_b32_e32 v53, 0
	v_pk_add_f32 v[64:65], v[64:65], v[0:1]
	ds_read_b128 v[0:3], v11 offset:6144
	ds_read_b128 v[4:7], v11 offset:6160
	ds_read2_b32 v[8:9], v10 offset0:192 offset1:224
	v_pk_fma_f32 v[54:55], v[172:173], v[54:55], v[170:171]
	v_mov_b32_e32 v170, 0
	v_pk_add_f32 v[66:67], v[66:67], v[54:55]
	v_mov_b32_e32 v55, 0
	v_mov_b32_e32 v172, 0
	s_waitcnt lgkmcnt(2)
	v_dot4c_i32_i8_e32 v53, v18, v0
	v_dot4c_i32_i8_e32 v55, v23, v0
	;; [unrolled: 1-line block ×4, first 2 shown]
	s_waitcnt lgkmcnt(1)
	v_dot4c_i32_i8_e32 v53, v19, v4
	v_dot4c_i32_i8_e32 v55, v24, v4
	;; [unrolled: 1-line block ×28, first 2 shown]
	ds_read_b128 v[0:3], v11 offset:7168
	ds_read_b128 v[4:7], v11 offset:7184
	v_mov_b32_e32 v173, 0
	s_waitcnt lgkmcnt(2)
	v_pk_mul_f16 v54, v17, v8
	v_pk_mul_f16 v17, v17, v9
	s_waitcnt lgkmcnt(1)
	v_dot4c_i32_i8_e32 v173, v18, v0
	s_waitcnt lgkmcnt(0)
	v_dot4c_i32_i8_e32 v173, v19, v4
	v_dot4c_i32_i8_e32 v173, v21, v1
	;; [unrolled: 1-line block ×5, first 2 shown]
	v_cvt_f32_f16_e32 v19, v17
	v_cvt_f32_f16_sdwa v31, v17 dst_sel:DWORD dst_unused:UNUSED_PAD src0_sel:WORD_1
	v_mov_b32_e32 v17, 0
	v_dot4c_i32_i8_e32 v17, v23, v0
	v_dot4c_i32_i8_e32 v17, v24, v4
	;; [unrolled: 1-line block ×10, first 2 shown]
	v_cvt_f32_f16_e32 v18, v54
	v_cvt_f32_f16_sdwa v30, v54 dst_sel:DWORD dst_unused:UNUSED_PAD src0_sel:WORD_1
	v_cvt_f32_i32_e32 v33, v173
	v_cvt_f32_i32_e32 v32, v53
	;; [unrolled: 1-line block ×3, first 2 shown]
	v_mov_b32_e32 v17, 0
	v_dot4c_i32_i8_e32 v17, v28, v0
	v_dot4c_i32_i8_e32 v17, v29, v4
	;; [unrolled: 1-line block ×3, first 2 shown]
	v_pk_mul_f16 v169, v20, v8
	v_pk_fma_f32 v[18:19], v[32:33], v[18:19], v[30:31]
	v_pk_mul_f16 v20, v20, v9
	v_dot4c_i32_i8_e32 v17, v35, v5
	v_pk_add_f32 v[62:63], v[62:63], v[18:19]
	v_cvt_f32_f16_e32 v19, v20
	v_cvt_f32_f16_e32 v18, v169
	v_cvt_f32_f16_sdwa v21, v20 dst_sel:DWORD dst_unused:UNUSED_PAD src0_sel:WORD_1
	v_cvt_f32_f16_sdwa v20, v169 dst_sel:DWORD dst_unused:UNUSED_PAD src0_sel:WORD_1
	v_cvt_f32_i32_e32 v22, v55
	v_dot4c_i32_i8_e32 v17, v43, v2
	v_dot4c_i32_i8_e32 v17, v45, v6
	;; [unrolled: 1-line block ×4, first 2 shown]
	v_pk_fma_f32 v[18:19], v[22:23], v[18:19], v[20:21]
	v_pk_mul_f16 v171, v25, v8
	v_pk_mul_f16 v8, v36, v8
	v_cvt_f32_i32_e32 v23, v17
	v_mov_b32_e32 v17, 0
	v_dot4c_i32_i8_e32 v17, v41, v0
	v_dot4c_i32_i8_e32 v17, v42, v4
	;; [unrolled: 1-line block ×7, first 2 shown]
	v_pk_mul_f16 v20, v25, v9
	v_dot4c_i32_i8_e32 v17, v52, v7
	v_pk_mul_f16 v2, v36, v9
	v_pk_add_f32 v[60:61], v[60:61], v[18:19]
	v_cvt_f32_f16_e32 v19, v20
	v_cvt_f32_f16_e32 v18, v171
	v_cvt_f32_f16_sdwa v21, v20 dst_sel:DWORD dst_unused:UNUSED_PAD src0_sel:WORD_1
	v_cvt_f32_f16_sdwa v20, v171 dst_sel:DWORD dst_unused:UNUSED_PAD src0_sel:WORD_1
	v_cvt_f32_i32_e32 v22, v170
	v_cvt_f32_f16_e32 v1, v2
	v_cvt_f32_f16_e32 v0, v8
	v_cvt_f32_f16_sdwa v3, v2 dst_sel:DWORD dst_unused:UNUSED_PAD src0_sel:WORD_1
	v_cvt_f32_f16_sdwa v2, v8 dst_sel:DWORD dst_unused:UNUSED_PAD src0_sel:WORD_1
	v_cvt_f32_i32_e32 v5, v17
	v_cvt_f32_i32_e32 v4, v172
	v_pk_fma_f32 v[18:19], v[22:23], v[18:19], v[20:21]
	s_add_i32 s0, s0, 4
	v_pk_add_f32 v[58:59], v[58:59], v[18:19]
	v_pk_fma_f32 v[0:1], v[4:5], v[0:1], v[2:3]
	v_add_u32_e32 v16, 16, v16
	v_pk_add_f32 v[56:57], v[56:57], v[0:1]
	v_add_u32_e32 v15, 4, v15
	v_add_u32_e32 v14, 4, v14
	;; [unrolled: 1-line block ×6, first 2 shown]
	s_cmp_lt_u32 s0, 28
	s_cbranch_scc1 .LBB160_12
; %bb.13:                               ;   in Loop: Header=BB160_7 Depth=1
	s_barrier
	s_branch .LBB160_6
.LBB160_14:
	v_mov_b32_e32 v1, v117
	v_cmp_gt_u32_e32 vcc, s10, v85
	s_and_saveexec_b64 s[0:1], vcc
	s_cbranch_execz .LBB160_3
.LBB160_15:
	v_add_u32_e32 v0, s4, v81
	v_mul_lo_u32 v5, v85, s14
	v_cmp_gt_u32_e64 s[0:1], s14, v0
	s_and_saveexec_b64 s[2:3], s[0:1]
	s_cbranch_execz .LBB160_17
; %bb.16:
	v_bfe_u32 v2, v120, 16, 1
	s_movk_i32 s4, 0x7fff
	v_add3_u32 v2, v120, v2, s4
	v_cmp_o_f32_e32 vcc, v120, v120
	v_mov_b32_e32 v3, 0x7fc0
	s_nop 0
	v_cndmask_b32_sdwa v4, v3, v2, vcc dst_sel:DWORD dst_unused:UNUSED_PAD src0_sel:DWORD src1_sel:WORD_1
	v_add_u32_e32 v2, v0, v5
	v_mov_b32_e32 v3, 0
	s_waitcnt lgkmcnt(0)
	v_lshl_add_u64 v[2:3], v[2:3], 1, s[12:13]
	global_store_short v[2:3], v4, off
.LBB160_17:
	s_or_b64 exec, exec, s[2:3]
	v_add_u32_e32 v2, 32, v0
	v_cmp_gt_u32_e64 s[2:3], s14, v2
	s_and_saveexec_b64 s[4:5], s[2:3]
	s_cbranch_execz .LBB160_19
; %bb.18:
	v_bfe_u32 v3, v122, 16, 1
	s_movk_i32 s6, 0x7fff
	v_add3_u32 v3, v122, v3, s6
	v_cmp_o_f32_e32 vcc, v122, v122
	v_mov_b32_e32 v4, 0x7fc0
	v_add_u32_e32 v6, v2, v5
	v_mov_b32_e32 v7, 0
	v_cndmask_b32_sdwa v3, v4, v3, vcc dst_sel:DWORD dst_unused:UNUSED_PAD src0_sel:DWORD src1_sel:WORD_1
	s_waitcnt lgkmcnt(0)
	v_lshl_add_u64 v[6:7], v[6:7], 1, s[12:13]
	global_store_short v[6:7], v3, off
.LBB160_19:
	s_or_b64 exec, exec, s[4:5]
	v_add_u32_e32 v3, 64, v0
	v_cmp_gt_u32_e64 s[4:5], s14, v3
	s_and_saveexec_b64 s[6:7], s[4:5]
	s_cbranch_execz .LBB160_21
; %bb.20:
	v_bfe_u32 v4, v118, 16, 1
	s_movk_i32 s8, 0x7fff
	v_add3_u32 v4, v118, v4, s8
	v_cmp_o_f32_e32 vcc, v118, v118
	v_mov_b32_e32 v6, 0x7fc0
	v_mov_b32_e32 v7, 0
	v_cndmask_b32_sdwa v4, v6, v4, vcc dst_sel:DWORD dst_unused:UNUSED_PAD src0_sel:DWORD src1_sel:WORD_1
	v_add_u32_e32 v6, v3, v5
	s_waitcnt lgkmcnt(0)
	v_lshl_add_u64 v[6:7], v[6:7], 1, s[12:13]
	global_store_short v[6:7], v4, off
.LBB160_21:
	s_or_b64 exec, exec, s[6:7]
	v_add_u32_e32 v4, 0x60, v0
	v_cmp_gt_u32_e64 s[6:7], s14, v4
	s_and_saveexec_b64 s[8:9], s[6:7]
	s_cbranch_execz .LBB160_23
; %bb.22:
	v_bfe_u32 v6, v110, 16, 1
	s_movk_i32 s11, 0x7fff
	v_add3_u32 v6, v110, v6, s11
	v_cmp_o_f32_e32 vcc, v110, v110
	v_mov_b32_e32 v7, 0x7fc0
	s_nop 0
	v_cndmask_b32_sdwa v8, v7, v6, vcc dst_sel:DWORD dst_unused:UNUSED_PAD src0_sel:DWORD src1_sel:WORD_1
	v_add_u32_e32 v6, v4, v5
	v_mov_b32_e32 v7, 0
	s_waitcnt lgkmcnt(0)
	v_lshl_add_u64 v[6:7], v[6:7], 1, s[12:13]
	global_store_short v[6:7], v8, off
.LBB160_23:
	s_or_b64 exec, exec, s[8:9]
	v_add3_u32 v5, v1, s15, 8
	v_cmp_gt_u32_e32 vcc, s10, v5
	s_and_b64 exec, exec, vcc
	s_cbranch_execz .LBB160_3
; %bb.24:
	v_mul_lo_u32 v5, v5, s14
	s_and_saveexec_b64 s[8:9], s[0:1]
	s_cbranch_execnz .LBB160_64
; %bb.25:
	s_or_b64 exec, exec, s[8:9]
	s_and_saveexec_b64 s[8:9], s[2:3]
	s_cbranch_execnz .LBB160_65
.LBB160_26:
	s_or_b64 exec, exec, s[8:9]
	s_and_saveexec_b64 s[8:9], s[4:5]
	s_cbranch_execnz .LBB160_66
.LBB160_27:
	s_or_b64 exec, exec, s[8:9]
	s_and_saveexec_b64 s[8:9], s[6:7]
	s_cbranch_execz .LBB160_29
.LBB160_28:
	v_bfe_u32 v6, v111, 16, 1
	s_movk_i32 s11, 0x7fff
	v_add3_u32 v6, v111, v6, s11
	v_cmp_o_f32_e32 vcc, v111, v111
	v_mov_b32_e32 v7, 0x7fc0
	s_nop 0
	v_cndmask_b32_sdwa v8, v7, v6, vcc dst_sel:DWORD dst_unused:UNUSED_PAD src0_sel:DWORD src1_sel:WORD_1
	v_add_u32_e32 v6, v5, v4
	v_mov_b32_e32 v7, 0
	s_waitcnt lgkmcnt(0)
	v_lshl_add_u64 v[6:7], v[6:7], 1, s[12:13]
	global_store_short v[6:7], v8, off
.LBB160_29:
	s_or_b64 exec, exec, s[8:9]
	v_add3_u32 v5, v1, s15, 16
	v_cmp_gt_u32_e32 vcc, s10, v5
	s_and_b64 exec, exec, vcc
	s_cbranch_execz .LBB160_3
; %bb.30:
	v_mul_lo_u32 v5, v5, s14
	s_and_saveexec_b64 s[8:9], s[0:1]
	s_cbranch_execnz .LBB160_67
; %bb.31:
	s_or_b64 exec, exec, s[8:9]
	s_and_saveexec_b64 s[8:9], s[2:3]
	s_cbranch_execnz .LBB160_68
.LBB160_32:
	s_or_b64 exec, exec, s[8:9]
	s_and_saveexec_b64 s[8:9], s[4:5]
	s_cbranch_execnz .LBB160_69
.LBB160_33:
	s_or_b64 exec, exec, s[8:9]
	s_and_saveexec_b64 s[8:9], s[6:7]
	s_cbranch_execz .LBB160_35
.LBB160_34:
	v_bfe_u32 v6, v72, 16, 1
	s_movk_i32 s11, 0x7fff
	v_add3_u32 v6, v72, v6, s11
	v_cmp_o_f32_e32 vcc, v72, v72
	v_mov_b32_e32 v7, 0x7fc0
	s_nop 0
	v_cndmask_b32_sdwa v8, v7, v6, vcc dst_sel:DWORD dst_unused:UNUSED_PAD src0_sel:DWORD src1_sel:WORD_1
	v_add_u32_e32 v6, v5, v4
	v_mov_b32_e32 v7, 0
	s_waitcnt lgkmcnt(0)
	v_lshl_add_u64 v[6:7], v[6:7], 1, s[12:13]
	global_store_short v[6:7], v8, off
.LBB160_35:
	s_or_b64 exec, exec, s[8:9]
	v_add3_u32 v5, v1, s15, 24
	v_cmp_gt_u32_e32 vcc, s10, v5
	s_and_b64 exec, exec, vcc
	s_cbranch_execz .LBB160_3
; %bb.36:
	v_mul_lo_u32 v5, v5, s14
	s_and_saveexec_b64 s[8:9], s[0:1]
	s_cbranch_execnz .LBB160_70
; %bb.37:
	s_or_b64 exec, exec, s[8:9]
	s_and_saveexec_b64 s[8:9], s[2:3]
	s_cbranch_execnz .LBB160_71
.LBB160_38:
	s_or_b64 exec, exec, s[8:9]
	s_and_saveexec_b64 s[8:9], s[4:5]
	s_cbranch_execnz .LBB160_72
.LBB160_39:
	s_or_b64 exec, exec, s[8:9]
	s_and_saveexec_b64 s[8:9], s[6:7]
	s_cbranch_execz .LBB160_41
.LBB160_40:
	v_bfe_u32 v6, v73, 16, 1
	s_movk_i32 s11, 0x7fff
	v_add3_u32 v6, v73, v6, s11
	v_cmp_o_f32_e32 vcc, v73, v73
	v_mov_b32_e32 v7, 0x7fc0
	s_nop 0
	v_cndmask_b32_sdwa v8, v7, v6, vcc dst_sel:DWORD dst_unused:UNUSED_PAD src0_sel:DWORD src1_sel:WORD_1
	v_add_u32_e32 v6, v5, v4
	v_mov_b32_e32 v7, 0
	s_waitcnt lgkmcnt(0)
	v_lshl_add_u64 v[6:7], v[6:7], 1, s[12:13]
	global_store_short v[6:7], v8, off
.LBB160_41:
	s_or_b64 exec, exec, s[8:9]
	v_add3_u32 v5, v1, s15, 32
	v_cmp_gt_u32_e32 vcc, s10, v5
	s_and_b64 exec, exec, vcc
	s_cbranch_execz .LBB160_3
; %bb.42:
	v_mul_lo_u32 v5, v5, s14
	s_and_saveexec_b64 s[8:9], s[0:1]
	s_cbranch_execnz .LBB160_73
; %bb.43:
	s_or_b64 exec, exec, s[8:9]
	s_and_saveexec_b64 s[8:9], s[2:3]
	s_cbranch_execnz .LBB160_74
.LBB160_44:
	s_or_b64 exec, exec, s[8:9]
	s_and_saveexec_b64 s[8:9], s[4:5]
	s_cbranch_execnz .LBB160_75
.LBB160_45:
	s_or_b64 exec, exec, s[8:9]
	s_and_saveexec_b64 s[8:9], s[6:7]
	s_cbranch_execz .LBB160_47
.LBB160_46:
	v_bfe_u32 v6, v64, 16, 1
	s_movk_i32 s11, 0x7fff
	v_add3_u32 v6, v64, v6, s11
	v_cmp_o_f32_e32 vcc, v64, v64
	v_mov_b32_e32 v7, 0x7fc0
	s_nop 0
	v_cndmask_b32_sdwa v8, v7, v6, vcc dst_sel:DWORD dst_unused:UNUSED_PAD src0_sel:DWORD src1_sel:WORD_1
	v_add_u32_e32 v6, v5, v4
	v_mov_b32_e32 v7, 0
	s_waitcnt lgkmcnt(0)
	v_lshl_add_u64 v[6:7], v[6:7], 1, s[12:13]
	global_store_short v[6:7], v8, off
.LBB160_47:
	s_or_b64 exec, exec, s[8:9]
	v_add3_u32 v5, v1, s15, 40
	v_cmp_gt_u32_e32 vcc, s10, v5
	s_and_b64 exec, exec, vcc
	s_cbranch_execz .LBB160_3
; %bb.48:
	v_mul_lo_u32 v5, v5, s14
	s_and_saveexec_b64 s[8:9], s[0:1]
	s_cbranch_execnz .LBB160_76
; %bb.49:
	s_or_b64 exec, exec, s[8:9]
	s_and_saveexec_b64 s[8:9], s[2:3]
	s_cbranch_execnz .LBB160_77
.LBB160_50:
	s_or_b64 exec, exec, s[8:9]
	s_and_saveexec_b64 s[8:9], s[4:5]
	s_cbranch_execnz .LBB160_78
.LBB160_51:
	s_or_b64 exec, exec, s[8:9]
	s_and_saveexec_b64 s[8:9], s[6:7]
	s_cbranch_execz .LBB160_53
.LBB160_52:
	v_bfe_u32 v6, v65, 16, 1
	s_movk_i32 s11, 0x7fff
	v_add3_u32 v6, v65, v6, s11
	v_cmp_o_f32_e32 vcc, v65, v65
	v_mov_b32_e32 v7, 0x7fc0
	s_nop 0
	v_cndmask_b32_sdwa v8, v7, v6, vcc dst_sel:DWORD dst_unused:UNUSED_PAD src0_sel:DWORD src1_sel:WORD_1
	v_add_u32_e32 v6, v5, v4
	v_mov_b32_e32 v7, 0
	s_waitcnt lgkmcnt(0)
	v_lshl_add_u64 v[6:7], v[6:7], 1, s[12:13]
	global_store_short v[6:7], v8, off
.LBB160_53:
	s_or_b64 exec, exec, s[8:9]
	v_add3_u32 v5, v1, s15, 48
	v_cmp_gt_u32_e32 vcc, s10, v5
	s_and_b64 exec, exec, vcc
	s_cbranch_execz .LBB160_3
; %bb.54:
	v_mul_lo_u32 v5, v5, s14
	s_and_saveexec_b64 s[8:9], s[0:1]
	s_cbranch_execnz .LBB160_79
; %bb.55:
	s_or_b64 exec, exec, s[8:9]
	s_and_saveexec_b64 s[8:9], s[2:3]
	s_cbranch_execnz .LBB160_80
.LBB160_56:
	s_or_b64 exec, exec, s[8:9]
	s_and_saveexec_b64 s[8:9], s[4:5]
	s_cbranch_execnz .LBB160_81
.LBB160_57:
	s_or_b64 exec, exec, s[8:9]
	s_and_saveexec_b64 s[8:9], s[6:7]
	s_cbranch_execz .LBB160_59
.LBB160_58:
	v_bfe_u32 v6, v56, 16, 1
	s_movk_i32 s11, 0x7fff
	v_add3_u32 v6, v56, v6, s11
	v_cmp_o_f32_e32 vcc, v56, v56
	v_mov_b32_e32 v7, 0x7fc0
	s_nop 0
	v_cndmask_b32_sdwa v8, v7, v6, vcc dst_sel:DWORD dst_unused:UNUSED_PAD src0_sel:DWORD src1_sel:WORD_1
	v_add_u32_e32 v6, v5, v4
	v_mov_b32_e32 v7, 0
	s_waitcnt lgkmcnt(0)
	v_lshl_add_u64 v[6:7], v[6:7], 1, s[12:13]
	global_store_short v[6:7], v8, off
.LBB160_59:
	s_or_b64 exec, exec, s[8:9]
	v_add3_u32 v1, v1, s15, 56
	v_cmp_gt_u32_e32 vcc, s10, v1
	s_and_b64 exec, exec, vcc
	s_cbranch_execz .LBB160_3
; %bb.60:
	v_mul_lo_u32 v1, v1, s14
	s_and_saveexec_b64 s[8:9], s[0:1]
	s_cbranch_execnz .LBB160_82
; %bb.61:
	s_or_b64 exec, exec, s[8:9]
	s_and_saveexec_b64 s[0:1], s[2:3]
	s_cbranch_execnz .LBB160_83
.LBB160_62:
	s_or_b64 exec, exec, s[0:1]
	s_and_saveexec_b64 s[0:1], s[4:5]
	s_cbranch_execnz .LBB160_84
.LBB160_63:
	s_or_b64 exec, exec, s[0:1]
	s_and_b64 exec, exec, s[6:7]
	s_cbranch_execz .LBB160_3
	s_branch .LBB160_85
.LBB160_64:
	v_bfe_u32 v6, v121, 16, 1
	s_movk_i32 s11, 0x7fff
	v_add3_u32 v6, v121, v6, s11
	v_cmp_o_f32_e32 vcc, v121, v121
	v_mov_b32_e32 v7, 0x7fc0
	s_nop 0
	v_cndmask_b32_sdwa v8, v7, v6, vcc dst_sel:DWORD dst_unused:UNUSED_PAD src0_sel:DWORD src1_sel:WORD_1
	v_add_u32_e32 v6, v5, v0
	v_mov_b32_e32 v7, 0
	s_waitcnt lgkmcnt(0)
	v_lshl_add_u64 v[6:7], v[6:7], 1, s[12:13]
	global_store_short v[6:7], v8, off
	s_or_b64 exec, exec, s[8:9]
	s_and_saveexec_b64 s[8:9], s[2:3]
	s_cbranch_execz .LBB160_26
.LBB160_65:
	v_bfe_u32 v6, v123, 16, 1
	s_movk_i32 s11, 0x7fff
	v_add3_u32 v6, v123, v6, s11
	v_cmp_o_f32_e32 vcc, v123, v123
	v_mov_b32_e32 v7, 0x7fc0
	s_nop 0
	v_cndmask_b32_sdwa v8, v7, v6, vcc dst_sel:DWORD dst_unused:UNUSED_PAD src0_sel:DWORD src1_sel:WORD_1
	v_add_u32_e32 v6, v5, v2
	v_mov_b32_e32 v7, 0
	s_waitcnt lgkmcnt(0)
	v_lshl_add_u64 v[6:7], v[6:7], 1, s[12:13]
	global_store_short v[6:7], v8, off
	s_or_b64 exec, exec, s[8:9]
	s_and_saveexec_b64 s[8:9], s[4:5]
	s_cbranch_execz .LBB160_27
.LBB160_66:
	v_bfe_u32 v6, v119, 16, 1
	s_movk_i32 s11, 0x7fff
	v_add3_u32 v6, v119, v6, s11
	v_cmp_o_f32_e32 vcc, v119, v119
	v_mov_b32_e32 v7, 0x7fc0
	s_nop 0
	v_cndmask_b32_sdwa v8, v7, v6, vcc dst_sel:DWORD dst_unused:UNUSED_PAD src0_sel:DWORD src1_sel:WORD_1
	v_add_u32_e32 v6, v5, v3
	v_mov_b32_e32 v7, 0
	s_waitcnt lgkmcnt(0)
	v_lshl_add_u64 v[6:7], v[6:7], 1, s[12:13]
	global_store_short v[6:7], v8, off
	s_or_b64 exec, exec, s[8:9]
	s_and_saveexec_b64 s[8:9], s[6:7]
	s_cbranch_execnz .LBB160_28
	s_branch .LBB160_29
.LBB160_67:
	v_bfe_u32 v6, v78, 16, 1
	s_movk_i32 s11, 0x7fff
	v_add3_u32 v6, v78, v6, s11
	v_cmp_o_f32_e32 vcc, v78, v78
	v_mov_b32_e32 v7, 0x7fc0
	s_nop 0
	v_cndmask_b32_sdwa v8, v7, v6, vcc dst_sel:DWORD dst_unused:UNUSED_PAD src0_sel:DWORD src1_sel:WORD_1
	v_add_u32_e32 v6, v5, v0
	v_mov_b32_e32 v7, 0
	s_waitcnt lgkmcnt(0)
	v_lshl_add_u64 v[6:7], v[6:7], 1, s[12:13]
	global_store_short v[6:7], v8, off
	s_or_b64 exec, exec, s[8:9]
	s_and_saveexec_b64 s[8:9], s[2:3]
	s_cbranch_execz .LBB160_32
.LBB160_68:
	v_bfe_u32 v6, v76, 16, 1
	s_movk_i32 s11, 0x7fff
	v_add3_u32 v6, v76, v6, s11
	v_cmp_o_f32_e32 vcc, v76, v76
	v_mov_b32_e32 v7, 0x7fc0
	s_nop 0
	v_cndmask_b32_sdwa v8, v7, v6, vcc dst_sel:DWORD dst_unused:UNUSED_PAD src0_sel:DWORD src1_sel:WORD_1
	v_add_u32_e32 v6, v5, v2
	v_mov_b32_e32 v7, 0
	s_waitcnt lgkmcnt(0)
	v_lshl_add_u64 v[6:7], v[6:7], 1, s[12:13]
	global_store_short v[6:7], v8, off
	s_or_b64 exec, exec, s[8:9]
	s_and_saveexec_b64 s[8:9], s[4:5]
	s_cbranch_execz .LBB160_33
.LBB160_69:
	v_bfe_u32 v6, v74, 16, 1
	s_movk_i32 s11, 0x7fff
	v_add3_u32 v6, v74, v6, s11
	v_cmp_o_f32_e32 vcc, v74, v74
	v_mov_b32_e32 v7, 0x7fc0
	s_nop 0
	v_cndmask_b32_sdwa v8, v7, v6, vcc dst_sel:DWORD dst_unused:UNUSED_PAD src0_sel:DWORD src1_sel:WORD_1
	v_add_u32_e32 v6, v5, v3
	v_mov_b32_e32 v7, 0
	s_waitcnt lgkmcnt(0)
	v_lshl_add_u64 v[6:7], v[6:7], 1, s[12:13]
	global_store_short v[6:7], v8, off
	s_or_b64 exec, exec, s[8:9]
	s_and_saveexec_b64 s[8:9], s[6:7]
	s_cbranch_execnz .LBB160_34
	s_branch .LBB160_35
.LBB160_70:
	v_bfe_u32 v6, v79, 16, 1
	s_movk_i32 s11, 0x7fff
	v_add3_u32 v6, v79, v6, s11
	v_cmp_o_f32_e32 vcc, v79, v79
	v_mov_b32_e32 v7, 0x7fc0
	s_nop 0
	v_cndmask_b32_sdwa v8, v7, v6, vcc dst_sel:DWORD dst_unused:UNUSED_PAD src0_sel:DWORD src1_sel:WORD_1
	v_add_u32_e32 v6, v5, v0
	v_mov_b32_e32 v7, 0
	s_waitcnt lgkmcnt(0)
	v_lshl_add_u64 v[6:7], v[6:7], 1, s[12:13]
	global_store_short v[6:7], v8, off
	s_or_b64 exec, exec, s[8:9]
	s_and_saveexec_b64 s[8:9], s[2:3]
	s_cbranch_execz .LBB160_38
.LBB160_71:
	v_bfe_u32 v6, v77, 16, 1
	s_movk_i32 s11, 0x7fff
	v_add3_u32 v6, v77, v6, s11
	v_cmp_o_f32_e32 vcc, v77, v77
	v_mov_b32_e32 v7, 0x7fc0
	s_nop 0
	v_cndmask_b32_sdwa v8, v7, v6, vcc dst_sel:DWORD dst_unused:UNUSED_PAD src0_sel:DWORD src1_sel:WORD_1
	v_add_u32_e32 v6, v5, v2
	v_mov_b32_e32 v7, 0
	s_waitcnt lgkmcnt(0)
	v_lshl_add_u64 v[6:7], v[6:7], 1, s[12:13]
	global_store_short v[6:7], v8, off
	s_or_b64 exec, exec, s[8:9]
	s_and_saveexec_b64 s[8:9], s[4:5]
	s_cbranch_execz .LBB160_39
.LBB160_72:
	v_bfe_u32 v6, v75, 16, 1
	s_movk_i32 s11, 0x7fff
	v_add3_u32 v6, v75, v6, s11
	v_cmp_o_f32_e32 vcc, v75, v75
	v_mov_b32_e32 v7, 0x7fc0
	s_nop 0
	v_cndmask_b32_sdwa v8, v7, v6, vcc dst_sel:DWORD dst_unused:UNUSED_PAD src0_sel:DWORD src1_sel:WORD_1
	v_add_u32_e32 v6, v5, v3
	v_mov_b32_e32 v7, 0
	s_waitcnt lgkmcnt(0)
	v_lshl_add_u64 v[6:7], v[6:7], 1, s[12:13]
	global_store_short v[6:7], v8, off
	s_or_b64 exec, exec, s[8:9]
	s_and_saveexec_b64 s[8:9], s[6:7]
	s_cbranch_execnz .LBB160_40
	s_branch .LBB160_41
.LBB160_73:
	v_bfe_u32 v6, v70, 16, 1
	s_movk_i32 s11, 0x7fff
	v_add3_u32 v6, v70, v6, s11
	v_cmp_o_f32_e32 vcc, v70, v70
	v_mov_b32_e32 v7, 0x7fc0
	s_nop 0
	v_cndmask_b32_sdwa v8, v7, v6, vcc dst_sel:DWORD dst_unused:UNUSED_PAD src0_sel:DWORD src1_sel:WORD_1
	v_add_u32_e32 v6, v5, v0
	v_mov_b32_e32 v7, 0
	s_waitcnt lgkmcnt(0)
	v_lshl_add_u64 v[6:7], v[6:7], 1, s[12:13]
	global_store_short v[6:7], v8, off
	s_or_b64 exec, exec, s[8:9]
	s_and_saveexec_b64 s[8:9], s[2:3]
	s_cbranch_execz .LBB160_44
.LBB160_74:
	v_bfe_u32 v6, v68, 16, 1
	s_movk_i32 s11, 0x7fff
	v_add3_u32 v6, v68, v6, s11
	v_cmp_o_f32_e32 vcc, v68, v68
	v_mov_b32_e32 v7, 0x7fc0
	s_nop 0
	v_cndmask_b32_sdwa v8, v7, v6, vcc dst_sel:DWORD dst_unused:UNUSED_PAD src0_sel:DWORD src1_sel:WORD_1
	v_add_u32_e32 v6, v5, v2
	v_mov_b32_e32 v7, 0
	s_waitcnt lgkmcnt(0)
	v_lshl_add_u64 v[6:7], v[6:7], 1, s[12:13]
	global_store_short v[6:7], v8, off
	s_or_b64 exec, exec, s[8:9]
	s_and_saveexec_b64 s[8:9], s[4:5]
	s_cbranch_execz .LBB160_45
.LBB160_75:
	v_bfe_u32 v6, v66, 16, 1
	s_movk_i32 s11, 0x7fff
	v_add3_u32 v6, v66, v6, s11
	v_cmp_o_f32_e32 vcc, v66, v66
	v_mov_b32_e32 v7, 0x7fc0
	s_nop 0
	v_cndmask_b32_sdwa v8, v7, v6, vcc dst_sel:DWORD dst_unused:UNUSED_PAD src0_sel:DWORD src1_sel:WORD_1
	v_add_u32_e32 v6, v5, v3
	v_mov_b32_e32 v7, 0
	s_waitcnt lgkmcnt(0)
	v_lshl_add_u64 v[6:7], v[6:7], 1, s[12:13]
	global_store_short v[6:7], v8, off
	s_or_b64 exec, exec, s[8:9]
	s_and_saveexec_b64 s[8:9], s[6:7]
	s_cbranch_execnz .LBB160_46
	s_branch .LBB160_47
.LBB160_76:
	v_bfe_u32 v6, v71, 16, 1
	s_movk_i32 s11, 0x7fff
	v_add3_u32 v6, v71, v6, s11
	v_cmp_o_f32_e32 vcc, v71, v71
	v_mov_b32_e32 v7, 0x7fc0
	s_nop 0
	v_cndmask_b32_sdwa v8, v7, v6, vcc dst_sel:DWORD dst_unused:UNUSED_PAD src0_sel:DWORD src1_sel:WORD_1
	v_add_u32_e32 v6, v5, v0
	v_mov_b32_e32 v7, 0
	s_waitcnt lgkmcnt(0)
	v_lshl_add_u64 v[6:7], v[6:7], 1, s[12:13]
	global_store_short v[6:7], v8, off
	s_or_b64 exec, exec, s[8:9]
	s_and_saveexec_b64 s[8:9], s[2:3]
	s_cbranch_execz .LBB160_50
.LBB160_77:
	v_bfe_u32 v6, v69, 16, 1
	s_movk_i32 s11, 0x7fff
	v_add3_u32 v6, v69, v6, s11
	v_cmp_o_f32_e32 vcc, v69, v69
	v_mov_b32_e32 v7, 0x7fc0
	s_nop 0
	v_cndmask_b32_sdwa v8, v7, v6, vcc dst_sel:DWORD dst_unused:UNUSED_PAD src0_sel:DWORD src1_sel:WORD_1
	v_add_u32_e32 v6, v5, v2
	v_mov_b32_e32 v7, 0
	s_waitcnt lgkmcnt(0)
	v_lshl_add_u64 v[6:7], v[6:7], 1, s[12:13]
	global_store_short v[6:7], v8, off
	s_or_b64 exec, exec, s[8:9]
	s_and_saveexec_b64 s[8:9], s[4:5]
	s_cbranch_execz .LBB160_51
.LBB160_78:
	v_bfe_u32 v6, v67, 16, 1
	s_movk_i32 s11, 0x7fff
	v_add3_u32 v6, v67, v6, s11
	v_cmp_o_f32_e32 vcc, v67, v67
	v_mov_b32_e32 v7, 0x7fc0
	s_nop 0
	v_cndmask_b32_sdwa v8, v7, v6, vcc dst_sel:DWORD dst_unused:UNUSED_PAD src0_sel:DWORD src1_sel:WORD_1
	v_add_u32_e32 v6, v5, v3
	v_mov_b32_e32 v7, 0
	s_waitcnt lgkmcnt(0)
	v_lshl_add_u64 v[6:7], v[6:7], 1, s[12:13]
	global_store_short v[6:7], v8, off
	s_or_b64 exec, exec, s[8:9]
	s_and_saveexec_b64 s[8:9], s[6:7]
	s_cbranch_execnz .LBB160_52
	s_branch .LBB160_53
.LBB160_79:
	v_bfe_u32 v6, v62, 16, 1
	s_movk_i32 s11, 0x7fff
	v_add3_u32 v6, v62, v6, s11
	v_cmp_o_f32_e32 vcc, v62, v62
	v_mov_b32_e32 v7, 0x7fc0
	s_nop 0
	v_cndmask_b32_sdwa v8, v7, v6, vcc dst_sel:DWORD dst_unused:UNUSED_PAD src0_sel:DWORD src1_sel:WORD_1
	v_add_u32_e32 v6, v5, v0
	v_mov_b32_e32 v7, 0
	s_waitcnt lgkmcnt(0)
	v_lshl_add_u64 v[6:7], v[6:7], 1, s[12:13]
	global_store_short v[6:7], v8, off
	s_or_b64 exec, exec, s[8:9]
	s_and_saveexec_b64 s[8:9], s[2:3]
	s_cbranch_execz .LBB160_56
.LBB160_80:
	v_bfe_u32 v6, v60, 16, 1
	s_movk_i32 s11, 0x7fff
	v_add3_u32 v6, v60, v6, s11
	v_cmp_o_f32_e32 vcc, v60, v60
	v_mov_b32_e32 v7, 0x7fc0
	s_nop 0
	v_cndmask_b32_sdwa v8, v7, v6, vcc dst_sel:DWORD dst_unused:UNUSED_PAD src0_sel:DWORD src1_sel:WORD_1
	v_add_u32_e32 v6, v5, v2
	v_mov_b32_e32 v7, 0
	s_waitcnt lgkmcnt(0)
	v_lshl_add_u64 v[6:7], v[6:7], 1, s[12:13]
	global_store_short v[6:7], v8, off
	s_or_b64 exec, exec, s[8:9]
	s_and_saveexec_b64 s[8:9], s[4:5]
	s_cbranch_execz .LBB160_57
.LBB160_81:
	v_bfe_u32 v6, v58, 16, 1
	s_movk_i32 s11, 0x7fff
	v_add3_u32 v6, v58, v6, s11
	v_cmp_o_f32_e32 vcc, v58, v58
	v_mov_b32_e32 v7, 0x7fc0
	s_nop 0
	v_cndmask_b32_sdwa v8, v7, v6, vcc dst_sel:DWORD dst_unused:UNUSED_PAD src0_sel:DWORD src1_sel:WORD_1
	v_add_u32_e32 v6, v5, v3
	v_mov_b32_e32 v7, 0
	s_waitcnt lgkmcnt(0)
	v_lshl_add_u64 v[6:7], v[6:7], 1, s[12:13]
	global_store_short v[6:7], v8, off
	s_or_b64 exec, exec, s[8:9]
	s_and_saveexec_b64 s[8:9], s[6:7]
	s_cbranch_execnz .LBB160_58
	s_branch .LBB160_59
.LBB160_82:
	v_bfe_u32 v5, v63, 16, 1
	s_movk_i32 s0, 0x7fff
	v_add3_u32 v5, v63, v5, s0
	v_cmp_o_f32_e32 vcc, v63, v63
	v_mov_b32_e32 v6, 0x7fc0
	v_mov_b32_e32 v7, 0
	v_cndmask_b32_sdwa v5, v6, v5, vcc dst_sel:DWORD dst_unused:UNUSED_PAD src0_sel:DWORD src1_sel:WORD_1
	v_add_u32_e32 v6, v1, v0
	s_waitcnt lgkmcnt(0)
	v_lshl_add_u64 v[6:7], v[6:7], 1, s[12:13]
	global_store_short v[6:7], v5, off
	s_or_b64 exec, exec, s[8:9]
	s_and_saveexec_b64 s[0:1], s[2:3]
	s_cbranch_execz .LBB160_62
.LBB160_83:
	v_bfe_u32 v0, v61, 16, 1
	s_movk_i32 s2, 0x7fff
	v_add3_u32 v0, v61, v0, s2
	v_cmp_o_f32_e32 vcc, v61, v61
	v_mov_b32_e32 v5, 0x7fc0
	v_add_u32_e32 v6, v1, v2
	v_mov_b32_e32 v7, 0
	v_cndmask_b32_sdwa v0, v5, v0, vcc dst_sel:DWORD dst_unused:UNUSED_PAD src0_sel:DWORD src1_sel:WORD_1
	s_waitcnt lgkmcnt(0)
	v_lshl_add_u64 v[6:7], v[6:7], 1, s[12:13]
	global_store_short v[6:7], v0, off
	s_or_b64 exec, exec, s[0:1]
	s_and_saveexec_b64 s[0:1], s[4:5]
	s_cbranch_execz .LBB160_63
.LBB160_84:
	v_bfe_u32 v0, v59, 16, 1
	s_movk_i32 s2, 0x7fff
	v_add3_u32 v0, v59, v0, s2
	v_cmp_o_f32_e32 vcc, v59, v59
	v_mov_b32_e32 v2, 0x7fc0
	s_nop 0
	v_cndmask_b32_sdwa v0, v2, v0, vcc dst_sel:DWORD dst_unused:UNUSED_PAD src0_sel:DWORD src1_sel:WORD_1
	v_add_u32_e32 v2, v1, v3
	v_mov_b32_e32 v3, 0
	s_waitcnt lgkmcnt(0)
	v_lshl_add_u64 v[2:3], v[2:3], 1, s[12:13]
	global_store_short v[2:3], v0, off
	s_or_b64 exec, exec, s[0:1]
	s_and_b64 exec, exec, s[6:7]
	s_cbranch_execz .LBB160_3
.LBB160_85:
	v_bfe_u32 v0, v57, 16, 1
	s_movk_i32 s0, 0x7fff
	v_add3_u32 v0, v57, v0, s0
	v_cmp_o_f32_e32 vcc, v57, v57
	v_mov_b32_e32 v2, 0x7fc0
	s_nop 0
	v_cndmask_b32_sdwa v2, v2, v0, vcc dst_sel:DWORD dst_unused:UNUSED_PAD src0_sel:DWORD src1_sel:WORD_1
	v_add_u32_e32 v0, v1, v4
	v_mov_b32_e32 v1, 0
	s_waitcnt lgkmcnt(0)
	v_lshl_add_u64 v[0:1], v[0:1], 1, s[12:13]
	global_store_short v[0:1], v2, off
	s_endpgm
	.section	.rodata,"a",@progbits
	.p2align	6, 0x0
	.amdhsa_kernel _ZL12mul_mat_q4_1IN3c108BFloat16ELb1EEvPKvS3_PT_iiiii
		.amdhsa_group_segment_fixed_size 30336
		.amdhsa_private_segment_fixed_size 0
		.amdhsa_kernarg_size 44
		.amdhsa_user_sgpr_count 2
		.amdhsa_user_sgpr_dispatch_ptr 0
		.amdhsa_user_sgpr_queue_ptr 0
		.amdhsa_user_sgpr_kernarg_segment_ptr 1
		.amdhsa_user_sgpr_dispatch_id 0
		.amdhsa_user_sgpr_kernarg_preload_length 0
		.amdhsa_user_sgpr_kernarg_preload_offset 0
		.amdhsa_user_sgpr_private_segment_size 0
		.amdhsa_uses_dynamic_stack 0
		.amdhsa_enable_private_segment 0
		.amdhsa_system_sgpr_workgroup_id_x 1
		.amdhsa_system_sgpr_workgroup_id_y 1
		.amdhsa_system_sgpr_workgroup_id_z 0
		.amdhsa_system_sgpr_workgroup_info 0
		.amdhsa_system_vgpr_workitem_id 1
		.amdhsa_next_free_vgpr 251
		.amdhsa_next_free_sgpr 96
		.amdhsa_accum_offset 252
		.amdhsa_reserve_vcc 1
		.amdhsa_float_round_mode_32 0
		.amdhsa_float_round_mode_16_64 0
		.amdhsa_float_denorm_mode_32 3
		.amdhsa_float_denorm_mode_16_64 3
		.amdhsa_dx10_clamp 1
		.amdhsa_ieee_mode 1
		.amdhsa_fp16_overflow 0
		.amdhsa_tg_split 0
		.amdhsa_exception_fp_ieee_invalid_op 0
		.amdhsa_exception_fp_denorm_src 0
		.amdhsa_exception_fp_ieee_div_zero 0
		.amdhsa_exception_fp_ieee_overflow 0
		.amdhsa_exception_fp_ieee_underflow 0
		.amdhsa_exception_fp_ieee_inexact 0
		.amdhsa_exception_int_div_zero 0
	.end_amdhsa_kernel
	.section	.text._ZL12mul_mat_q4_1IN3c108BFloat16ELb1EEvPKvS3_PT_iiiii,"axG",@progbits,_ZL12mul_mat_q4_1IN3c108BFloat16ELb1EEvPKvS3_PT_iiiii,comdat
.Lfunc_end160:
	.size	_ZL12mul_mat_q4_1IN3c108BFloat16ELb1EEvPKvS3_PT_iiiii, .Lfunc_end160-_ZL12mul_mat_q4_1IN3c108BFloat16ELb1EEvPKvS3_PT_iiiii
                                        ; -- End function
	.set _ZL12mul_mat_q4_1IN3c108BFloat16ELb1EEvPKvS3_PT_iiiii.num_vgpr, 251
	.set _ZL12mul_mat_q4_1IN3c108BFloat16ELb1EEvPKvS3_PT_iiiii.num_agpr, 0
	.set _ZL12mul_mat_q4_1IN3c108BFloat16ELb1EEvPKvS3_PT_iiiii.numbered_sgpr, 18
	.set _ZL12mul_mat_q4_1IN3c108BFloat16ELb1EEvPKvS3_PT_iiiii.num_named_barrier, 0
	.set _ZL12mul_mat_q4_1IN3c108BFloat16ELb1EEvPKvS3_PT_iiiii.private_seg_size, 0
	.set _ZL12mul_mat_q4_1IN3c108BFloat16ELb1EEvPKvS3_PT_iiiii.uses_vcc, 1
	.set _ZL12mul_mat_q4_1IN3c108BFloat16ELb1EEvPKvS3_PT_iiiii.uses_flat_scratch, 0
	.set _ZL12mul_mat_q4_1IN3c108BFloat16ELb1EEvPKvS3_PT_iiiii.has_dyn_sized_stack, 0
	.set _ZL12mul_mat_q4_1IN3c108BFloat16ELb1EEvPKvS3_PT_iiiii.has_recursion, 0
	.set _ZL12mul_mat_q4_1IN3c108BFloat16ELb1EEvPKvS3_PT_iiiii.has_indirect_call, 0
	.section	.AMDGPU.csdata,"",@progbits
; Kernel info:
; codeLenInByte = 12048
; TotalNumSgprs: 24
; NumVgprs: 251
; NumAgprs: 0
; TotalNumVgprs: 251
; ScratchSize: 0
; MemoryBound: 0
; FloatMode: 240
; IeeeMode: 1
; LDSByteSize: 30336 bytes/workgroup (compile time only)
; SGPRBlocks: 12
; VGPRBlocks: 31
; NumSGPRsForWavesPerEU: 102
; NumVGPRsForWavesPerEU: 251
; AccumOffset: 252
; Occupancy: 2
; WaveLimiterHint : 0
; COMPUTE_PGM_RSRC2:SCRATCH_EN: 0
; COMPUTE_PGM_RSRC2:USER_SGPR: 2
; COMPUTE_PGM_RSRC2:TRAP_HANDLER: 0
; COMPUTE_PGM_RSRC2:TGID_X_EN: 1
; COMPUTE_PGM_RSRC2:TGID_Y_EN: 1
; COMPUTE_PGM_RSRC2:TGID_Z_EN: 0
; COMPUTE_PGM_RSRC2:TIDIG_COMP_CNT: 1
; COMPUTE_PGM_RSRC3_GFX90A:ACCUM_OFFSET: 62
; COMPUTE_PGM_RSRC3_GFX90A:TG_SPLIT: 0
	.section	.text._ZL12mul_mat_q5_0IN3c108BFloat16ELb0EEvPKvS3_PT_iiiii,"axG",@progbits,_ZL12mul_mat_q5_0IN3c108BFloat16ELb0EEvPKvS3_PT_iiiii,comdat
	.globl	_ZL12mul_mat_q5_0IN3c108BFloat16ELb0EEvPKvS3_PT_iiiii ; -- Begin function _ZL12mul_mat_q5_0IN3c108BFloat16ELb0EEvPKvS3_PT_iiiii
	.p2align	8
	.type	_ZL12mul_mat_q5_0IN3c108BFloat16ELb0EEvPKvS3_PT_iiiii,@function
_ZL12mul_mat_q5_0IN3c108BFloat16ELb0EEvPKvS3_PT_iiiii: ; @_ZL12mul_mat_q5_0IN3c108BFloat16ELb0EEvPKvS3_PT_iiiii
; %bb.0:
	s_load_dword s6, s[0:1], 0x18
	s_load_dwordx4 s[8:11], s[0:1], 0x20
	s_waitcnt lgkmcnt(0)
	s_lshl_b32 s11, s3, 6
	v_bfe_u32 v81, v0, 10, 10
	s_cmp_gt_i32 s6, 31
	s_cbranch_scc1 .LBB161_4
; %bb.1:
	v_bfe_u32 v1, v0, 10, 10
	v_and_b32_e32 v77, 0x3ff, v0
	v_add_u32_e32 v85, s11, v1
	s_load_dwordx2 s[12:13], s[0:1], 0x10
	s_lshl_b32 s4, s2, 7
	s_cbranch_execz .LBB161_5
; %bb.2:
	v_mov_b32_e32 v48, 0
	v_mov_b32_e32 v49, v48
	v_mov_b64_e32 v[56:57], v[48:49]
	v_mov_b64_e32 v[64:65], v[48:49]
	;; [unrolled: 1-line block ×15, first 2 shown]
	v_cmp_gt_u32_e32 vcc, s8, v85
	s_and_saveexec_b64 s[0:1], vcc
	s_cbranch_execnz .LBB161_15
.LBB161_3:
	s_endpgm
.LBB161_4:
                                        ; implicit-def: $vgpr1
                                        ; implicit-def: $vgpr77
                                        ; implicit-def: $vgpr85
	s_load_dwordx2 s[12:13], s[0:1], 0x10
	s_lshl_b32 s4, s2, 7
.LBB161_5:
	s_ashr_i32 s5, s6, 31
	s_lshr_b32 s5, s5, 27
	s_load_dwordx4 s[0:3], s[0:1], 0x0
	s_add_i32 s14, s6, s5
	s_ashr_i32 s6, s9, 31
	s_lshr_b32 s6, s6, 27
	s_ashr_i32 s5, s14, 5
	s_add_i32 s6, s9, s6
	s_ashr_i32 s15, s6, 5
	s_mul_i32 s6, s5, s4
	s_mul_hi_i32 s7, s6, 22
	s_mul_i32 s6, s6, 22
	s_waitcnt lgkmcnt(0)
	s_add_u32 s6, s0, s6
	s_addc_u32 s7, s1, s7
	v_mul_lo_u32 v80, s5, v81
	s_lshl_b32 s0, s5, 3
	v_add_u32_e32 v84, s0, v80
	v_add_u32_e32 v86, s0, v84
	;; [unrolled: 1-line block ×11, first 2 shown]
	v_and_b32_e32 v77, 0x3ff, v0
	v_add_u32_e32 v108, s0, v106
	v_lshlrev_b32_e32 v1, 3, v77
	s_movk_i32 s16, 0x104
	v_add_u32_e32 v110, s0, v108
	v_bfe_u32 v121, v0, 3, 7
	v_mad_u32_u24 v87, v81, s16, v1
	v_add_u32_e32 v112, s0, v110
	v_and_b32_e32 v116, 7, v0
	v_lshl_add_u32 v1, v81, 2, v121
	v_add_u32_e32 v114, s0, v112
	v_and_b32_e32 v3, 0x7fc, v1
	v_lshlrev_b32_e32 v4, 2, v116
	s_mov_b32 s0, 0xa200
	v_add3_u32 v8, v3, v4, s0
	v_add_u32_e32 v3, 32, v1
	v_mul_lo_u32 v118, s5, v1
	v_lshlrev_b32_e32 v9, 5, v1
	v_and_b32_e32 v5, 0xffc, v3
	v_lshlrev_b32_e32 v11, 5, v3
	v_add_u32_e32 v3, 64, v1
	v_add_u32_e32 v1, 0x60, v1
	v_add3_u32 v10, v5, v4, s0
	v_and_b32_e32 v5, 0xffc, v3
	v_lshlrev_b32_e32 v13, 5, v3
	v_and_b32_e32 v3, 0xffc, v1
	v_bfe_u32 v76, v0, 2, 8
	v_add3_u32 v14, v3, v4, s0
	v_and_b32_e32 v3, 31, v0
	v_mov_b32_e32 v15, 0x8200
	v_lshl_or_b32 v123, v3, 2, v15
	v_lshl_add_u32 v3, v81, 3, v76
	v_and_b32_e32 v3, 63, v3
	v_and_b32_e32 v2, 3, v0
	v_add3_u32 v12, v5, v4, s0
	s_add_i32 s0, s8, -1
	v_or_b32_e32 v15, s11, v3
	v_lshlrev_b32_e32 v78, 2, v2
	v_min_i32_e32 v15, s0, v15
	v_add_u32_e32 v85, s11, v81
	v_cvt_f64_i32_e32 v[4:5], s0
	v_mad_u64_u32 v[126:127], s[0:1], v15, s15, v[2:3]
	v_lshl_or_b32 v2, v3, 4, v78
	v_add_u32_e32 v125, 0xb280, v2
	v_cvt_f64_u32_e32 v[2:3], v85
	v_min_f64 v[2:3], v[2:3], v[4:5]
	v_cvt_i32_f64_e32 v2, v[2:3]
	v_mul_lo_u32 v127, s15, v2
	v_add_u32_e32 v2, 8, v85
	v_cvt_f64_u32_e32 v[2:3], v2
	v_min_f64 v[2:3], v[2:3], v[4:5]
	v_cvt_i32_f64_e32 v2, v[2:3]
	v_mul_lo_u32 v186, s15, v2
	;; [unrolled: 5-line block ×7, first 2 shown]
	v_add_u32_e32 v2, 56, v85
	v_mov_b32_e32 v79, 0
	v_lshlrev_b32_e32 v6, 2, v77
	v_cvt_f64_u32_e32 v[2:3], v2
	v_and_b32_e32 v6, 28, v6
	v_mov_b32_e32 v7, v79
	v_min_f64 v[2:3], v[2:3], v[4:5]
	s_andn2_b32 s14, s14, 31
	v_cvt_i32_f64_e32 v2, v[2:3]
	v_add_u32_e32 v3, 32, v77
	v_add_u32_e32 v4, 64, v77
	;; [unrolled: 1-line block ×3, first 2 shown]
	v_lshl_add_u64 v[128:129], s[2:3], 0, v[6:7]
	v_lshlrev_b32_e32 v6, 5, v77
	v_and_b32_e32 v0, 0xfc, v0
	v_add_u32_e32 v120, s14, v118
	v_lshlrev_b32_e32 v147, 7, v81
	v_lshrrev_b32_e32 v194, 3, v3
	v_and_b32_e32 v5, 0x1fc, v5
	v_and_b32_e32 v4, 0x1fc, v4
	;; [unrolled: 1-line block ×3, first 2 shown]
	v_add_u32_e32 v0, v6, v0
	v_add_u32_e32 v122, s14, v120
	v_lshlrev_b32_e32 v1, 5, v1
	v_add_u32_e32 v15, 0x400, v147
	v_add_u32_e32 v16, 0x800, v147
	;; [unrolled: 1-line block ×6, first 2 shown]
	v_mul_lo_u32 v192, s15, v2
	v_add_u32_e32 v2, 0x1c00, v147
	v_add_u32_e32 v5, v6, v5
	;; [unrolled: 1-line block ×5, first 2 shown]
	v_mov_b32_e32 v6, 0xb280
	v_add_u32_e32 v204, 0xa210, v0
	v_mov_b32_e32 v0, 0x80
	v_mov_b32_e32 v88, v79
	;; [unrolled: 1-line block ×3, first 2 shown]
	v_add_u32_e32 v91, 0x820, v87
	v_add_u32_e32 v93, 0x1040, v87
	;; [unrolled: 1-line block ×16, first 2 shown]
	s_add_i32 s9, s5, 3
	v_mul_u32_u24_e32 v193, 0x104, v77
	v_add_u32_e32 v195, 0xae00, v5
	v_add_u32_e32 v196, 0xaa00, v4
	;; [unrolled: 1-line block ×3, first 2 shown]
	v_lshl_add_u32 v199, v81, 4, v6
	v_add_u32_e32 v200, 0x8200, v147
	v_add_u32_e32 v201, 0xae10, v5
	;; [unrolled: 1-line block ×4, first 2 shown]
	v_mad_u32_u24 v205, v77, s16, v0
	s_mov_b32 s14, 0
	s_movk_i32 s15, 0x1f00
	s_mov_b32 s16, 0xc0c0105
	v_add_u32_e32 v206, v8, v9
	v_add_u32_e32 v207, v10, v11
	v_add_u32_e32 v208, v12, v13
	v_add_u32_e32 v209, v14, v1
	v_mov_b32_e32 v210, 8
	v_add_u32_e32 v211, v123, v15
	v_add_u32_e32 v212, v123, v16
	;; [unrolled: 1-line block ×7, first 2 shown]
	v_mov_b64_e32 v[70:71], v[88:89]
	v_mov_b64_e32 v[62:63], v[88:89]
	;; [unrolled: 1-line block ×15, first 2 shown]
	s_branch .LBB161_7
.LBB161_6:                              ;   in Loop: Header=BB161_7 Depth=1
	s_add_i32 s14, s14, 8
	s_add_i32 s9, s9, -8
	s_cmp_ge_i32 s14, s5
	s_cbranch_scc1 .LBB161_14
.LBB161_7:                              ; =>This Loop Header: Depth=1
                                        ;     Child Loop BB161_9 Depth 2
                                        ;     Child Loop BB161_12 Depth 2
	s_mul_i32 s0, s14, 22
	s_mul_hi_u32 s1, s14, 22
	s_add_u32 s0, s6, s0
	s_addc_u32 s1, s7, s1
	v_mad_u64_u32 v[0:1], s[18:19], v76, 22, s[0:1]
	v_mad_u64_u32 v[2:3], s[18:19], v80, 22, v[0:1]
	;; [unrolled: 1-line block ×3, first 2 shown]
	v_lshl_add_u64 v[4:5], v[2:3], 0, v[78:79]
	v_mad_u64_u32 v[6:7], s[18:19], v84, 22, v[0:1]
	v_mad_u64_u32 v[8:9], s[18:19], v86, 22, v[0:1]
	global_load_dword v18, v[10:11], off offset:2
	global_load_dword v12, v[8:9], off offset:2
	;; [unrolled: 1-line block ×5, first 2 shown]
	v_lshl_add_u64 v[2:3], v[6:7], 0, v[78:79]
	global_load_dword v6, v[2:3], off offset:6
	v_lshl_add_u64 v[2:3], v[8:9], 0, v[78:79]
	v_lshl_add_u64 v[4:5], v[10:11], 0, v[78:79]
	global_load_dword v19, v[2:3], off offset:6
	global_load_dword v20, v[4:5], off offset:6
	s_cmp_gt_u32 s9, 3
	s_waitcnt vmcnt(5)
	v_ashrrev_i32_e32 v5, v78, v13
	s_waitcnt vmcnt(4)
	v_ashrrev_i32_e32 v2, v78, v14
	s_waitcnt vmcnt(3)
	v_lshrrev_b32_e32 v4, 4, v15
	v_lshlrev_b32_e32 v8, 4, v2
	v_lshlrev_b32_e32 v9, 11, v2
	;; [unrolled: 1-line block ×4, first 2 shown]
	v_lshrrev_b32_e32 v13, 12, v2
	v_lshrrev_b32_e32 v14, 5, v2
	v_and_b32_e32 v3, 0xf0f0f0f, v15
	v_and_b32_e32 v4, 0xf0f0f0f, v4
	;; [unrolled: 1-line block ×8, first 2 shown]
	v_lshlrev_b32_e32 v15, 2, v2
	v_lshlrev_b32_e32 v2, 9, v2
	v_or3_b32 v8, v8, v3, v9
	v_or3_b32 v3, v3, v10, v11
	;; [unrolled: 1-line block ×3, first 2 shown]
	v_and_b32_e32 v15, 0x100000, v15
	v_and_b32_e32 v2, 0x10000000, v2
	;; [unrolled: 1-line block ×3, first 2 shown]
	v_lshlrev_b16_e32 v8, 8, v8
	v_and_b32_sdwa v11, v3, s15 dst_sel:DWORD dst_unused:UNUSED_PAD src0_sel:WORD_1 src1_sel:DWORD
	v_lshlrev_b16_sdwa v3, v210, v3 dst_sel:DWORD dst_unused:UNUSED_PAD src0_sel:DWORD src1_sel:WORD_1
	v_lshlrev_b16_e32 v14, 8, v9
	v_or3_b32 v2, v4, v15, v2
	v_add_u16_e32 v10, 0xf000, v10
	v_add_u16_e32 v8, 0xf000, v8
	;; [unrolled: 1-line block ×5, first 2 shown]
	v_and_b32_sdwa v13, v2, s15 dst_sel:DWORD dst_unused:UNUSED_PAD src0_sel:WORD_1 src1_sel:DWORD
	v_lshlrev_b16_sdwa v2, v210, v2 dst_sel:DWORD dst_unused:UNUSED_PAD src0_sel:DWORD src1_sel:WORD_1
	v_perm_b32 v8, v8, v10, s16
	v_perm_b32 v3, v3, v11, s16
	v_lshrrev_b16_e32 v10, 8, v14
	v_add_u16_e32 v13, 0xf000, v13
	v_add_u16_e32 v2, 0xf000, v2
	v_lshl_or_b32 v3, v3, 16, v8
	v_bitop3_b16 v8, v9, v10, s15 bitop3:0xec
	v_perm_b32 v2, v2, v13, s16
	v_add_u16_e32 v8, 0xf000, v8
	s_waitcnt vmcnt(2)
	v_and_b32_e32 v7, 0xf0f0f0f, v6
	v_lshrrev_b32_e32 v6, 4, v6
	v_lshl_or_b32 v2, v2, 16, v8
	ds_write2_b32 v87, v3, v2 offset1:1
	v_and_b32_e32 v2, 0xf0f0f0f, v6
	v_lshrrev_b32_e32 v3, 12, v5
	v_lshrrev_b32_e32 v6, 5, v5
	v_lshlrev_b32_e32 v16, 4, v5
	v_lshlrev_b32_e32 v17, 11, v5
	v_and_b32_e32 v3, 16, v3
	v_and_b32_e32 v6, 0x1000, v6
	v_lshlrev_b32_e32 v21, 18, v5
	v_lshlrev_b32_e32 v22, 25, v5
	v_and_b32_e32 v16, 16, v16
	v_and_b32_e32 v17, 0x1000, v17
	v_or3_b32 v3, v3, v2, v6
	v_lshlrev_b32_e32 v6, 2, v5
	v_lshlrev_b32_e32 v5, 9, v5
	v_or3_b32 v4, v16, v7, v17
	v_and_b32_e32 v6, 0x100000, v6
	v_and_b32_e32 v5, 0x10000000, v5
	;; [unrolled: 1-line block ×4, first 2 shown]
	v_lshlrev_b16_e32 v16, 8, v4
	v_or3_b32 v2, v2, v6, v5
	v_and_b32_e32 v5, 0x1f00, v3
	v_lshlrev_b16_e32 v3, 8, v3
	v_or3_b32 v7, v7, v21, v22
	v_add_u16_e32 v16, 0xf000, v16
	v_add_u16_e32 v5, 0xf000, v5
	;; [unrolled: 1-line block ×3, first 2 shown]
	v_and_b32_sdwa v15, v7, s15 dst_sel:DWORD dst_unused:UNUSED_PAD src0_sel:WORD_1 src1_sel:DWORD
	v_lshlrev_b16_sdwa v7, v210, v7 dst_sel:DWORD dst_unused:UNUSED_PAD src0_sel:DWORD src1_sel:WORD_1
	v_lshrrev_b16_e32 v11, 8, v16
	v_perm_b32 v3, v3, v5, s16
	v_and_b32_sdwa v5, v2, s15 dst_sel:DWORD dst_unused:UNUSED_PAD src0_sel:WORD_1 src1_sel:DWORD
	v_lshlrev_b16_sdwa v2, v210, v2 dst_sel:DWORD dst_unused:UNUSED_PAD src0_sel:DWORD src1_sel:WORD_1
	v_add_u16_e32 v15, 0xf000, v15
	v_add_u16_e32 v7, 0xf000, v7
	v_bitop3_b16 v4, v4, v11, s15 bitop3:0xec
	v_add_u16_e32 v5, 0xf000, v5
	v_add_u16_e32 v2, 0xf000, v2
	v_perm_b32 v7, v7, v15, s16
	v_add_u16_e32 v4, 0xf000, v4
	v_perm_b32 v2, v2, v5, s16
	v_lshl_or_b32 v4, v7, 16, v4
	v_lshl_or_b32 v2, v2, 16, v3
	v_ashrrev_i32_e32 v21, v78, v12
	ds_write2_b32 v91, v4, v2 offset1:1
	v_lshlrev_b32_e32 v3, 4, v21
	v_lshlrev_b32_e32 v4, 11, v21
	s_waitcnt vmcnt(1)
	v_and_b32_e32 v2, 0xf0f0f0f, v19
	v_and_b32_e32 v3, 16, v3
	;; [unrolled: 1-line block ×3, first 2 shown]
	v_or3_b32 v22, v3, v2, v4
	v_lshlrev_b32_e32 v3, 18, v21
	v_lshlrev_b32_e32 v4, 25, v21
	v_and_b32_e32 v3, 0x100000, v3
	v_and_b32_e32 v4, 0x10000000, v4
	v_or3_b32 v2, v2, v3, v4
	v_and_b32_sdwa v3, v2, s15 dst_sel:DWORD dst_unused:UNUSED_PAD src0_sel:WORD_1 src1_sel:DWORD
	v_add_u16_e32 v23, 0xf000, v3
	v_lshlrev_b16_sdwa v24, v210, v2 dst_sel:DWORD dst_unused:UNUSED_PAD src0_sel:DWORD src1_sel:WORD_1
	v_mad_u64_u32 v[2:3], s[18:19], v92, 22, v[0:1]
	v_mad_u64_u32 v[6:7], s[18:19], v94, 22, v[0:1]
	v_lshl_add_u64 v[4:5], v[2:3], 0, v[78:79]
	v_lshl_add_u64 v[8:9], v[6:7], 0, v[78:79]
	v_mad_u64_u32 v[10:11], s[18:19], v96, 22, v[0:1]
	v_mad_u64_u32 v[14:15], s[18:19], v98, 22, v[0:1]
	v_lshl_add_u64 v[12:13], v[10:11], 0, v[78:79]
	v_lshl_add_u64 v[16:17], v[14:15], 0, v[78:79]
	global_load_dword v4, v[4:5], off offset:6
	s_nop 0
	global_load_dword v5, v[8:9], off offset:6
	global_load_dword v25, v[12:13], off offset:6
	;; [unrolled: 1-line block ×4, first 2 shown]
	s_nop 0
	global_load_dword v8, v[10:11], off offset:2
	s_nop 0
	global_load_dword v6, v[6:7], off offset:2
	;; [unrolled: 2-line block ×3, first 2 shown]
	v_lshlrev_b16_e32 v7, 8, v22
	v_add_u16_e32 v7, 0xf000, v7
	v_lshrrev_b16_e32 v7, 8, v7
	v_add_u16_e32 v3, 0xf000, v24
	v_bitop3_b16 v7, v22, v7, s15 bitop3:0xec
	v_perm_b32 v3, v3, v23, s16
	v_add_u16_e32 v7, 0xf000, v7
	v_lshl_or_b32 v3, v3, 16, v7
	v_lshrrev_b32_e32 v7, 4, v19
	v_lshrrev_b32_e32 v9, 12, v21
	;; [unrolled: 1-line block ×3, first 2 shown]
	v_and_b32_e32 v7, 0xf0f0f0f, v7
	v_and_b32_e32 v9, 16, v9
	;; [unrolled: 1-line block ×3, first 2 shown]
	v_or3_b32 v9, v9, v7, v10
	v_lshlrev_b32_e32 v10, 2, v21
	v_lshlrev_b32_e32 v11, 9, v21
	v_and_b32_e32 v10, 0x100000, v10
	v_and_b32_e32 v11, 0x10000000, v11
	v_or3_b32 v7, v7, v10, v11
	v_and_b32_e32 v10, 0x1f00, v9
	v_lshlrev_b16_e32 v9, 8, v9
	v_add_u16_e32 v10, 0xf000, v10
	v_add_u16_e32 v9, 0xf000, v9
	v_perm_b32 v9, v9, v10, s16
	v_and_b32_sdwa v10, v7, s15 dst_sel:DWORD dst_unused:UNUSED_PAD src0_sel:WORD_1 src1_sel:DWORD
	v_lshlrev_b16_sdwa v7, v210, v7 dst_sel:DWORD dst_unused:UNUSED_PAD src0_sel:DWORD src1_sel:WORD_1
	v_add_u16_e32 v10, 0xf000, v10
	v_add_u16_e32 v7, 0xf000, v7
	v_perm_b32 v7, v7, v10, s16
	v_lshl_or_b32 v7, v7, 16, v9
	ds_write2_b32 v93, v3, v7 offset1:1
	v_ashrrev_i32_e32 v3, v78, v18
	v_lshlrev_b32_e32 v9, 4, v3
	v_lshlrev_b32_e32 v10, 11, v3
	s_waitcnt vmcnt(8)
	v_and_b32_e32 v7, 0xf0f0f0f, v20
	v_and_b32_e32 v9, 16, v9
	;; [unrolled: 1-line block ×3, first 2 shown]
	v_or3_b32 v9, v9, v7, v10
	v_lshlrev_b32_e32 v10, 18, v3
	v_lshlrev_b32_e32 v11, 25, v3
	v_and_b32_e32 v10, 0x100000, v10
	v_and_b32_e32 v11, 0x10000000, v11
	v_or3_b32 v7, v7, v10, v11
	v_and_b32_sdwa v10, v7, s15 dst_sel:DWORD dst_unused:UNUSED_PAD src0_sel:WORD_1 src1_sel:DWORD
	v_lshlrev_b16_sdwa v7, v210, v7 dst_sel:DWORD dst_unused:UNUSED_PAD src0_sel:DWORD src1_sel:WORD_1
	v_add_u16_e32 v10, 0xf000, v10
	v_add_u16_e32 v7, 0xf000, v7
	v_perm_b32 v7, v7, v10, s16
	v_lshlrev_b16_e32 v10, 8, v9
	v_add_u16_e32 v10, 0xf000, v10
	v_lshrrev_b16_e32 v10, 8, v10
	v_bitop3_b16 v9, v9, v10, s15 bitop3:0xec
	v_add_u16_e32 v9, 0xf000, v9
	v_lshl_or_b32 v7, v7, 16, v9
	v_lshrrev_b32_e32 v9, 4, v20
	v_lshrrev_b32_e32 v10, 12, v3
	;; [unrolled: 1-line block ×3, first 2 shown]
	v_and_b32_e32 v9, 0xf0f0f0f, v9
	v_and_b32_e32 v10, 16, v10
	;; [unrolled: 1-line block ×3, first 2 shown]
	v_or3_b32 v10, v10, v9, v11
	v_lshlrev_b32_e32 v11, 2, v3
	v_lshlrev_b32_e32 v3, 9, v3
	v_and_b32_e32 v11, 0x100000, v11
	v_and_b32_e32 v3, 0x10000000, v3
	v_or3_b32 v3, v9, v11, v3
	v_and_b32_e32 v9, 0x1f00, v10
	v_lshlrev_b16_e32 v10, 8, v10
	v_add_u16_e32 v9, 0xf000, v9
	v_add_u16_e32 v10, 0xf000, v10
	v_perm_b32 v9, v10, v9, s16
	v_and_b32_sdwa v10, v3, s15 dst_sel:DWORD dst_unused:UNUSED_PAD src0_sel:WORD_1 src1_sel:DWORD
	v_lshlrev_b16_sdwa v3, v210, v3 dst_sel:DWORD dst_unused:UNUSED_PAD src0_sel:DWORD src1_sel:WORD_1
	v_add_u16_e32 v10, 0xf000, v10
	v_add_u16_e32 v3, 0xf000, v3
	v_perm_b32 v3, v3, v10, s16
	v_lshl_or_b32 v3, v3, 16, v9
	ds_write2_b32 v95, v7, v3 offset1:1
	s_waitcnt vmcnt(0)
	v_ashrrev_i32_e32 v2, v78, v2
	v_lshlrev_b32_e32 v7, 4, v2
	v_lshlrev_b32_e32 v9, 11, v2
	v_and_b32_e32 v3, 0xf0f0f0f, v4
	v_and_b32_e32 v7, 16, v7
	;; [unrolled: 1-line block ×3, first 2 shown]
	v_or3_b32 v7, v7, v3, v9
	v_lshlrev_b32_e32 v9, 18, v2
	v_lshlrev_b32_e32 v10, 25, v2
	v_and_b32_e32 v9, 0x100000, v9
	v_and_b32_e32 v10, 0x10000000, v10
	v_or3_b32 v3, v3, v9, v10
	v_and_b32_sdwa v9, v3, s15 dst_sel:DWORD dst_unused:UNUSED_PAD src0_sel:WORD_1 src1_sel:DWORD
	v_lshlrev_b16_sdwa v3, v210, v3 dst_sel:DWORD dst_unused:UNUSED_PAD src0_sel:DWORD src1_sel:WORD_1
	v_add_u16_e32 v9, 0xf000, v9
	v_add_u16_e32 v3, 0xf000, v3
	v_perm_b32 v3, v3, v9, s16
	v_lshlrev_b16_e32 v9, 8, v7
	v_add_u16_e32 v9, 0xf000, v9
	v_lshrrev_b16_e32 v9, 8, v9
	v_bitop3_b16 v7, v7, v9, s15 bitop3:0xec
	v_add_u16_e32 v7, 0xf000, v7
	v_lshl_or_b32 v3, v3, 16, v7
	v_lshrrev_b32_e32 v4, 4, v4
	v_lshrrev_b32_e32 v7, 12, v2
	;; [unrolled: 1-line block ×3, first 2 shown]
	v_and_b32_e32 v4, 0xf0f0f0f, v4
	v_and_b32_e32 v7, 16, v7
	;; [unrolled: 1-line block ×3, first 2 shown]
	v_or3_b32 v7, v7, v4, v9
	v_lshlrev_b32_e32 v9, 2, v2
	v_lshlrev_b32_e32 v2, 9, v2
	v_and_b32_e32 v9, 0x100000, v9
	v_and_b32_e32 v2, 0x10000000, v2
	v_or3_b32 v2, v4, v9, v2
	v_and_b32_e32 v4, 0x1f00, v7
	v_lshlrev_b16_e32 v7, 8, v7
	v_add_u16_e32 v4, 0xf000, v4
	v_add_u16_e32 v7, 0xf000, v7
	v_perm_b32 v4, v7, v4, s16
	v_and_b32_sdwa v7, v2, s15 dst_sel:DWORD dst_unused:UNUSED_PAD src0_sel:WORD_1 src1_sel:DWORD
	v_lshlrev_b16_sdwa v2, v210, v2 dst_sel:DWORD dst_unused:UNUSED_PAD src0_sel:DWORD src1_sel:WORD_1
	v_add_u16_e32 v7, 0xf000, v7
	v_add_u16_e32 v2, 0xf000, v2
	v_perm_b32 v2, v2, v7, s16
	v_lshl_or_b32 v2, v2, 16, v4
	ds_write2_b32 v97, v3, v2 offset1:1
	v_ashrrev_i32_e32 v2, v78, v6
	v_lshlrev_b32_e32 v4, 4, v2
	v_lshlrev_b32_e32 v6, 11, v2
	v_and_b32_e32 v3, 0xf0f0f0f, v5
	v_and_b32_e32 v4, 16, v4
	;; [unrolled: 1-line block ×3, first 2 shown]
	v_or3_b32 v4, v4, v3, v6
	v_lshlrev_b32_e32 v6, 18, v2
	v_lshlrev_b32_e32 v7, 25, v2
	v_and_b32_e32 v6, 0x100000, v6
	v_and_b32_e32 v7, 0x10000000, v7
	v_or3_b32 v3, v3, v6, v7
	v_and_b32_sdwa v6, v3, s15 dst_sel:DWORD dst_unused:UNUSED_PAD src0_sel:WORD_1 src1_sel:DWORD
	v_lshlrev_b16_sdwa v3, v210, v3 dst_sel:DWORD dst_unused:UNUSED_PAD src0_sel:DWORD src1_sel:WORD_1
	v_add_u16_e32 v6, 0xf000, v6
	v_add_u16_e32 v3, 0xf000, v3
	v_perm_b32 v3, v3, v6, s16
	v_lshlrev_b16_e32 v6, 8, v4
	v_add_u16_e32 v6, 0xf000, v6
	v_lshrrev_b16_e32 v6, 8, v6
	v_bitop3_b16 v4, v4, v6, s15 bitop3:0xec
	v_add_u16_e32 v4, 0xf000, v4
	v_lshl_or_b32 v3, v3, 16, v4
	v_lshrrev_b32_e32 v4, 4, v5
	v_lshrrev_b32_e32 v5, 12, v2
	;; [unrolled: 1-line block ×3, first 2 shown]
	v_and_b32_e32 v4, 0xf0f0f0f, v4
	v_and_b32_e32 v5, 16, v5
	v_and_b32_e32 v6, 0x1000, v6
	v_or3_b32 v5, v5, v4, v6
	v_lshlrev_b32_e32 v6, 2, v2
	v_lshlrev_b32_e32 v2, 9, v2
	v_and_b32_e32 v6, 0x100000, v6
	v_and_b32_e32 v2, 0x10000000, v2
	v_or3_b32 v2, v4, v6, v2
	v_and_b32_e32 v4, 0x1f00, v5
	v_lshlrev_b16_e32 v5, 8, v5
	v_add_u16_e32 v4, 0xf000, v4
	v_add_u16_e32 v5, 0xf000, v5
	v_perm_b32 v4, v5, v4, s16
	v_and_b32_sdwa v5, v2, s15 dst_sel:DWORD dst_unused:UNUSED_PAD src0_sel:WORD_1 src1_sel:DWORD
	v_lshlrev_b16_sdwa v2, v210, v2 dst_sel:DWORD dst_unused:UNUSED_PAD src0_sel:DWORD src1_sel:WORD_1
	v_add_u16_e32 v5, 0xf000, v5
	v_add_u16_e32 v2, 0xf000, v2
	v_perm_b32 v2, v2, v5, s16
	v_lshl_or_b32 v2, v2, 16, v4
	v_ashrrev_i32_e32 v18, v78, v8
	ds_write2_b32 v99, v3, v2 offset1:1
	v_lshlrev_b32_e32 v3, 4, v18
	v_lshlrev_b32_e32 v4, 11, v18
	v_and_b32_e32 v2, 0xf0f0f0f, v25
	v_and_b32_e32 v3, 16, v3
	;; [unrolled: 1-line block ×3, first 2 shown]
	v_or3_b32 v3, v3, v2, v4
	v_lshlrev_b32_e32 v4, 18, v18
	v_lshlrev_b32_e32 v5, 25, v18
	v_and_b32_e32 v4, 0x100000, v4
	v_and_b32_e32 v5, 0x10000000, v5
	v_or3_b32 v19, v2, v4, v5
	v_and_b32_e32 v2, 0x1f00, v3
	v_add_u16_e32 v20, 0xf000, v2
	v_lshlrev_b16_e32 v21, 8, v3
	v_mad_u64_u32 v[2:3], s[18:19], v100, 22, v[0:1]
	v_mad_u64_u32 v[6:7], s[18:19], v102, 22, v[0:1]
	;; [unrolled: 1-line block ×3, first 2 shown]
	v_lshl_add_u64 v[4:5], v[2:3], 0, v[78:79]
	v_lshl_add_u64 v[8:9], v[6:7], 0, v[78:79]
	v_mad_u64_u32 v[10:11], s[18:19], v104, 22, v[0:1]
	v_lshl_add_u64 v[16:17], v[14:15], 0, v[78:79]
	v_lshl_add_u64 v[12:13], v[10:11], 0, v[78:79]
	global_load_dword v4, v[4:5], off offset:6
	s_nop 0
	global_load_dword v5, v[8:9], off offset:6
	global_load_dword v22, v[12:13], off offset:6
	s_nop 0
	global_load_dword v16, v[16:17], off offset:6
	s_nop 0
	global_load_dword v17, v[14:15], off offset:2
	global_load_dword v8, v[10:11], off offset:2
	s_nop 0
	global_load_dword v6, v[6:7], off offset:2
	s_nop 0
	global_load_dword v2, v[2:3], off offset:2
	v_and_b32_sdwa v7, v19, s15 dst_sel:DWORD dst_unused:UNUSED_PAD src0_sel:WORD_1 src1_sel:DWORD
	v_lshlrev_b16_sdwa v9, v210, v19 dst_sel:DWORD dst_unused:UNUSED_PAD src0_sel:DWORD src1_sel:WORD_1
	v_add_u16_e32 v3, 0xf000, v21
	v_add_u16_e32 v7, 0xf000, v7
	;; [unrolled: 1-line block ×3, first 2 shown]
	v_perm_b32 v3, v3, v20, s16
	v_perm_b32 v7, v9, v7, s16
	v_lshl_or_b32 v3, v7, 16, v3
	v_lshrrev_b32_e32 v7, 4, v25
	v_lshrrev_b32_e32 v9, 12, v18
	;; [unrolled: 1-line block ×3, first 2 shown]
	v_and_b32_e32 v7, 0xf0f0f0f, v7
	v_and_b32_e32 v9, 16, v9
	v_and_b32_e32 v10, 0x1000, v10
	v_or3_b32 v9, v9, v7, v10
	v_lshlrev_b32_e32 v10, 2, v18
	v_lshlrev_b32_e32 v11, 9, v18
	v_and_b32_e32 v10, 0x100000, v10
	v_and_b32_e32 v11, 0x10000000, v11
	v_or3_b32 v7, v7, v10, v11
	v_and_b32_sdwa v10, v7, s15 dst_sel:DWORD dst_unused:UNUSED_PAD src0_sel:WORD_1 src1_sel:DWORD
	v_lshlrev_b16_sdwa v7, v210, v7 dst_sel:DWORD dst_unused:UNUSED_PAD src0_sel:DWORD src1_sel:WORD_1
	v_add_u16_e32 v10, 0xf000, v10
	v_add_u16_e32 v7, 0xf000, v7
	v_perm_b32 v7, v7, v10, s16
	v_lshlrev_b16_e32 v10, 8, v9
	v_add_u16_e32 v10, 0xf000, v10
	v_lshrrev_b16_e32 v10, 8, v10
	v_bitop3_b16 v9, v9, v10, s15 bitop3:0xec
	v_add_u16_e32 v9, 0xf000, v9
	v_lshl_or_b32 v7, v7, 16, v9
	ds_write2_b32 v101, v3, v7 offset1:1
	v_ashrrev_i32_e32 v3, v78, v27
	v_lshlrev_b32_e32 v9, 4, v3
	v_lshlrev_b32_e32 v10, 11, v3
	v_and_b32_e32 v7, 0xf0f0f0f, v26
	v_and_b32_e32 v9, 16, v9
	;; [unrolled: 1-line block ×3, first 2 shown]
	v_or3_b32 v9, v9, v7, v10
	v_lshlrev_b32_e32 v10, 18, v3
	v_lshlrev_b32_e32 v11, 25, v3
	v_and_b32_e32 v10, 0x100000, v10
	v_and_b32_e32 v11, 0x10000000, v11
	v_or3_b32 v7, v7, v10, v11
	v_and_b32_e32 v10, 0x1f00, v9
	v_lshlrev_b16_e32 v9, 8, v9
	v_add_u16_e32 v10, 0xf000, v10
	v_add_u16_e32 v9, 0xf000, v9
	v_perm_b32 v9, v9, v10, s16
	v_and_b32_sdwa v10, v7, s15 dst_sel:DWORD dst_unused:UNUSED_PAD src0_sel:WORD_1 src1_sel:DWORD
	v_lshlrev_b16_sdwa v7, v210, v7 dst_sel:DWORD dst_unused:UNUSED_PAD src0_sel:DWORD src1_sel:WORD_1
	v_add_u16_e32 v10, 0xf000, v10
	v_add_u16_e32 v7, 0xf000, v7
	v_perm_b32 v7, v7, v10, s16
	v_lshl_or_b32 v7, v7, 16, v9
	v_lshrrev_b32_e32 v9, 4, v26
	v_lshrrev_b32_e32 v10, 12, v3
	;; [unrolled: 1-line block ×3, first 2 shown]
	v_and_b32_e32 v9, 0xf0f0f0f, v9
	v_and_b32_e32 v10, 16, v10
	;; [unrolled: 1-line block ×3, first 2 shown]
	v_or3_b32 v10, v10, v9, v11
	v_lshlrev_b32_e32 v11, 2, v3
	v_lshlrev_b32_e32 v3, 9, v3
	v_and_b32_e32 v11, 0x100000, v11
	v_and_b32_e32 v3, 0x10000000, v3
	v_or3_b32 v3, v9, v11, v3
	v_and_b32_sdwa v9, v3, s15 dst_sel:DWORD dst_unused:UNUSED_PAD src0_sel:WORD_1 src1_sel:DWORD
	v_lshlrev_b16_sdwa v3, v210, v3 dst_sel:DWORD dst_unused:UNUSED_PAD src0_sel:DWORD src1_sel:WORD_1
	v_add_u16_e32 v9, 0xf000, v9
	v_add_u16_e32 v3, 0xf000, v3
	v_perm_b32 v3, v3, v9, s16
	v_lshlrev_b16_e32 v9, 8, v10
	v_add_u16_e32 v9, 0xf000, v9
	v_lshrrev_b16_e32 v9, 8, v9
	v_bitop3_b16 v9, v10, v9, s15 bitop3:0xec
	v_add_u16_e32 v9, 0xf000, v9
	v_lshl_or_b32 v3, v3, 16, v9
	ds_write2_b32 v103, v7, v3 offset1:1
	s_waitcnt vmcnt(0)
	v_ashrrev_i32_e32 v2, v78, v2
	v_lshlrev_b32_e32 v7, 4, v2
	v_lshlrev_b32_e32 v9, 11, v2
	v_and_b32_e32 v3, 0xf0f0f0f, v4
	v_and_b32_e32 v7, 16, v7
	;; [unrolled: 1-line block ×3, first 2 shown]
	v_or3_b32 v7, v7, v3, v9
	v_lshlrev_b32_e32 v9, 18, v2
	v_lshlrev_b32_e32 v10, 25, v2
	v_and_b32_e32 v9, 0x100000, v9
	v_and_b32_e32 v10, 0x10000000, v10
	v_or3_b32 v3, v3, v9, v10
	v_and_b32_e32 v9, 0x1f00, v7
	v_lshlrev_b16_e32 v7, 8, v7
	v_add_u16_e32 v9, 0xf000, v9
	v_add_u16_e32 v7, 0xf000, v7
	v_perm_b32 v7, v7, v9, s16
	v_and_b32_sdwa v9, v3, s15 dst_sel:DWORD dst_unused:UNUSED_PAD src0_sel:WORD_1 src1_sel:DWORD
	v_lshlrev_b16_sdwa v3, v210, v3 dst_sel:DWORD dst_unused:UNUSED_PAD src0_sel:DWORD src1_sel:WORD_1
	v_add_u16_e32 v9, 0xf000, v9
	v_add_u16_e32 v3, 0xf000, v3
	v_perm_b32 v3, v3, v9, s16
	v_lshl_or_b32 v3, v3, 16, v7
	v_lshrrev_b32_e32 v4, 4, v4
	v_lshrrev_b32_e32 v7, 12, v2
	;; [unrolled: 1-line block ×3, first 2 shown]
	v_and_b32_e32 v4, 0xf0f0f0f, v4
	v_and_b32_e32 v7, 16, v7
	;; [unrolled: 1-line block ×3, first 2 shown]
	v_or3_b32 v7, v7, v4, v9
	v_lshlrev_b32_e32 v9, 2, v2
	v_lshlrev_b32_e32 v2, 9, v2
	v_and_b32_e32 v9, 0x100000, v9
	v_and_b32_e32 v2, 0x10000000, v2
	v_or3_b32 v2, v4, v9, v2
	v_and_b32_sdwa v4, v2, s15 dst_sel:DWORD dst_unused:UNUSED_PAD src0_sel:WORD_1 src1_sel:DWORD
	v_lshlrev_b16_sdwa v2, v210, v2 dst_sel:DWORD dst_unused:UNUSED_PAD src0_sel:DWORD src1_sel:WORD_1
	v_add_u16_e32 v4, 0xf000, v4
	v_add_u16_e32 v2, 0xf000, v2
	v_perm_b32 v2, v2, v4, s16
	v_lshlrev_b16_e32 v4, 8, v7
	v_add_u16_e32 v4, 0xf000, v4
	v_lshrrev_b16_e32 v4, 8, v4
	v_bitop3_b16 v4, v7, v4, s15 bitop3:0xec
	v_add_u16_e32 v4, 0xf000, v4
	v_lshl_or_b32 v2, v2, 16, v4
	ds_write2_b32 v105, v3, v2 offset1:1
	v_ashrrev_i32_e32 v2, v78, v6
	v_lshlrev_b32_e32 v4, 4, v2
	v_lshlrev_b32_e32 v6, 11, v2
	v_and_b32_e32 v3, 0xf0f0f0f, v5
	v_and_b32_e32 v4, 16, v4
	;; [unrolled: 1-line block ×3, first 2 shown]
	v_or3_b32 v4, v4, v3, v6
	v_lshlrev_b32_e32 v6, 18, v2
	v_lshlrev_b32_e32 v7, 25, v2
	v_and_b32_e32 v6, 0x100000, v6
	v_and_b32_e32 v7, 0x10000000, v7
	v_or3_b32 v3, v3, v6, v7
	v_and_b32_e32 v6, 0x1f00, v4
	v_lshlrev_b16_e32 v4, 8, v4
	v_add_u16_e32 v6, 0xf000, v6
	v_add_u16_e32 v4, 0xf000, v4
	v_perm_b32 v4, v4, v6, s16
	v_and_b32_sdwa v6, v3, s15 dst_sel:DWORD dst_unused:UNUSED_PAD src0_sel:WORD_1 src1_sel:DWORD
	v_lshlrev_b16_sdwa v3, v210, v3 dst_sel:DWORD dst_unused:UNUSED_PAD src0_sel:DWORD src1_sel:WORD_1
	v_add_u16_e32 v6, 0xf000, v6
	v_add_u16_e32 v3, 0xf000, v3
	v_perm_b32 v3, v3, v6, s16
	v_lshl_or_b32 v3, v3, 16, v4
	v_lshrrev_b32_e32 v4, 4, v5
	v_lshrrev_b32_e32 v5, 12, v2
	v_lshrrev_b32_e32 v6, 5, v2
	v_and_b32_e32 v4, 0xf0f0f0f, v4
	v_and_b32_e32 v5, 16, v5
	;; [unrolled: 1-line block ×3, first 2 shown]
	v_or3_b32 v5, v5, v4, v6
	v_lshlrev_b32_e32 v6, 2, v2
	v_lshlrev_b32_e32 v2, 9, v2
	v_and_b32_e32 v6, 0x100000, v6
	v_and_b32_e32 v2, 0x10000000, v2
	v_or3_b32 v2, v4, v6, v2
	v_and_b32_sdwa v4, v2, s15 dst_sel:DWORD dst_unused:UNUSED_PAD src0_sel:WORD_1 src1_sel:DWORD
	v_lshlrev_b16_sdwa v2, v210, v2 dst_sel:DWORD dst_unused:UNUSED_PAD src0_sel:DWORD src1_sel:WORD_1
	v_add_u16_e32 v4, 0xf000, v4
	v_add_u16_e32 v2, 0xf000, v2
	v_perm_b32 v2, v2, v4, s16
	v_lshlrev_b16_e32 v4, 8, v5
	v_add_u16_e32 v4, 0xf000, v4
	v_lshrrev_b16_e32 v4, 8, v4
	v_bitop3_b16 v4, v5, v4, s15 bitop3:0xec
	v_add_u16_e32 v4, 0xf000, v4
	v_lshl_or_b32 v2, v2, 16, v4
	v_ashrrev_i32_e32 v18, v78, v8
	ds_write2_b32 v107, v3, v2 offset1:1
	v_lshlrev_b32_e32 v3, 4, v18
	v_lshlrev_b32_e32 v4, 11, v18
	v_and_b32_e32 v2, 0xf0f0f0f, v22
	v_and_b32_e32 v3, 16, v3
	;; [unrolled: 1-line block ×3, first 2 shown]
	v_or3_b32 v3, v3, v2, v4
	v_lshlrev_b32_e32 v4, 18, v18
	v_lshlrev_b32_e32 v5, 25, v18
	v_and_b32_e32 v4, 0x100000, v4
	v_and_b32_e32 v5, 0x10000000, v5
	v_or3_b32 v19, v2, v4, v5
	v_and_b32_e32 v2, 0x1f00, v3
	v_add_u16_e32 v20, 0xf000, v2
	v_lshlrev_b16_e32 v21, 8, v3
	v_mad_u64_u32 v[2:3], s[18:19], v108, 22, v[0:1]
	v_mad_u64_u32 v[6:7], s[18:19], v110, 22, v[0:1]
	;; [unrolled: 1-line block ×3, first 2 shown]
	v_lshl_add_u64 v[4:5], v[2:3], 0, v[78:79]
	v_lshl_add_u64 v[8:9], v[6:7], 0, v[78:79]
	v_lshl_add_u64 v[12:13], v[10:11], 0, v[78:79]
	v_mad_u64_u32 v[0:1], s[18:19], v114, 22, v[0:1]
	v_lshl_add_u64 v[14:15], v[0:1], 0, v[78:79]
	global_load_dword v4, v[4:5], off offset:6
	s_nop 0
	global_load_dword v5, v[8:9], off offset:6
	s_nop 0
	global_load_dword v8, v[12:13], off offset:6
	global_load_dword v9, v[14:15], off offset:6
	s_nop 0
	global_load_dword v12, v[0:1], off offset:2
	s_nop 0
	global_load_dword v0, v[10:11], off offset:2
	global_load_dword v1, v[6:7], off offset:2
	s_nop 0
	global_load_dword v2, v[2:3], off offset:2
	v_and_b32_sdwa v6, v19, s15 dst_sel:DWORD dst_unused:UNUSED_PAD src0_sel:WORD_1 src1_sel:DWORD
	v_lshlrev_b16_sdwa v7, v210, v19 dst_sel:DWORD dst_unused:UNUSED_PAD src0_sel:DWORD src1_sel:WORD_1
	v_add_u16_e32 v3, 0xf000, v21
	v_add_u16_e32 v6, 0xf000, v6
	;; [unrolled: 1-line block ×3, first 2 shown]
	v_perm_b32 v3, v3, v20, s16
	v_perm_b32 v6, v7, v6, s16
	v_lshl_or_b32 v3, v6, 16, v3
	v_lshrrev_b32_e32 v6, 4, v22
	v_lshrrev_b32_e32 v7, 12, v18
	;; [unrolled: 1-line block ×3, first 2 shown]
	v_and_b32_e32 v6, 0xf0f0f0f, v6
	v_and_b32_e32 v7, 16, v7
	;; [unrolled: 1-line block ×3, first 2 shown]
	v_or3_b32 v7, v7, v6, v10
	v_lshlrev_b32_e32 v10, 2, v18
	v_lshlrev_b32_e32 v11, 9, v18
	v_and_b32_e32 v10, 0x100000, v10
	v_and_b32_e32 v11, 0x10000000, v11
	v_or3_b32 v6, v6, v10, v11
	v_and_b32_sdwa v10, v6, s15 dst_sel:DWORD dst_unused:UNUSED_PAD src0_sel:WORD_1 src1_sel:DWORD
	v_lshlrev_b16_sdwa v6, v210, v6 dst_sel:DWORD dst_unused:UNUSED_PAD src0_sel:DWORD src1_sel:WORD_1
	v_add_u16_e32 v10, 0xf000, v10
	v_add_u16_e32 v6, 0xf000, v6
	v_perm_b32 v6, v6, v10, s16
	v_lshlrev_b16_e32 v10, 8, v7
	v_add_u16_e32 v10, 0xf000, v10
	v_lshrrev_b16_e32 v10, 8, v10
	v_bitop3_b16 v7, v7, v10, s15 bitop3:0xec
	v_add_u16_e32 v7, 0xf000, v7
	v_lshl_or_b32 v6, v6, 16, v7
	ds_write2_b32 v109, v3, v6 offset1:1
	v_ashrrev_i32_e32 v3, v78, v17
	v_lshlrev_b32_e32 v7, 4, v3
	v_lshlrev_b32_e32 v10, 11, v3
	v_and_b32_e32 v6, 0xf0f0f0f, v16
	v_and_b32_e32 v7, 16, v7
	;; [unrolled: 1-line block ×3, first 2 shown]
	v_or3_b32 v7, v7, v6, v10
	v_lshlrev_b32_e32 v10, 18, v3
	v_lshlrev_b32_e32 v11, 25, v3
	v_and_b32_e32 v10, 0x100000, v10
	v_and_b32_e32 v11, 0x10000000, v11
	v_or3_b32 v6, v6, v10, v11
	v_and_b32_e32 v10, 0x1f00, v7
	v_lshlrev_b16_e32 v7, 8, v7
	v_add_u16_e32 v10, 0xf000, v10
	v_add_u16_e32 v7, 0xf000, v7
	v_perm_b32 v7, v7, v10, s16
	v_and_b32_sdwa v10, v6, s15 dst_sel:DWORD dst_unused:UNUSED_PAD src0_sel:WORD_1 src1_sel:DWORD
	v_lshlrev_b16_sdwa v6, v210, v6 dst_sel:DWORD dst_unused:UNUSED_PAD src0_sel:DWORD src1_sel:WORD_1
	v_add_u16_e32 v10, 0xf000, v10
	v_add_u16_e32 v6, 0xf000, v6
	v_perm_b32 v6, v6, v10, s16
	v_lshl_or_b32 v6, v6, 16, v7
	v_lshrrev_b32_e32 v7, 4, v16
	v_lshrrev_b32_e32 v10, 12, v3
	;; [unrolled: 1-line block ×3, first 2 shown]
	v_and_b32_e32 v7, 0xf0f0f0f, v7
	v_and_b32_e32 v10, 16, v10
	;; [unrolled: 1-line block ×3, first 2 shown]
	v_or3_b32 v10, v10, v7, v11
	v_lshlrev_b32_e32 v11, 2, v3
	v_lshlrev_b32_e32 v3, 9, v3
	v_and_b32_e32 v11, 0x100000, v11
	v_and_b32_e32 v3, 0x10000000, v3
	v_or3_b32 v3, v7, v11, v3
	v_and_b32_sdwa v7, v3, s15 dst_sel:DWORD dst_unused:UNUSED_PAD src0_sel:WORD_1 src1_sel:DWORD
	v_lshlrev_b16_sdwa v3, v210, v3 dst_sel:DWORD dst_unused:UNUSED_PAD src0_sel:DWORD src1_sel:WORD_1
	v_add_u16_e32 v7, 0xf000, v7
	v_add_u16_e32 v3, 0xf000, v3
	v_perm_b32 v3, v3, v7, s16
	v_lshlrev_b16_e32 v7, 8, v10
	v_add_u16_e32 v7, 0xf000, v7
	v_lshrrev_b16_e32 v7, 8, v7
	v_bitop3_b16 v7, v10, v7, s15 bitop3:0xec
	v_add_u16_e32 v7, 0xf000, v7
	v_lshl_or_b32 v3, v3, 16, v7
	ds_write2_b32 v111, v6, v3 offset1:1
	s_waitcnt vmcnt(0)
	v_ashrrev_i32_e32 v2, v78, v2
	v_lshlrev_b32_e32 v6, 4, v2
	v_lshlrev_b32_e32 v7, 11, v2
	v_and_b32_e32 v3, 0xf0f0f0f, v4
	v_and_b32_e32 v6, 16, v6
	;; [unrolled: 1-line block ×3, first 2 shown]
	v_or3_b32 v6, v6, v3, v7
	v_lshlrev_b32_e32 v7, 18, v2
	v_lshlrev_b32_e32 v10, 25, v2
	v_and_b32_e32 v7, 0x100000, v7
	v_and_b32_e32 v10, 0x10000000, v10
	v_or3_b32 v3, v3, v7, v10
	v_and_b32_e32 v7, 0x1f00, v6
	v_lshlrev_b16_e32 v6, 8, v6
	v_add_u16_e32 v7, 0xf000, v7
	v_add_u16_e32 v6, 0xf000, v6
	v_perm_b32 v6, v6, v7, s16
	v_and_b32_sdwa v7, v3, s15 dst_sel:DWORD dst_unused:UNUSED_PAD src0_sel:WORD_1 src1_sel:DWORD
	v_lshlrev_b16_sdwa v3, v210, v3 dst_sel:DWORD dst_unused:UNUSED_PAD src0_sel:DWORD src1_sel:WORD_1
	v_add_u16_e32 v7, 0xf000, v7
	v_add_u16_e32 v3, 0xf000, v3
	v_perm_b32 v3, v3, v7, s16
	v_lshl_or_b32 v3, v3, 16, v6
	v_lshrrev_b32_e32 v4, 4, v4
	v_lshrrev_b32_e32 v6, 12, v2
	;; [unrolled: 1-line block ×3, first 2 shown]
	v_and_b32_e32 v4, 0xf0f0f0f, v4
	v_and_b32_e32 v6, 16, v6
	;; [unrolled: 1-line block ×3, first 2 shown]
	v_or3_b32 v6, v6, v4, v7
	v_lshlrev_b32_e32 v7, 2, v2
	v_lshlrev_b32_e32 v2, 9, v2
	v_and_b32_e32 v7, 0x100000, v7
	v_and_b32_e32 v2, 0x10000000, v2
	v_or3_b32 v2, v4, v7, v2
	v_and_b32_sdwa v4, v2, s15 dst_sel:DWORD dst_unused:UNUSED_PAD src0_sel:WORD_1 src1_sel:DWORD
	v_lshlrev_b16_sdwa v2, v210, v2 dst_sel:DWORD dst_unused:UNUSED_PAD src0_sel:DWORD src1_sel:WORD_1
	v_add_u16_e32 v4, 0xf000, v4
	v_add_u16_e32 v2, 0xf000, v2
	v_perm_b32 v2, v2, v4, s16
	v_lshlrev_b16_e32 v4, 8, v6
	v_add_u16_e32 v4, 0xf000, v4
	v_lshrrev_b16_e32 v4, 8, v4
	v_bitop3_b16 v4, v6, v4, s15 bitop3:0xec
	v_add_u16_e32 v4, 0xf000, v4
	v_lshl_or_b32 v2, v2, 16, v4
	v_ashrrev_i32_e32 v1, v78, v1
	ds_write2_b32 v113, v3, v2 offset1:1
	v_lshlrev_b32_e32 v3, 4, v1
	v_lshlrev_b32_e32 v4, 11, v1
	v_and_b32_e32 v2, 0xf0f0f0f, v5
	v_and_b32_e32 v3, 16, v3
	;; [unrolled: 1-line block ×3, first 2 shown]
	v_or3_b32 v3, v3, v2, v4
	v_lshlrev_b32_e32 v4, 18, v1
	v_lshlrev_b32_e32 v6, 25, v1
	v_and_b32_e32 v4, 0x100000, v4
	v_and_b32_e32 v6, 0x10000000, v6
	v_or3_b32 v2, v2, v4, v6
	v_and_b32_e32 v4, 0x1f00, v3
	v_lshlrev_b16_e32 v3, 8, v3
	v_add_u16_e32 v4, 0xf000, v4
	v_add_u16_e32 v3, 0xf000, v3
	v_perm_b32 v3, v3, v4, s16
	v_and_b32_sdwa v4, v2, s15 dst_sel:DWORD dst_unused:UNUSED_PAD src0_sel:WORD_1 src1_sel:DWORD
	v_lshlrev_b16_sdwa v2, v210, v2 dst_sel:DWORD dst_unused:UNUSED_PAD src0_sel:DWORD src1_sel:WORD_1
	v_add_u16_e32 v4, 0xf000, v4
	v_add_u16_e32 v2, 0xf000, v2
	v_perm_b32 v2, v2, v4, s16
	v_lshl_or_b32 v2, v2, 16, v3
	v_lshrrev_b32_e32 v3, 4, v5
	v_lshrrev_b32_e32 v4, 12, v1
	;; [unrolled: 1-line block ×3, first 2 shown]
	v_and_b32_e32 v3, 0xf0f0f0f, v3
	v_and_b32_e32 v4, 16, v4
	;; [unrolled: 1-line block ×3, first 2 shown]
	v_or3_b32 v4, v4, v3, v5
	v_lshlrev_b32_e32 v5, 2, v1
	v_lshlrev_b32_e32 v1, 9, v1
	v_and_b32_e32 v5, 0x100000, v5
	v_and_b32_e32 v1, 0x10000000, v1
	v_or3_b32 v1, v3, v5, v1
	v_and_b32_sdwa v3, v1, s15 dst_sel:DWORD dst_unused:UNUSED_PAD src0_sel:WORD_1 src1_sel:DWORD
	v_lshlrev_b16_sdwa v1, v210, v1 dst_sel:DWORD dst_unused:UNUSED_PAD src0_sel:DWORD src1_sel:WORD_1
	v_add_u16_e32 v3, 0xf000, v3
	v_add_u16_e32 v1, 0xf000, v1
	v_perm_b32 v1, v1, v3, s16
	v_lshlrev_b16_e32 v3, 8, v4
	v_add_u16_e32 v3, 0xf000, v3
	v_lshrrev_b16_e32 v3, 8, v3
	v_bitop3_b16 v3, v4, v3, s15 bitop3:0xec
	v_add_u16_e32 v3, 0xf000, v3
	v_lshl_or_b32 v1, v1, 16, v3
	v_ashrrev_i32_e32 v10, v78, v0
	ds_write2_b32 v115, v2, v1 offset1:1
	v_lshlrev_b32_e32 v1, 4, v10
	v_lshlrev_b32_e32 v2, 11, v10
	v_and_b32_e32 v0, 0xf0f0f0f, v8
	v_and_b32_e32 v1, 16, v1
	;; [unrolled: 1-line block ×3, first 2 shown]
	v_or3_b32 v1, v1, v0, v2
	v_lshlrev_b32_e32 v2, 18, v10
	v_lshlrev_b32_e32 v3, 25, v10
	v_and_b32_e32 v2, 0x100000, v2
	v_and_b32_e32 v3, 0x10000000, v3
	v_or3_b32 v11, v0, v2, v3
	v_and_b32_e32 v0, 0x1f00, v1
	v_lshlrev_b16_e32 v1, 8, v1
	v_add_u16_e32 v0, 0xf000, v0
	v_add_u16_e32 v1, 0xf000, v1
	v_perm_b32 v13, v1, v0, s16
	v_and_b32_sdwa v0, v11, s15 dst_sel:DWORD dst_unused:UNUSED_PAD src0_sel:WORD_1 src1_sel:DWORD
	v_add_u16_e32 v14, 0xf000, v0
	v_mad_u64_u32 v[0:1], s[0:1], v116, 22, s[0:1]
	v_mad_u64_u32 v[2:3], s[0:1], v118, 22, v[0:1]
	;; [unrolled: 1-line block ×5, first 2 shown]
	global_load_ushort v2, v[2:3], off
	s_nop 0
	global_load_ushort v3, v[4:5], off
	s_nop 0
	global_load_ushort v4, v[6:7], off
	v_lshrrev_b32_e32 v5, 4, v8
	global_load_ushort v0, v[0:1], off
	v_lshrrev_b32_e32 v6, 12, v10
	v_lshrrev_b32_e32 v7, 5, v10
	v_and_b32_e32 v5, 0xf0f0f0f, v5
	v_and_b32_e32 v6, 16, v6
	;; [unrolled: 1-line block ×3, first 2 shown]
	v_or3_b32 v6, v6, v5, v7
	v_lshlrev_b32_e32 v7, 2, v10
	v_lshlrev_b32_e32 v8, 9, v10
	v_and_b32_e32 v7, 0x100000, v7
	v_and_b32_e32 v8, 0x10000000, v8
	v_or3_b32 v5, v5, v7, v8
	v_and_b32_sdwa v7, v5, s15 dst_sel:DWORD dst_unused:UNUSED_PAD src0_sel:WORD_1 src1_sel:DWORD
	v_lshlrev_b16_sdwa v5, v210, v5 dst_sel:DWORD dst_unused:UNUSED_PAD src0_sel:DWORD src1_sel:WORD_1
	v_add_u16_e32 v7, 0xf000, v7
	v_add_u16_e32 v5, 0xf000, v5
	v_perm_b32 v5, v5, v7, s16
	v_lshlrev_b16_e32 v7, 8, v6
	v_add_u16_e32 v7, 0xf000, v7
	v_lshlrev_b16_sdwa v1, v210, v11 dst_sel:DWORD dst_unused:UNUSED_PAD src0_sel:DWORD src1_sel:WORD_1
	v_lshrrev_b16_e32 v7, 8, v7
	v_add_u16_e32 v1, 0xf000, v1
	v_bitop3_b16 v6, v6, v7, s15 bitop3:0xec
	v_perm_b32 v1, v1, v14, s16
	v_add_u16_e32 v6, 0xf000, v6
	v_lshl_or_b32 v1, v1, 16, v13
	v_lshl_or_b32 v5, v5, 16, v6
	ds_write2_b32 v117, v1, v5 offset1:1
	v_ashrrev_i32_e32 v1, v78, v12
	v_lshlrev_b32_e32 v6, 4, v1
	v_lshlrev_b32_e32 v7, 11, v1
	v_and_b32_e32 v5, 0xf0f0f0f, v9
	v_and_b32_e32 v6, 16, v6
	;; [unrolled: 1-line block ×3, first 2 shown]
	v_or3_b32 v6, v6, v5, v7
	v_lshlrev_b32_e32 v7, 18, v1
	v_lshlrev_b32_e32 v8, 25, v1
	v_and_b32_e32 v7, 0x100000, v7
	v_and_b32_e32 v8, 0x10000000, v8
	v_or3_b32 v5, v5, v7, v8
	v_and_b32_e32 v7, 0x1f00, v6
	v_lshlrev_b16_e32 v6, 8, v6
	v_add_u16_e32 v7, 0xf000, v7
	v_add_u16_e32 v6, 0xf000, v6
	v_perm_b32 v6, v6, v7, s16
	v_and_b32_sdwa v7, v5, s15 dst_sel:DWORD dst_unused:UNUSED_PAD src0_sel:WORD_1 src1_sel:DWORD
	v_lshlrev_b16_sdwa v5, v210, v5 dst_sel:DWORD dst_unused:UNUSED_PAD src0_sel:DWORD src1_sel:WORD_1
	v_add_u16_e32 v7, 0xf000, v7
	v_add_u16_e32 v5, 0xf000, v5
	v_perm_b32 v5, v5, v7, s16
	v_lshl_or_b32 v5, v5, 16, v6
	v_lshrrev_b32_e32 v6, 4, v9
	v_lshrrev_b32_e32 v7, 12, v1
	;; [unrolled: 1-line block ×3, first 2 shown]
	v_and_b32_e32 v6, 0xf0f0f0f, v6
	v_and_b32_e32 v7, 16, v7
	;; [unrolled: 1-line block ×3, first 2 shown]
	v_or3_b32 v7, v7, v6, v8
	v_lshlrev_b32_e32 v8, 2, v1
	v_lshlrev_b32_e32 v1, 9, v1
	v_and_b32_e32 v8, 0x100000, v8
	v_and_b32_e32 v1, 0x10000000, v1
	v_or3_b32 v1, v6, v8, v1
	v_and_b32_sdwa v6, v1, s15 dst_sel:DWORD dst_unused:UNUSED_PAD src0_sel:WORD_1 src1_sel:DWORD
	v_lshlrev_b16_sdwa v1, v210, v1 dst_sel:DWORD dst_unused:UNUSED_PAD src0_sel:DWORD src1_sel:WORD_1
	v_add_u16_e32 v6, 0xf000, v6
	v_add_u16_e32 v1, 0xf000, v1
	v_perm_b32 v1, v1, v6, s16
	v_lshlrev_b16_e32 v6, 8, v7
	v_add_u16_e32 v6, 0xf000, v6
	v_lshrrev_b16_e32 v6, 8, v6
	v_bitop3_b16 v6, v7, v6, s15 bitop3:0xec
	v_add_u16_e32 v6, 0xf000, v6
	v_lshl_or_b32 v1, v1, 16, v6
	ds_write2_b32 v119, v5, v1 offset1:1
	s_waitcnt vmcnt(3)
	v_cvt_f32_f16_e32 v2, v2
	s_waitcnt vmcnt(2)
	v_cvt_f32_f16_e32 v1, v3
	;; [unrolled: 2-line block ×4, first 2 shown]
	ds_write_b32 v206, v2
	ds_write_b32 v207, v1
	;; [unrolled: 1-line block ×4, first 2 shown]
	s_cbranch_scc0 .LBB161_6
; %bb.8:                                ;   in Loop: Header=BB161_7 Depth=1
	v_add_u32_e32 v14, s14, v121
	v_add_u32_e32 v218, s14, v126
	;; [unrolled: 1-line block ×6, first 2 shown]
	v_mad_i64_i32 v[0:1], s[0:1], v0, 36, v[128:129]
	v_mad_i64_i32 v[2:3], s[0:1], v2, 36, v[128:129]
	;; [unrolled: 1-line block ×4, first 2 shown]
	v_add_u32_e32 v8, v14, v189
	v_add_u32_e32 v10, v14, v190
	;; [unrolled: 1-line block ×4, first 2 shown]
	v_mad_u64_u32 v[16:17], s[0:1], v218, 36, s[2:3]
	v_mad_i64_i32 v[8:9], s[0:1], v8, 36, v[128:129]
	v_mad_i64_i32 v[10:11], s[0:1], v10, 36, v[128:129]
	;; [unrolled: 1-line block ×4, first 2 shown]
	global_load_dword v16, v[16:17], off
	s_nop 0
	global_load_dword v0, v[0:1], off offset:4
	s_nop 0
	global_load_dword v1, v[2:3], off offset:4
	;; [unrolled: 2-line block ×3, first 2 shown]
	global_load_dword v3, v[6:7], off offset:4
	s_nop 0
	global_load_dword v4, v[8:9], off offset:4
	global_load_dword v5, v[10:11], off offset:4
	;; [unrolled: 1-line block ×4, first 2 shown]
	v_add_u32_e32 v219, v123, v147
	s_mov_b32 s0, -4
	v_mov_b32_e32 v220, v200
	v_mov_b32_e32 v221, v193
	;; [unrolled: 1-line block ×7, first 2 shown]
	s_waitcnt vmcnt(8)
	v_cvt_f32_f16_e32 v8, v16
	s_waitcnt vmcnt(7)
	ds_write_b32 v219, v0
	s_waitcnt vmcnt(6)
	ds_write_b32 v211, v1
	;; [unrolled: 2-line block ×8, first 2 shown]
	ds_write_b32 v125, v8
	s_waitcnt lgkmcnt(0)
	s_barrier
.LBB161_9:                              ;   Parent Loop BB161_7 Depth=1
                                        ; =>  This Inner Loop Header: Depth=2
	ds_read_b128 v[32:35], v220
	ds_read_b128 v[0:3], v220 offset:16
	ds_read2_b32 v[156:157], v222 offset1:32
	v_add_u32_e32 v138, 0x2080, v221
	v_add_u32_e32 v150, 0x4108, v221
	;; [unrolled: 1-line block ×5, first 2 shown]
	ds_read2_b32 v[136:137], v221 offset1:1
	ds_read2_b32 v[134:135], v221 offset0:2 offset1:3
	ds_read2_b32 v[132:133], v221 offset0:4 offset1:5
	;; [unrolled: 1-line block ×3, first 2 shown]
	v_add_u32_e32 v139, 0x2088, v221
	v_add_u32_e32 v141, 0x2090, v221
	;; [unrolled: 1-line block ×4, first 2 shown]
	ds_read_b32 v140, v223
	ds_read_b32 v142, v224
	;; [unrolled: 1-line block ×4, first 2 shown]
	v_add_u32_e32 v154, 0x6188, v221
	v_add_u32_e32 v155, 0x6190, v221
	;; [unrolled: 1-line block ×3, first 2 shown]
	ds_read_b128 v[36:39], v220 offset:1024
	ds_read_b128 v[4:7], v220 offset:1040
	;; [unrolled: 1-line block ×4, first 2 shown]
	ds_read2_b32 v[160:161], v222 offset0:64 offset1:96
	ds_read_b128 v[44:47], v220 offset:3072
	ds_read_b128 v[12:15], v220 offset:3088
	;; [unrolled: 1-line block ×4, first 2 shown]
	ds_read2_b32 v[166:167], v222 offset0:128 offset1:160
	ds_read_b128 v[20:23], v220 offset:5120
	ds_read_b128 v[24:27], v220 offset:6144
	ds_read2_b32 v[184:185], v222 offset0:192 offset1:224
	ds_read2_b32 v[182:183], v138 offset1:1
	ds_read2_b32 v[176:177], v139 offset1:1
	;; [unrolled: 1-line block ×12, first 2 shown]
	v_mov_b32_e32 v228, 0
	v_mov_b32_e32 v227, 0
	;; [unrolled: 1-line block ×4, first 2 shown]
	s_waitcnt lgkmcnt(14)
	v_dot4c_i32_i8_e32 v228, v136, v32
	s_waitcnt lgkmcnt(11)
	v_dot4c_i32_i8_e32 v227, v182, v32
	;; [unrolled: 2-line block ×4, first 2 shown]
	v_dot4c_i32_i8_e32 v228, v137, v0
	v_dot4c_i32_i8_e32 v227, v183, v0
	;; [unrolled: 1-line block ×7, first 2 shown]
	s_waitcnt lgkmcnt(2)
	v_dot4c_i32_i8_e32 v230, v172, v33
	v_dot4c_i32_i8_e32 v228, v135, v1
	;; [unrolled: 1-line block ×8, first 2 shown]
	s_waitcnt lgkmcnt(1)
	v_dot4c_i32_i8_e32 v230, v162, v34
	v_mov_b32_e32 v240, 0
	v_mov_b32_e32 v242, 0
	;; [unrolled: 1-line block ×3, first 2 shown]
	v_dot4c_i32_i8_e32 v228, v133, v2
	v_dot4c_i32_i8_e32 v227, v171, v2
	;; [unrolled: 1-line block ×4, first 2 shown]
	v_mov_b32_e32 v2, 0
	v_mov_b32_e32 v232, 0
	;; [unrolled: 1-line block ×9, first 2 shown]
	v_dot4c_i32_i8_e32 v240, v136, v28
	v_dot4c_i32_i8_e32 v242, v182, v28
	;; [unrolled: 1-line block ×40, first 2 shown]
	v_mov_b32_e32 v239, 0
	v_mov_b32_e32 v243, 0
	;; [unrolled: 1-line block ×4, first 2 shown]
	v_dot4c_i32_i8_e32 v232, v135, v5
	v_dot4c_i32_i8_e32 v231, v177, v5
	;; [unrolled: 1-line block ×43, first 2 shown]
	s_waitcnt lgkmcnt(0)
	v_dot4c_i32_i8_e32 v2, v152, v31
	ds_read_b128 v[28:31], v220 offset:7168
	v_dot4c_i32_i8_e32 v228, v130, v35
	v_dot4c_i32_i8_e32 v227, v148, v35
	;; [unrolled: 1-line block ×16, first 2 shown]
	ds_read_b128 v[32:35], v220 offset:5136
	ds_read_b128 v[40:43], v220 offset:6160
	;; [unrolled: 1-line block ×3, first 2 shown]
	v_dot4c_i32_i8_e32 v239, v135, v13
	v_dot4c_i32_i8_e32 v243, v177, v13
	v_dot4c_i32_i8_e32 v245, v175, v13
	v_dot4c_i32_i8_e32 v246, v173, v13
	v_dot4c_i32_i8_e32 v239, v132, v46
	v_dot4c_i32_i8_e32 v243, v170, v46
	v_dot4c_i32_i8_e32 v245, v168, v46
	v_dot4c_i32_i8_e32 v246, v162, v46
	v_mov_b32_e32 v241, 0
	v_dot4c_i32_i8_e32 v239, v133, v14
	v_dot4c_i32_i8_e32 v243, v171, v14
	;; [unrolled: 1-line block ×4, first 2 shown]
	v_mov_b32_e32 v14, 0
	v_mov_b32_e32 v18, 0
	v_dot4c_i32_i8_e32 v241, v136, v20
	v_dot4c_i32_i8_e32 v14, v136, v24
	s_waitcnt lgkmcnt(3)
	v_dot4c_i32_i8_e32 v18, v136, v28
	v_pk_mul_f32 v[138:139], v[140:141], v[156:157] op_sel_hi:[0,1]
	v_pk_mul_f32 v[0:1], v[142:143], v[156:157] op_sel_hi:[0,1]
	;; [unrolled: 1-line block ×9, first 2 shown]
	v_dot4c_i32_i8_e32 v239, v130, v47
	v_dot4c_i32_i8_e32 v243, v148, v47
	;; [unrolled: 1-line block ×4, first 2 shown]
	v_pk_mul_f32 v[12:13], v[142:143], v[166:167] op_sel_hi:[0,1]
	v_pk_mul_f32 v[44:45], v[144:145], v[166:167] op_sel_hi:[0,1]
	v_pk_mul_f32 v[46:47], v[146:147], v[166:167] op_sel_hi:[0,1]
	v_pk_mul_f32 v[166:167], v[140:141], v[184:185] op_sel_hi:[0,1]
	v_pk_mul_f32 v[140:141], v[142:143], v[184:185] op_sel_hi:[0,1]
	v_pk_mul_f32 v[142:143], v[144:145], v[184:185] op_sel_hi:[0,1]
	v_pk_mul_f32 v[144:145], v[146:147], v[184:185] op_sel_hi:[0,1]
	s_waitcnt lgkmcnt(2)
	v_dot4c_i32_i8_e32 v241, v137, v32
	s_waitcnt lgkmcnt(1)
	v_dot4c_i32_i8_e32 v14, v137, v40
	;; [unrolled: 2-line block ×3, first 2 shown]
	v_mov_b32_e32 v136, 0
	v_mov_b32_e32 v137, 0
	v_mov_b32_e32 v146, 0
	v_dot4c_i32_i8_e32 v136, v182, v20
	v_dot4c_i32_i8_e32 v137, v182, v24
	v_dot4c_i32_i8_e32 v146, v182, v28
	v_dot4c_i32_i8_e32 v136, v183, v32
	v_dot4c_i32_i8_e32 v137, v183, v40
	v_dot4c_i32_i8_e32 v146, v183, v36
	v_mov_b32_e32 v182, 0
	v_mov_b32_e32 v183, 0
	v_mov_b32_e32 v184, 0
	v_dot4c_i32_i8_e32 v182, v180, v20
	v_dot4c_i32_i8_e32 v183, v180, v24
	v_dot4c_i32_i8_e32 v184, v180, v28
	v_dot4c_i32_i8_e32 v182, v181, v32
	v_dot4c_i32_i8_e32 v183, v181, v40
	v_dot4c_i32_i8_e32 v184, v181, v36
	;; [unrolled: 9-line block ×3, first 2 shown]
	v_dot4c_i32_i8_e32 v241, v134, v21
	v_dot4c_i32_i8_e32 v14, v134, v25
	;; [unrolled: 1-line block ×92, first 2 shown]
	v_cvt_f32_i32_e32 v17, v232
	v_cvt_f32_i32_e32 v16, v228
	;; [unrolled: 1-line block ×32, first 2 shown]
	s_add_i32 s0, s0, 4
	v_add_u32_e32 v226, 4, v226
	v_add_u32_e32 v225, 4, v225
	;; [unrolled: 1-line block ×7, first 2 shown]
	s_cmp_lt_u32 s0, 12
	v_pk_fma_f32 v[88:89], v[138:139], v[16:17], v[88:89]
	v_pk_fma_f32 v[70:71], v[158:159], v[6:7], v[70:71]
	;; [unrolled: 1-line block ×16, first 2 shown]
	s_cbranch_scc1 .LBB161_9
; %bb.10:                               ;   in Loop: Header=BB161_7 Depth=1
	s_and_b32 s0, s9, -4
	s_cmp_eq_u32 s0, 4
	s_barrier
	s_cbranch_scc1 .LBB161_6
; %bb.11:                               ;   in Loop: Header=BB161_7 Depth=1
	v_add_u32_e32 v14, s14, v194
	v_add_u32_e32 v0, v14, v127
	;; [unrolled: 1-line block ×8, first 2 shown]
	v_mad_i64_i32 v[0:1], s[0:1], v0, 36, v[128:129]
	v_mad_i64_i32 v[2:3], s[0:1], v2, 36, v[128:129]
	;; [unrolled: 1-line block ×6, first 2 shown]
	v_add_u32_e32 v12, v14, v191
	v_add_u32_e32 v14, v14, v192
	v_mad_u64_u32 v[16:17], s[0:1], v16, 36, s[2:3]
	v_mad_i64_i32 v[12:13], s[0:1], v12, 36, v[128:129]
	v_mad_i64_i32 v[14:15], s[0:1], v14, 36, v[128:129]
	global_load_dword v16, v[16:17], off
	s_nop 0
	global_load_dword v0, v[0:1], off offset:4
	s_nop 0
	global_load_dword v2, v[2:3], off offset:4
	;; [unrolled: 2-line block ×6, first 2 shown]
	global_load_dword v9, v[12:13], off offset:4
	s_nop 0
	global_load_dword v10, v[14:15], off offset:4
	s_mov_b32 s0, 12
	v_mov_b32_e32 v1, v199
	v_mov_b32_e32 v3, v200
	;; [unrolled: 1-line block ×7, first 2 shown]
	s_waitcnt vmcnt(8)
	v_cvt_f32_f16_e32 v11, v16
	s_waitcnt vmcnt(7)
	ds_write_b32 v219, v0
	s_waitcnt vmcnt(6)
	ds_write_b32 v211, v2
	;; [unrolled: 2-line block ×8, first 2 shown]
	ds_write_b32 v125, v11
	s_waitcnt lgkmcnt(0)
	s_barrier
.LBB161_12:                             ;   Parent Loop BB161_7 Depth=1
                                        ; =>  This Inner Loop Header: Depth=2
	v_add_u32_e32 v2, 0x2080, v5
	ds_read_b128 v[130:133], v3
	ds_read_b128 v[134:137], v3 offset:16
	ds_read2_b32 v[40:41], v1 offset1:32
	ds_read_b32 v4, v13
	ds_read2_b32 v[10:11], v5 offset1:1
	ds_read2_b32 v[20:21], v5 offset0:2 offset1:3
	ds_read2_b32 v[26:27], v5 offset0:4 offset1:5
	;; [unrolled: 1-line block ×3, first 2 shown]
	ds_read_b32 v0, v42
	ds_read2_b32 v[6:7], v2 offset1:1
	v_add_u32_e32 v2, 0x2088, v5
	ds_read2_b32 v[14:15], v2 offset1:1
	v_add_u32_e32 v2, 0x2090, v5
	;; [unrolled: 2-line block ×3, first 2 shown]
	v_add_u32_e32 v8, 0x4100, v5
	v_add_u32_e32 v12, 0x4108, v5
	ds_read2_b32 v[32:33], v2 offset1:1
	ds_read_b32 v2, v43
	ds_read2_b32 v[8:9], v8 offset1:1
	ds_read2_b32 v[18:19], v12 offset1:1
	v_add_u32_e32 v12, 0x4110, v5
	ds_read2_b32 v[28:29], v12 offset1:1
	v_add_u32_e32 v12, 0x4118, v5
	v_add_u32_e32 v16, 0x6180, v5
	ds_read2_b32 v[36:37], v12 offset1:1
	ds_read_b32 v12, v44
	ds_read2_b32 v[16:17], v16 offset1:1
	v_add_u32_e32 v24, 0x6188, v5
	ds_read2_b32 v[24:25], v24 offset1:1
	v_add_u32_e32 v34, 0x6190, v5
	v_mov_b32_e32 v45, 0
	v_mov_b32_e32 v140, 0
	;; [unrolled: 1-line block ×4, first 2 shown]
	ds_read2_b32 v[34:35], v34 offset1:1
	s_waitcnt lgkmcnt(14)
	v_dot4c_i32_i8_e32 v45, v10, v130
	s_waitcnt lgkmcnt(12)
	v_dot4c_i32_i8_e32 v140, v6, v130
	;; [unrolled: 2-line block ×4, first 2 shown]
	v_add_u32_e32 v38, 0x6198, v5
	v_dot4c_i32_i8_e32 v45, v11, v134
	v_dot4c_i32_i8_e32 v140, v7, v134
	;; [unrolled: 1-line block ×4, first 2 shown]
	ds_read2_b32 v[38:39], v38 offset1:1
	v_dot4c_i32_i8_e32 v45, v20, v131
	v_dot4c_i32_i8_e32 v140, v14, v131
	v_dot4c_i32_i8_e32 v141, v18, v131
	s_waitcnt lgkmcnt(2)
	v_dot4c_i32_i8_e32 v142, v24, v131
	v_dot4c_i32_i8_e32 v45, v21, v135
	v_dot4c_i32_i8_e32 v140, v15, v135
	v_dot4c_i32_i8_e32 v141, v19, v135
	v_dot4c_i32_i8_e32 v142, v25, v135
	v_dot4c_i32_i8_e32 v45, v26, v132
	v_dot4c_i32_i8_e32 v140, v22, v132
	v_dot4c_i32_i8_e32 v141, v28, v132
	s_waitcnt lgkmcnt(1)
	v_dot4c_i32_i8_e32 v142, v34, v132
	v_dot4c_i32_i8_e32 v45, v27, v136
	v_dot4c_i32_i8_e32 v140, v23, v136
	v_dot4c_i32_i8_e32 v141, v29, v136
	v_dot4c_i32_i8_e32 v142, v35, v136
	;; [unrolled: 9-line block ×3, first 2 shown]
	ds_read_b128 v[130:133], v3 offset:1024
	ds_read_b128 v[134:137], v3 offset:1040
	v_mov_b32_e32 v138, 0
	v_pk_mul_f32 v[46:47], v[4:5], v[40:41] op_sel_hi:[0,1]
	s_add_i32 s0, s0, 4
	s_waitcnt lgkmcnt(1)
	v_dot4c_i32_i8_e32 v138, v10, v130
	s_waitcnt lgkmcnt(0)
	v_dot4c_i32_i8_e32 v138, v11, v134
	v_dot4c_i32_i8_e32 v138, v20, v131
	;; [unrolled: 1-line block ×7, first 2 shown]
	v_add_u32_e32 v44, 4, v44
	v_add_u32_e32 v43, 4, v43
	;; [unrolled: 1-line block ×3, first 2 shown]
	v_cvt_f32_i32_e32 v139, v138
	v_cvt_f32_i32_e32 v138, v45
	v_mov_b32_e32 v45, 0
	v_dot4c_i32_i8_e32 v45, v6, v130
	v_dot4c_i32_i8_e32 v45, v7, v134
	v_dot4c_i32_i8_e32 v45, v14, v131
	v_dot4c_i32_i8_e32 v45, v15, v135
	v_dot4c_i32_i8_e32 v45, v22, v132
	v_dot4c_i32_i8_e32 v45, v23, v136
	v_dot4c_i32_i8_e32 v45, v32, v133
	v_dot4c_i32_i8_e32 v45, v33, v137
	v_pk_fma_f32 v[88:89], v[46:47], v[138:139], v[88:89]
	v_cvt_f32_i32_e32 v138, v140
	v_pk_mul_f32 v[46:47], v[0:1], v[40:41] op_sel_hi:[0,1]
	v_cvt_f32_i32_e32 v139, v45
	v_mov_b32_e32 v45, 0
	v_dot4c_i32_i8_e32 v45, v8, v130
	v_dot4c_i32_i8_e32 v45, v9, v134
	v_dot4c_i32_i8_e32 v45, v18, v131
	v_dot4c_i32_i8_e32 v45, v19, v135
	v_dot4c_i32_i8_e32 v45, v28, v132
	v_dot4c_i32_i8_e32 v45, v29, v136
	v_dot4c_i32_i8_e32 v45, v36, v133
	v_dot4c_i32_i8_e32 v45, v37, v137
	v_pk_fma_f32 v[82:83], v[46:47], v[138:139], v[82:83]
	v_cvt_f32_i32_e32 v138, v141
	v_pk_mul_f32 v[46:47], v[2:3], v[40:41] op_sel_hi:[0,1]
	;; [unrolled: 13-line block ×3, first 2 shown]
	v_cvt_f32_i32_e32 v47, v45
	v_mov_b32_e32 v45, 0
	v_mov_b32_e32 v140, 0
	v_mov_b32_e32 v141, 0
	v_pk_fma_f32 v[72:73], v[40:41], v[46:47], v[72:73]
	ds_read_b128 v[130:133], v3 offset:2048
	ds_read_b128 v[134:137], v3 offset:2064
	ds_read2_b32 v[40:41], v1 offset0:64 offset1:96
	v_mov_b32_e32 v142, 0
	v_mov_b32_e32 v138, 0
	s_waitcnt lgkmcnt(2)
	v_dot4c_i32_i8_e32 v45, v10, v130
	v_dot4c_i32_i8_e32 v140, v6, v130
	;; [unrolled: 1-line block ×4, first 2 shown]
	s_waitcnt lgkmcnt(1)
	v_dot4c_i32_i8_e32 v45, v11, v134
	v_dot4c_i32_i8_e32 v140, v7, v134
	;; [unrolled: 1-line block ×28, first 2 shown]
	ds_read_b128 v[130:133], v3 offset:3072
	ds_read_b128 v[134:137], v3 offset:3088
	s_waitcnt lgkmcnt(2)
	v_pk_mul_f32 v[46:47], v[4:5], v[40:41] op_sel_hi:[0,1]
	s_cmp_lt_u32 s0, 28
	s_waitcnt lgkmcnt(1)
	v_dot4c_i32_i8_e32 v138, v10, v130
	s_waitcnt lgkmcnt(0)
	v_dot4c_i32_i8_e32 v138, v11, v134
	v_dot4c_i32_i8_e32 v138, v20, v131
	;; [unrolled: 1-line block ×7, first 2 shown]
	s_nop 2
	v_cvt_f32_i32_e32 v139, v138
	v_cvt_f32_i32_e32 v138, v45
	v_mov_b32_e32 v45, 0
	v_dot4c_i32_i8_e32 v45, v6, v130
	v_dot4c_i32_i8_e32 v45, v7, v134
	v_dot4c_i32_i8_e32 v45, v14, v131
	v_dot4c_i32_i8_e32 v45, v15, v135
	v_dot4c_i32_i8_e32 v45, v22, v132
	v_dot4c_i32_i8_e32 v45, v23, v136
	v_dot4c_i32_i8_e32 v45, v32, v133
	v_dot4c_i32_i8_e32 v45, v33, v137
	v_pk_fma_f32 v[70:71], v[46:47], v[138:139], v[70:71]
	v_cvt_f32_i32_e32 v138, v140
	v_pk_mul_f32 v[46:47], v[0:1], v[40:41] op_sel_hi:[0,1]
	v_cvt_f32_i32_e32 v139, v45
	v_mov_b32_e32 v45, 0
	v_dot4c_i32_i8_e32 v45, v8, v130
	v_dot4c_i32_i8_e32 v45, v9, v134
	v_dot4c_i32_i8_e32 v45, v18, v131
	v_dot4c_i32_i8_e32 v45, v19, v135
	v_dot4c_i32_i8_e32 v45, v28, v132
	v_dot4c_i32_i8_e32 v45, v29, v136
	v_dot4c_i32_i8_e32 v45, v36, v133
	v_dot4c_i32_i8_e32 v45, v37, v137
	v_pk_fma_f32 v[68:69], v[46:47], v[138:139], v[68:69]
	v_cvt_f32_i32_e32 v138, v141
	v_pk_mul_f32 v[46:47], v[2:3], v[40:41] op_sel_hi:[0,1]
	;; [unrolled: 13-line block ×3, first 2 shown]
	v_cvt_f32_i32_e32 v47, v45
	v_mov_b32_e32 v45, 0
	v_mov_b32_e32 v140, 0
	;; [unrolled: 1-line block ×3, first 2 shown]
	v_pk_fma_f32 v[64:65], v[40:41], v[46:47], v[64:65]
	ds_read_b128 v[130:133], v3 offset:4096
	ds_read_b128 v[134:137], v3 offset:4112
	ds_read2_b32 v[40:41], v1 offset0:128 offset1:160
	v_mov_b32_e32 v142, 0
	v_mov_b32_e32 v138, 0
	s_waitcnt lgkmcnt(2)
	v_dot4c_i32_i8_e32 v45, v10, v130
	v_dot4c_i32_i8_e32 v140, v6, v130
	v_dot4c_i32_i8_e32 v141, v8, v130
	v_dot4c_i32_i8_e32 v142, v16, v130
	s_waitcnt lgkmcnt(1)
	v_dot4c_i32_i8_e32 v45, v11, v134
	v_dot4c_i32_i8_e32 v140, v7, v134
	;; [unrolled: 1-line block ×28, first 2 shown]
	ds_read_b128 v[130:133], v3 offset:5120
	ds_read_b128 v[134:137], v3 offset:5136
	s_waitcnt lgkmcnt(2)
	v_pk_mul_f32 v[46:47], v[4:5], v[40:41] op_sel_hi:[0,1]
	s_waitcnt lgkmcnt(1)
	v_dot4c_i32_i8_e32 v138, v10, v130
	s_waitcnt lgkmcnt(0)
	v_dot4c_i32_i8_e32 v138, v11, v134
	v_dot4c_i32_i8_e32 v138, v20, v131
	;; [unrolled: 1-line block ×7, first 2 shown]
	s_nop 2
	v_cvt_f32_i32_e32 v139, v138
	v_cvt_f32_i32_e32 v138, v45
	v_mov_b32_e32 v45, 0
	v_dot4c_i32_i8_e32 v45, v6, v130
	v_dot4c_i32_i8_e32 v45, v7, v134
	v_dot4c_i32_i8_e32 v45, v14, v131
	v_dot4c_i32_i8_e32 v45, v15, v135
	v_dot4c_i32_i8_e32 v45, v22, v132
	v_dot4c_i32_i8_e32 v45, v23, v136
	v_dot4c_i32_i8_e32 v45, v32, v133
	v_dot4c_i32_i8_e32 v45, v33, v137
	v_pk_fma_f32 v[62:63], v[46:47], v[138:139], v[62:63]
	v_cvt_f32_i32_e32 v138, v140
	v_pk_mul_f32 v[46:47], v[0:1], v[40:41] op_sel_hi:[0,1]
	v_cvt_f32_i32_e32 v139, v45
	v_mov_b32_e32 v45, 0
	v_dot4c_i32_i8_e32 v45, v8, v130
	v_dot4c_i32_i8_e32 v45, v9, v134
	v_dot4c_i32_i8_e32 v45, v18, v131
	v_dot4c_i32_i8_e32 v45, v19, v135
	v_dot4c_i32_i8_e32 v45, v28, v132
	v_dot4c_i32_i8_e32 v45, v29, v136
	v_dot4c_i32_i8_e32 v45, v36, v133
	v_dot4c_i32_i8_e32 v45, v37, v137
	v_pk_fma_f32 v[60:61], v[46:47], v[138:139], v[60:61]
	v_cvt_f32_i32_e32 v138, v141
	v_pk_mul_f32 v[46:47], v[2:3], v[40:41] op_sel_hi:[0,1]
	;; [unrolled: 13-line block ×3, first 2 shown]
	v_cvt_f32_i32_e32 v47, v45
	v_mov_b32_e32 v45, 0
	v_mov_b32_e32 v138, 0
	;; [unrolled: 1-line block ×3, first 2 shown]
	v_pk_fma_f32 v[56:57], v[40:41], v[46:47], v[56:57]
	ds_read_b128 v[130:133], v3 offset:6144
	ds_read_b128 v[134:137], v3 offset:6160
	ds_read2_b32 v[40:41], v1 offset0:192 offset1:224
	v_mov_b32_e32 v46, 0
	v_mov_b32_e32 v47, 0
	s_waitcnt lgkmcnt(2)
	v_dot4c_i32_i8_e32 v45, v10, v130
	v_dot4c_i32_i8_e32 v46, v6, v130
	;; [unrolled: 1-line block ×4, first 2 shown]
	s_waitcnt lgkmcnt(1)
	v_dot4c_i32_i8_e32 v45, v11, v134
	v_dot4c_i32_i8_e32 v46, v7, v134
	;; [unrolled: 1-line block ×28, first 2 shown]
	ds_read_b128 v[130:133], v3 offset:7168
	ds_read_b128 v[134:137], v3 offset:7184
	s_waitcnt lgkmcnt(1)
	v_dot4c_i32_i8_e32 v139, v10, v130
	s_waitcnt lgkmcnt(0)
	v_dot4c_i32_i8_e32 v139, v11, v134
	v_pk_mul_f32 v[10:11], v[4:5], v[40:41] op_sel_hi:[0,1]
	v_mov_b32_e32 v4, 0
	v_dot4c_i32_i8_e32 v4, v6, v130
	v_dot4c_i32_i8_e32 v4, v7, v134
	v_pk_mul_f32 v[6:7], v[0:1], v[40:41] op_sel_hi:[0,1]
	v_mov_b32_e32 v0, 0
	v_dot4c_i32_i8_e32 v0, v8, v130
	v_dot4c_i32_i8_e32 v0, v9, v134
	;; [unrolled: 1-line block ×16, first 2 shown]
	v_cvt_f32_i32_e32 v20, v45
	v_cvt_f32_i32_e32 v21, v139
	v_dot4c_i32_i8_e32 v4, v22, v132
	v_cvt_f32_i32_e32 v9, v0
	v_mov_b32_e32 v0, 0
	v_dot4c_i32_i8_e32 v4, v23, v136
	v_dot4c_i32_i8_e32 v0, v16, v130
	;; [unrolled: 1-line block ×6, first 2 shown]
	v_pk_fma_f32 v[54:55], v[10:11], v[20:21], v[54:55]
	v_cvt_f32_i32_e32 v10, v46
	v_cvt_f32_i32_e32 v11, v4
	v_dot4c_i32_i8_e32 v0, v25, v135
	v_cvt_f32_i32_e32 v8, v47
	v_dot4c_i32_i8_e32 v0, v34, v132
	v_dot4c_i32_i8_e32 v0, v35, v136
	;; [unrolled: 1-line block ×3, first 2 shown]
	v_pk_fma_f32 v[52:53], v[6:7], v[10:11], v[52:53]
	v_pk_mul_f32 v[6:7], v[2:3], v[40:41] op_sel_hi:[0,1]
	v_dot4c_i32_i8_e32 v0, v39, v137
	v_pk_fma_f32 v[50:51], v[6:7], v[8:9], v[50:51]
	v_cvt_f32_i32_e32 v8, v138
	v_pk_mul_f32 v[6:7], v[12:13], v[40:41] op_sel_hi:[0,1]
	v_cvt_f32_i32_e32 v9, v0
	v_add_u32_e32 v13, 4, v13
	v_add_u32_e32 v5, 32, v5
	;; [unrolled: 1-line block ×3, first 2 shown]
	v_pk_fma_f32 v[48:49], v[6:7], v[8:9], v[48:49]
	v_add_u32_e32 v1, 4, v1
	s_cbranch_scc1 .LBB161_12
; %bb.13:                               ;   in Loop: Header=BB161_7 Depth=1
	s_barrier
	s_branch .LBB161_6
.LBB161_14:
	v_mov_b32_e32 v1, v81
	v_cmp_gt_u32_e32 vcc, s8, v85
	s_and_saveexec_b64 s[0:1], vcc
	s_cbranch_execz .LBB161_3
.LBB161_15:
	v_add_u32_e32 v0, s4, v77
	v_mul_lo_u32 v5, v85, s10
	v_cmp_gt_u32_e64 s[0:1], s10, v0
	s_and_saveexec_b64 s[2:3], s[0:1]
	s_cbranch_execz .LBB161_17
; %bb.16:
	v_bfe_u32 v2, v88, 16, 1
	s_movk_i32 s4, 0x7fff
	v_add3_u32 v2, v88, v2, s4
	v_cmp_o_f32_e32 vcc, v88, v88
	v_mov_b32_e32 v3, 0x7fc0
	s_nop 0
	v_cndmask_b32_sdwa v4, v3, v2, vcc dst_sel:DWORD dst_unused:UNUSED_PAD src0_sel:DWORD src1_sel:WORD_1
	v_add_u32_e32 v2, v0, v5
	v_mov_b32_e32 v3, 0
	s_waitcnt lgkmcnt(0)
	v_lshl_add_u64 v[2:3], v[2:3], 1, s[12:13]
	global_store_short v[2:3], v4, off
.LBB161_17:
	s_or_b64 exec, exec, s[2:3]
	v_add_u32_e32 v2, 32, v0
	v_cmp_gt_u32_e64 s[2:3], s10, v2
	s_and_saveexec_b64 s[4:5], s[2:3]
	s_cbranch_execz .LBB161_19
; %bb.18:
	v_bfe_u32 v3, v82, 16, 1
	s_movk_i32 s6, 0x7fff
	v_add3_u32 v3, v82, v3, s6
	v_cmp_o_f32_e32 vcc, v82, v82
	v_mov_b32_e32 v4, 0x7fc0
	v_add_u32_e32 v6, v2, v5
	v_mov_b32_e32 v7, 0
	v_cndmask_b32_sdwa v3, v4, v3, vcc dst_sel:DWORD dst_unused:UNUSED_PAD src0_sel:DWORD src1_sel:WORD_1
	s_waitcnt lgkmcnt(0)
	v_lshl_add_u64 v[6:7], v[6:7], 1, s[12:13]
	global_store_short v[6:7], v3, off
.LBB161_19:
	s_or_b64 exec, exec, s[4:5]
	v_add_u32_e32 v3, 64, v0
	v_cmp_gt_u32_e64 s[4:5], s10, v3
	s_and_saveexec_b64 s[6:7], s[4:5]
	s_cbranch_execz .LBB161_21
; %bb.20:
	v_bfe_u32 v4, v74, 16, 1
	s_movk_i32 s9, 0x7fff
	v_add3_u32 v4, v74, v4, s9
	v_cmp_o_f32_e32 vcc, v74, v74
	v_mov_b32_e32 v6, 0x7fc0
	v_mov_b32_e32 v7, 0
	v_cndmask_b32_sdwa v4, v6, v4, vcc dst_sel:DWORD dst_unused:UNUSED_PAD src0_sel:DWORD src1_sel:WORD_1
	v_add_u32_e32 v6, v3, v5
	s_waitcnt lgkmcnt(0)
	v_lshl_add_u64 v[6:7], v[6:7], 1, s[12:13]
	global_store_short v[6:7], v4, off
.LBB161_21:
	s_or_b64 exec, exec, s[6:7]
	v_add_u32_e32 v4, 0x60, v0
	v_cmp_gt_u32_e64 s[6:7], s10, v4
	s_and_saveexec_b64 s[14:15], s[6:7]
	s_cbranch_execz .LBB161_23
; %bb.22:
	v_bfe_u32 v6, v72, 16, 1
	s_movk_i32 s9, 0x7fff
	v_add3_u32 v6, v72, v6, s9
	v_cmp_o_f32_e32 vcc, v72, v72
	v_mov_b32_e32 v7, 0x7fc0
	s_nop 0
	v_cndmask_b32_sdwa v8, v7, v6, vcc dst_sel:DWORD dst_unused:UNUSED_PAD src0_sel:DWORD src1_sel:WORD_1
	v_add_u32_e32 v6, v4, v5
	v_mov_b32_e32 v7, 0
	s_waitcnt lgkmcnt(0)
	v_lshl_add_u64 v[6:7], v[6:7], 1, s[12:13]
	global_store_short v[6:7], v8, off
.LBB161_23:
	s_or_b64 exec, exec, s[14:15]
	v_add3_u32 v5, v1, s11, 8
	v_cmp_gt_u32_e32 vcc, s8, v5
	s_and_b64 exec, exec, vcc
	s_cbranch_execz .LBB161_3
; %bb.24:
	v_mul_lo_u32 v5, v5, s10
	s_and_saveexec_b64 s[14:15], s[0:1]
	s_cbranch_execnz .LBB161_64
; %bb.25:
	s_or_b64 exec, exec, s[14:15]
	s_and_saveexec_b64 s[14:15], s[2:3]
	s_cbranch_execnz .LBB161_65
.LBB161_26:
	s_or_b64 exec, exec, s[14:15]
	s_and_saveexec_b64 s[14:15], s[4:5]
	s_cbranch_execnz .LBB161_66
.LBB161_27:
	s_or_b64 exec, exec, s[14:15]
	s_and_saveexec_b64 s[14:15], s[6:7]
	s_cbranch_execz .LBB161_29
.LBB161_28:
	v_bfe_u32 v6, v73, 16, 1
	s_movk_i32 s9, 0x7fff
	v_add3_u32 v6, v73, v6, s9
	v_cmp_o_f32_e32 vcc, v73, v73
	v_mov_b32_e32 v7, 0x7fc0
	s_nop 0
	v_cndmask_b32_sdwa v8, v7, v6, vcc dst_sel:DWORD dst_unused:UNUSED_PAD src0_sel:DWORD src1_sel:WORD_1
	v_add_u32_e32 v6, v5, v4
	v_mov_b32_e32 v7, 0
	s_waitcnt lgkmcnt(0)
	v_lshl_add_u64 v[6:7], v[6:7], 1, s[12:13]
	global_store_short v[6:7], v8, off
.LBB161_29:
	s_or_b64 exec, exec, s[14:15]
	v_add3_u32 v5, v1, s11, 16
	v_cmp_gt_u32_e32 vcc, s8, v5
	s_and_b64 exec, exec, vcc
	s_cbranch_execz .LBB161_3
; %bb.30:
	v_mul_lo_u32 v5, v5, s10
	s_and_saveexec_b64 s[14:15], s[0:1]
	s_cbranch_execnz .LBB161_67
; %bb.31:
	s_or_b64 exec, exec, s[14:15]
	s_and_saveexec_b64 s[14:15], s[2:3]
	s_cbranch_execnz .LBB161_68
.LBB161_32:
	s_or_b64 exec, exec, s[14:15]
	s_and_saveexec_b64 s[14:15], s[4:5]
	s_cbranch_execnz .LBB161_69
.LBB161_33:
	s_or_b64 exec, exec, s[14:15]
	s_and_saveexec_b64 s[14:15], s[6:7]
	s_cbranch_execz .LBB161_35
.LBB161_34:
	v_bfe_u32 v6, v64, 16, 1
	s_movk_i32 s9, 0x7fff
	v_add3_u32 v6, v64, v6, s9
	v_cmp_o_f32_e32 vcc, v64, v64
	v_mov_b32_e32 v7, 0x7fc0
	s_nop 0
	v_cndmask_b32_sdwa v8, v7, v6, vcc dst_sel:DWORD dst_unused:UNUSED_PAD src0_sel:DWORD src1_sel:WORD_1
	v_add_u32_e32 v6, v5, v4
	v_mov_b32_e32 v7, 0
	s_waitcnt lgkmcnt(0)
	v_lshl_add_u64 v[6:7], v[6:7], 1, s[12:13]
	global_store_short v[6:7], v8, off
.LBB161_35:
	s_or_b64 exec, exec, s[14:15]
	v_add3_u32 v5, v1, s11, 24
	v_cmp_gt_u32_e32 vcc, s8, v5
	s_and_b64 exec, exec, vcc
	s_cbranch_execz .LBB161_3
; %bb.36:
	v_mul_lo_u32 v5, v5, s10
	s_and_saveexec_b64 s[14:15], s[0:1]
	s_cbranch_execnz .LBB161_70
; %bb.37:
	s_or_b64 exec, exec, s[14:15]
	s_and_saveexec_b64 s[14:15], s[2:3]
	s_cbranch_execnz .LBB161_71
.LBB161_38:
	s_or_b64 exec, exec, s[14:15]
	s_and_saveexec_b64 s[14:15], s[4:5]
	s_cbranch_execnz .LBB161_72
.LBB161_39:
	s_or_b64 exec, exec, s[14:15]
	s_and_saveexec_b64 s[14:15], s[6:7]
	s_cbranch_execz .LBB161_41
.LBB161_40:
	v_bfe_u32 v6, v65, 16, 1
	s_movk_i32 s9, 0x7fff
	v_add3_u32 v6, v65, v6, s9
	v_cmp_o_f32_e32 vcc, v65, v65
	v_mov_b32_e32 v7, 0x7fc0
	s_nop 0
	v_cndmask_b32_sdwa v8, v7, v6, vcc dst_sel:DWORD dst_unused:UNUSED_PAD src0_sel:DWORD src1_sel:WORD_1
	v_add_u32_e32 v6, v5, v4
	v_mov_b32_e32 v7, 0
	s_waitcnt lgkmcnt(0)
	v_lshl_add_u64 v[6:7], v[6:7], 1, s[12:13]
	global_store_short v[6:7], v8, off
.LBB161_41:
	s_or_b64 exec, exec, s[14:15]
	v_add3_u32 v5, v1, s11, 32
	v_cmp_gt_u32_e32 vcc, s8, v5
	s_and_b64 exec, exec, vcc
	s_cbranch_execz .LBB161_3
; %bb.42:
	v_mul_lo_u32 v5, v5, s10
	s_and_saveexec_b64 s[14:15], s[0:1]
	s_cbranch_execnz .LBB161_73
; %bb.43:
	s_or_b64 exec, exec, s[14:15]
	s_and_saveexec_b64 s[14:15], s[2:3]
	s_cbranch_execnz .LBB161_74
.LBB161_44:
	s_or_b64 exec, exec, s[14:15]
	s_and_saveexec_b64 s[14:15], s[4:5]
	s_cbranch_execnz .LBB161_75
.LBB161_45:
	s_or_b64 exec, exec, s[14:15]
	s_and_saveexec_b64 s[14:15], s[6:7]
	s_cbranch_execz .LBB161_47
.LBB161_46:
	v_bfe_u32 v6, v56, 16, 1
	s_movk_i32 s9, 0x7fff
	v_add3_u32 v6, v56, v6, s9
	v_cmp_o_f32_e32 vcc, v56, v56
	v_mov_b32_e32 v7, 0x7fc0
	s_nop 0
	v_cndmask_b32_sdwa v8, v7, v6, vcc dst_sel:DWORD dst_unused:UNUSED_PAD src0_sel:DWORD src1_sel:WORD_1
	v_add_u32_e32 v6, v5, v4
	v_mov_b32_e32 v7, 0
	s_waitcnt lgkmcnt(0)
	v_lshl_add_u64 v[6:7], v[6:7], 1, s[12:13]
	global_store_short v[6:7], v8, off
.LBB161_47:
	s_or_b64 exec, exec, s[14:15]
	v_add3_u32 v5, v1, s11, 40
	v_cmp_gt_u32_e32 vcc, s8, v5
	s_and_b64 exec, exec, vcc
	s_cbranch_execz .LBB161_3
; %bb.48:
	v_mul_lo_u32 v5, v5, s10
	s_and_saveexec_b64 s[14:15], s[0:1]
	s_cbranch_execnz .LBB161_76
; %bb.49:
	s_or_b64 exec, exec, s[14:15]
	s_and_saveexec_b64 s[14:15], s[2:3]
	s_cbranch_execnz .LBB161_77
.LBB161_50:
	s_or_b64 exec, exec, s[14:15]
	s_and_saveexec_b64 s[14:15], s[4:5]
	s_cbranch_execnz .LBB161_78
.LBB161_51:
	s_or_b64 exec, exec, s[14:15]
	s_and_saveexec_b64 s[14:15], s[6:7]
	s_cbranch_execz .LBB161_53
.LBB161_52:
	v_bfe_u32 v6, v57, 16, 1
	s_movk_i32 s9, 0x7fff
	v_add3_u32 v6, v57, v6, s9
	v_cmp_o_f32_e32 vcc, v57, v57
	v_mov_b32_e32 v7, 0x7fc0
	s_nop 0
	v_cndmask_b32_sdwa v8, v7, v6, vcc dst_sel:DWORD dst_unused:UNUSED_PAD src0_sel:DWORD src1_sel:WORD_1
	v_add_u32_e32 v6, v5, v4
	v_mov_b32_e32 v7, 0
	s_waitcnt lgkmcnt(0)
	v_lshl_add_u64 v[6:7], v[6:7], 1, s[12:13]
	global_store_short v[6:7], v8, off
.LBB161_53:
	s_or_b64 exec, exec, s[14:15]
	v_add3_u32 v5, v1, s11, 48
	v_cmp_gt_u32_e32 vcc, s8, v5
	s_and_b64 exec, exec, vcc
	s_cbranch_execz .LBB161_3
; %bb.54:
	v_mul_lo_u32 v5, v5, s10
	s_and_saveexec_b64 s[14:15], s[0:1]
	s_cbranch_execnz .LBB161_79
; %bb.55:
	s_or_b64 exec, exec, s[14:15]
	s_and_saveexec_b64 s[14:15], s[2:3]
	s_cbranch_execnz .LBB161_80
.LBB161_56:
	s_or_b64 exec, exec, s[14:15]
	s_and_saveexec_b64 s[14:15], s[4:5]
	s_cbranch_execnz .LBB161_81
.LBB161_57:
	s_or_b64 exec, exec, s[14:15]
	s_and_saveexec_b64 s[14:15], s[6:7]
	s_cbranch_execz .LBB161_59
.LBB161_58:
	v_bfe_u32 v6, v48, 16, 1
	s_movk_i32 s9, 0x7fff
	v_add3_u32 v6, v48, v6, s9
	v_cmp_o_f32_e32 vcc, v48, v48
	v_mov_b32_e32 v7, 0x7fc0
	s_nop 0
	v_cndmask_b32_sdwa v8, v7, v6, vcc dst_sel:DWORD dst_unused:UNUSED_PAD src0_sel:DWORD src1_sel:WORD_1
	v_add_u32_e32 v6, v5, v4
	v_mov_b32_e32 v7, 0
	s_waitcnt lgkmcnt(0)
	v_lshl_add_u64 v[6:7], v[6:7], 1, s[12:13]
	global_store_short v[6:7], v8, off
.LBB161_59:
	s_or_b64 exec, exec, s[14:15]
	v_add3_u32 v1, v1, s11, 56
	v_cmp_gt_u32_e32 vcc, s8, v1
	s_and_b64 exec, exec, vcc
	s_cbranch_execz .LBB161_3
; %bb.60:
	v_mul_lo_u32 v1, v1, s10
	s_and_saveexec_b64 s[8:9], s[0:1]
	s_cbranch_execnz .LBB161_82
; %bb.61:
	s_or_b64 exec, exec, s[8:9]
	s_and_saveexec_b64 s[0:1], s[2:3]
	s_cbranch_execnz .LBB161_83
.LBB161_62:
	s_or_b64 exec, exec, s[0:1]
	s_and_saveexec_b64 s[0:1], s[4:5]
	s_cbranch_execnz .LBB161_84
.LBB161_63:
	s_or_b64 exec, exec, s[0:1]
	s_and_b64 exec, exec, s[6:7]
	s_cbranch_execz .LBB161_3
	s_branch .LBB161_85
.LBB161_64:
	v_bfe_u32 v6, v89, 16, 1
	s_movk_i32 s9, 0x7fff
	v_add3_u32 v6, v89, v6, s9
	v_cmp_o_f32_e32 vcc, v89, v89
	v_mov_b32_e32 v7, 0x7fc0
	s_nop 0
	v_cndmask_b32_sdwa v8, v7, v6, vcc dst_sel:DWORD dst_unused:UNUSED_PAD src0_sel:DWORD src1_sel:WORD_1
	v_add_u32_e32 v6, v5, v0
	v_mov_b32_e32 v7, 0
	s_waitcnt lgkmcnt(0)
	v_lshl_add_u64 v[6:7], v[6:7], 1, s[12:13]
	global_store_short v[6:7], v8, off
	s_or_b64 exec, exec, s[14:15]
	s_and_saveexec_b64 s[14:15], s[2:3]
	s_cbranch_execz .LBB161_26
.LBB161_65:
	v_bfe_u32 v6, v83, 16, 1
	s_movk_i32 s9, 0x7fff
	v_add3_u32 v6, v83, v6, s9
	v_cmp_o_f32_e32 vcc, v83, v83
	v_mov_b32_e32 v7, 0x7fc0
	s_nop 0
	v_cndmask_b32_sdwa v8, v7, v6, vcc dst_sel:DWORD dst_unused:UNUSED_PAD src0_sel:DWORD src1_sel:WORD_1
	v_add_u32_e32 v6, v5, v2
	v_mov_b32_e32 v7, 0
	s_waitcnt lgkmcnt(0)
	v_lshl_add_u64 v[6:7], v[6:7], 1, s[12:13]
	global_store_short v[6:7], v8, off
	s_or_b64 exec, exec, s[14:15]
	s_and_saveexec_b64 s[14:15], s[4:5]
	s_cbranch_execz .LBB161_27
.LBB161_66:
	v_bfe_u32 v6, v75, 16, 1
	s_movk_i32 s9, 0x7fff
	v_add3_u32 v6, v75, v6, s9
	v_cmp_o_f32_e32 vcc, v75, v75
	v_mov_b32_e32 v7, 0x7fc0
	s_nop 0
	v_cndmask_b32_sdwa v8, v7, v6, vcc dst_sel:DWORD dst_unused:UNUSED_PAD src0_sel:DWORD src1_sel:WORD_1
	v_add_u32_e32 v6, v5, v3
	v_mov_b32_e32 v7, 0
	s_waitcnt lgkmcnt(0)
	v_lshl_add_u64 v[6:7], v[6:7], 1, s[12:13]
	global_store_short v[6:7], v8, off
	s_or_b64 exec, exec, s[14:15]
	s_and_saveexec_b64 s[14:15], s[6:7]
	s_cbranch_execnz .LBB161_28
	s_branch .LBB161_29
.LBB161_67:
	v_bfe_u32 v6, v70, 16, 1
	s_movk_i32 s9, 0x7fff
	v_add3_u32 v6, v70, v6, s9
	v_cmp_o_f32_e32 vcc, v70, v70
	v_mov_b32_e32 v7, 0x7fc0
	s_nop 0
	v_cndmask_b32_sdwa v8, v7, v6, vcc dst_sel:DWORD dst_unused:UNUSED_PAD src0_sel:DWORD src1_sel:WORD_1
	v_add_u32_e32 v6, v5, v0
	v_mov_b32_e32 v7, 0
	s_waitcnt lgkmcnt(0)
	v_lshl_add_u64 v[6:7], v[6:7], 1, s[12:13]
	global_store_short v[6:7], v8, off
	s_or_b64 exec, exec, s[14:15]
	s_and_saveexec_b64 s[14:15], s[2:3]
	s_cbranch_execz .LBB161_32
.LBB161_68:
	v_bfe_u32 v6, v68, 16, 1
	s_movk_i32 s9, 0x7fff
	v_add3_u32 v6, v68, v6, s9
	v_cmp_o_f32_e32 vcc, v68, v68
	v_mov_b32_e32 v7, 0x7fc0
	s_nop 0
	v_cndmask_b32_sdwa v8, v7, v6, vcc dst_sel:DWORD dst_unused:UNUSED_PAD src0_sel:DWORD src1_sel:WORD_1
	v_add_u32_e32 v6, v5, v2
	v_mov_b32_e32 v7, 0
	s_waitcnt lgkmcnt(0)
	v_lshl_add_u64 v[6:7], v[6:7], 1, s[12:13]
	global_store_short v[6:7], v8, off
	s_or_b64 exec, exec, s[14:15]
	s_and_saveexec_b64 s[14:15], s[4:5]
	s_cbranch_execz .LBB161_33
.LBB161_69:
	v_bfe_u32 v6, v66, 16, 1
	s_movk_i32 s9, 0x7fff
	v_add3_u32 v6, v66, v6, s9
	v_cmp_o_f32_e32 vcc, v66, v66
	v_mov_b32_e32 v7, 0x7fc0
	s_nop 0
	v_cndmask_b32_sdwa v8, v7, v6, vcc dst_sel:DWORD dst_unused:UNUSED_PAD src0_sel:DWORD src1_sel:WORD_1
	v_add_u32_e32 v6, v5, v3
	v_mov_b32_e32 v7, 0
	s_waitcnt lgkmcnt(0)
	v_lshl_add_u64 v[6:7], v[6:7], 1, s[12:13]
	global_store_short v[6:7], v8, off
	s_or_b64 exec, exec, s[14:15]
	s_and_saveexec_b64 s[14:15], s[6:7]
	s_cbranch_execnz .LBB161_34
	s_branch .LBB161_35
.LBB161_70:
	v_bfe_u32 v6, v71, 16, 1
	s_movk_i32 s9, 0x7fff
	v_add3_u32 v6, v71, v6, s9
	v_cmp_o_f32_e32 vcc, v71, v71
	v_mov_b32_e32 v7, 0x7fc0
	s_nop 0
	v_cndmask_b32_sdwa v8, v7, v6, vcc dst_sel:DWORD dst_unused:UNUSED_PAD src0_sel:DWORD src1_sel:WORD_1
	v_add_u32_e32 v6, v5, v0
	v_mov_b32_e32 v7, 0
	s_waitcnt lgkmcnt(0)
	v_lshl_add_u64 v[6:7], v[6:7], 1, s[12:13]
	global_store_short v[6:7], v8, off
	s_or_b64 exec, exec, s[14:15]
	s_and_saveexec_b64 s[14:15], s[2:3]
	s_cbranch_execz .LBB161_38
.LBB161_71:
	v_bfe_u32 v6, v69, 16, 1
	s_movk_i32 s9, 0x7fff
	v_add3_u32 v6, v69, v6, s9
	v_cmp_o_f32_e32 vcc, v69, v69
	v_mov_b32_e32 v7, 0x7fc0
	s_nop 0
	v_cndmask_b32_sdwa v8, v7, v6, vcc dst_sel:DWORD dst_unused:UNUSED_PAD src0_sel:DWORD src1_sel:WORD_1
	v_add_u32_e32 v6, v5, v2
	v_mov_b32_e32 v7, 0
	s_waitcnt lgkmcnt(0)
	v_lshl_add_u64 v[6:7], v[6:7], 1, s[12:13]
	global_store_short v[6:7], v8, off
	s_or_b64 exec, exec, s[14:15]
	s_and_saveexec_b64 s[14:15], s[4:5]
	s_cbranch_execz .LBB161_39
.LBB161_72:
	v_bfe_u32 v6, v67, 16, 1
	s_movk_i32 s9, 0x7fff
	v_add3_u32 v6, v67, v6, s9
	v_cmp_o_f32_e32 vcc, v67, v67
	v_mov_b32_e32 v7, 0x7fc0
	s_nop 0
	v_cndmask_b32_sdwa v8, v7, v6, vcc dst_sel:DWORD dst_unused:UNUSED_PAD src0_sel:DWORD src1_sel:WORD_1
	v_add_u32_e32 v6, v5, v3
	v_mov_b32_e32 v7, 0
	s_waitcnt lgkmcnt(0)
	v_lshl_add_u64 v[6:7], v[6:7], 1, s[12:13]
	global_store_short v[6:7], v8, off
	s_or_b64 exec, exec, s[14:15]
	s_and_saveexec_b64 s[14:15], s[6:7]
	s_cbranch_execnz .LBB161_40
	s_branch .LBB161_41
.LBB161_73:
	v_bfe_u32 v6, v62, 16, 1
	s_movk_i32 s9, 0x7fff
	v_add3_u32 v6, v62, v6, s9
	v_cmp_o_f32_e32 vcc, v62, v62
	v_mov_b32_e32 v7, 0x7fc0
	s_nop 0
	v_cndmask_b32_sdwa v8, v7, v6, vcc dst_sel:DWORD dst_unused:UNUSED_PAD src0_sel:DWORD src1_sel:WORD_1
	v_add_u32_e32 v6, v5, v0
	v_mov_b32_e32 v7, 0
	s_waitcnt lgkmcnt(0)
	v_lshl_add_u64 v[6:7], v[6:7], 1, s[12:13]
	global_store_short v[6:7], v8, off
	s_or_b64 exec, exec, s[14:15]
	s_and_saveexec_b64 s[14:15], s[2:3]
	s_cbranch_execz .LBB161_44
.LBB161_74:
	v_bfe_u32 v6, v60, 16, 1
	s_movk_i32 s9, 0x7fff
	v_add3_u32 v6, v60, v6, s9
	v_cmp_o_f32_e32 vcc, v60, v60
	v_mov_b32_e32 v7, 0x7fc0
	s_nop 0
	v_cndmask_b32_sdwa v8, v7, v6, vcc dst_sel:DWORD dst_unused:UNUSED_PAD src0_sel:DWORD src1_sel:WORD_1
	v_add_u32_e32 v6, v5, v2
	v_mov_b32_e32 v7, 0
	s_waitcnt lgkmcnt(0)
	v_lshl_add_u64 v[6:7], v[6:7], 1, s[12:13]
	global_store_short v[6:7], v8, off
	s_or_b64 exec, exec, s[14:15]
	s_and_saveexec_b64 s[14:15], s[4:5]
	s_cbranch_execz .LBB161_45
.LBB161_75:
	v_bfe_u32 v6, v58, 16, 1
	s_movk_i32 s9, 0x7fff
	v_add3_u32 v6, v58, v6, s9
	v_cmp_o_f32_e32 vcc, v58, v58
	v_mov_b32_e32 v7, 0x7fc0
	s_nop 0
	v_cndmask_b32_sdwa v8, v7, v6, vcc dst_sel:DWORD dst_unused:UNUSED_PAD src0_sel:DWORD src1_sel:WORD_1
	v_add_u32_e32 v6, v5, v3
	v_mov_b32_e32 v7, 0
	s_waitcnt lgkmcnt(0)
	v_lshl_add_u64 v[6:7], v[6:7], 1, s[12:13]
	global_store_short v[6:7], v8, off
	s_or_b64 exec, exec, s[14:15]
	s_and_saveexec_b64 s[14:15], s[6:7]
	s_cbranch_execnz .LBB161_46
	s_branch .LBB161_47
.LBB161_76:
	v_bfe_u32 v6, v63, 16, 1
	s_movk_i32 s9, 0x7fff
	v_add3_u32 v6, v63, v6, s9
	v_cmp_o_f32_e32 vcc, v63, v63
	v_mov_b32_e32 v7, 0x7fc0
	s_nop 0
	v_cndmask_b32_sdwa v8, v7, v6, vcc dst_sel:DWORD dst_unused:UNUSED_PAD src0_sel:DWORD src1_sel:WORD_1
	v_add_u32_e32 v6, v5, v0
	v_mov_b32_e32 v7, 0
	s_waitcnt lgkmcnt(0)
	v_lshl_add_u64 v[6:7], v[6:7], 1, s[12:13]
	global_store_short v[6:7], v8, off
	s_or_b64 exec, exec, s[14:15]
	s_and_saveexec_b64 s[14:15], s[2:3]
	s_cbranch_execz .LBB161_50
.LBB161_77:
	v_bfe_u32 v6, v61, 16, 1
	s_movk_i32 s9, 0x7fff
	v_add3_u32 v6, v61, v6, s9
	v_cmp_o_f32_e32 vcc, v61, v61
	v_mov_b32_e32 v7, 0x7fc0
	s_nop 0
	v_cndmask_b32_sdwa v8, v7, v6, vcc dst_sel:DWORD dst_unused:UNUSED_PAD src0_sel:DWORD src1_sel:WORD_1
	v_add_u32_e32 v6, v5, v2
	v_mov_b32_e32 v7, 0
	s_waitcnt lgkmcnt(0)
	v_lshl_add_u64 v[6:7], v[6:7], 1, s[12:13]
	global_store_short v[6:7], v8, off
	s_or_b64 exec, exec, s[14:15]
	s_and_saveexec_b64 s[14:15], s[4:5]
	s_cbranch_execz .LBB161_51
.LBB161_78:
	v_bfe_u32 v6, v59, 16, 1
	s_movk_i32 s9, 0x7fff
	v_add3_u32 v6, v59, v6, s9
	v_cmp_o_f32_e32 vcc, v59, v59
	v_mov_b32_e32 v7, 0x7fc0
	s_nop 0
	v_cndmask_b32_sdwa v8, v7, v6, vcc dst_sel:DWORD dst_unused:UNUSED_PAD src0_sel:DWORD src1_sel:WORD_1
	v_add_u32_e32 v6, v5, v3
	v_mov_b32_e32 v7, 0
	s_waitcnt lgkmcnt(0)
	v_lshl_add_u64 v[6:7], v[6:7], 1, s[12:13]
	global_store_short v[6:7], v8, off
	s_or_b64 exec, exec, s[14:15]
	s_and_saveexec_b64 s[14:15], s[6:7]
	s_cbranch_execnz .LBB161_52
	s_branch .LBB161_53
.LBB161_79:
	v_bfe_u32 v6, v54, 16, 1
	s_movk_i32 s9, 0x7fff
	v_add3_u32 v6, v54, v6, s9
	v_cmp_o_f32_e32 vcc, v54, v54
	v_mov_b32_e32 v7, 0x7fc0
	s_nop 0
	v_cndmask_b32_sdwa v8, v7, v6, vcc dst_sel:DWORD dst_unused:UNUSED_PAD src0_sel:DWORD src1_sel:WORD_1
	v_add_u32_e32 v6, v5, v0
	v_mov_b32_e32 v7, 0
	s_waitcnt lgkmcnt(0)
	v_lshl_add_u64 v[6:7], v[6:7], 1, s[12:13]
	global_store_short v[6:7], v8, off
	s_or_b64 exec, exec, s[14:15]
	s_and_saveexec_b64 s[14:15], s[2:3]
	s_cbranch_execz .LBB161_56
.LBB161_80:
	v_bfe_u32 v6, v52, 16, 1
	s_movk_i32 s9, 0x7fff
	v_add3_u32 v6, v52, v6, s9
	v_cmp_o_f32_e32 vcc, v52, v52
	v_mov_b32_e32 v7, 0x7fc0
	s_nop 0
	v_cndmask_b32_sdwa v8, v7, v6, vcc dst_sel:DWORD dst_unused:UNUSED_PAD src0_sel:DWORD src1_sel:WORD_1
	v_add_u32_e32 v6, v5, v2
	v_mov_b32_e32 v7, 0
	s_waitcnt lgkmcnt(0)
	v_lshl_add_u64 v[6:7], v[6:7], 1, s[12:13]
	global_store_short v[6:7], v8, off
	s_or_b64 exec, exec, s[14:15]
	s_and_saveexec_b64 s[14:15], s[4:5]
	s_cbranch_execz .LBB161_57
.LBB161_81:
	v_bfe_u32 v6, v50, 16, 1
	s_movk_i32 s9, 0x7fff
	v_add3_u32 v6, v50, v6, s9
	v_cmp_o_f32_e32 vcc, v50, v50
	v_mov_b32_e32 v7, 0x7fc0
	s_nop 0
	v_cndmask_b32_sdwa v8, v7, v6, vcc dst_sel:DWORD dst_unused:UNUSED_PAD src0_sel:DWORD src1_sel:WORD_1
	v_add_u32_e32 v6, v5, v3
	v_mov_b32_e32 v7, 0
	s_waitcnt lgkmcnt(0)
	v_lshl_add_u64 v[6:7], v[6:7], 1, s[12:13]
	global_store_short v[6:7], v8, off
	s_or_b64 exec, exec, s[14:15]
	s_and_saveexec_b64 s[14:15], s[6:7]
	s_cbranch_execnz .LBB161_58
	s_branch .LBB161_59
.LBB161_82:
	v_bfe_u32 v5, v55, 16, 1
	s_movk_i32 s0, 0x7fff
	v_add3_u32 v5, v55, v5, s0
	v_cmp_o_f32_e32 vcc, v55, v55
	v_mov_b32_e32 v6, 0x7fc0
	v_mov_b32_e32 v7, 0
	v_cndmask_b32_sdwa v5, v6, v5, vcc dst_sel:DWORD dst_unused:UNUSED_PAD src0_sel:DWORD src1_sel:WORD_1
	v_add_u32_e32 v6, v1, v0
	s_waitcnt lgkmcnt(0)
	v_lshl_add_u64 v[6:7], v[6:7], 1, s[12:13]
	global_store_short v[6:7], v5, off
	s_or_b64 exec, exec, s[8:9]
	s_and_saveexec_b64 s[0:1], s[2:3]
	s_cbranch_execz .LBB161_62
.LBB161_83:
	v_bfe_u32 v0, v53, 16, 1
	s_movk_i32 s2, 0x7fff
	v_add3_u32 v0, v53, v0, s2
	v_cmp_o_f32_e32 vcc, v53, v53
	v_mov_b32_e32 v5, 0x7fc0
	v_add_u32_e32 v6, v1, v2
	v_mov_b32_e32 v7, 0
	v_cndmask_b32_sdwa v0, v5, v0, vcc dst_sel:DWORD dst_unused:UNUSED_PAD src0_sel:DWORD src1_sel:WORD_1
	s_waitcnt lgkmcnt(0)
	v_lshl_add_u64 v[6:7], v[6:7], 1, s[12:13]
	global_store_short v[6:7], v0, off
	s_or_b64 exec, exec, s[0:1]
	s_and_saveexec_b64 s[0:1], s[4:5]
	s_cbranch_execz .LBB161_63
.LBB161_84:
	v_bfe_u32 v0, v51, 16, 1
	s_movk_i32 s2, 0x7fff
	v_add3_u32 v0, v51, v0, s2
	v_cmp_o_f32_e32 vcc, v51, v51
	v_mov_b32_e32 v2, 0x7fc0
	s_nop 0
	v_cndmask_b32_sdwa v0, v2, v0, vcc dst_sel:DWORD dst_unused:UNUSED_PAD src0_sel:DWORD src1_sel:WORD_1
	v_add_u32_e32 v2, v1, v3
	v_mov_b32_e32 v3, 0
	s_waitcnt lgkmcnt(0)
	v_lshl_add_u64 v[2:3], v[2:3], 1, s[12:13]
	global_store_short v[2:3], v0, off
	s_or_b64 exec, exec, s[0:1]
	s_and_b64 exec, exec, s[6:7]
	s_cbranch_execz .LBB161_3
.LBB161_85:
	v_bfe_u32 v0, v49, 16, 1
	s_movk_i32 s0, 0x7fff
	v_add3_u32 v0, v49, v0, s0
	v_cmp_o_f32_e32 vcc, v49, v49
	v_mov_b32_e32 v2, 0x7fc0
	s_nop 0
	v_cndmask_b32_sdwa v2, v2, v0, vcc dst_sel:DWORD dst_unused:UNUSED_PAD src0_sel:DWORD src1_sel:WORD_1
	v_add_u32_e32 v0, v1, v4
	v_mov_b32_e32 v1, 0
	s_waitcnt lgkmcnt(0)
	v_lshl_add_u64 v[0:1], v[0:1], 1, s[12:13]
	global_store_short v[0:1], v2, off
	s_endpgm
	.section	.rodata,"a",@progbits
	.p2align	6, 0x0
	.amdhsa_kernel _ZL12mul_mat_q5_0IN3c108BFloat16ELb0EEvPKvS3_PT_iiiii
		.amdhsa_group_segment_fixed_size 46720
		.amdhsa_private_segment_fixed_size 0
		.amdhsa_kernarg_size 44
		.amdhsa_user_sgpr_count 2
		.amdhsa_user_sgpr_dispatch_ptr 0
		.amdhsa_user_sgpr_queue_ptr 0
		.amdhsa_user_sgpr_kernarg_segment_ptr 1
		.amdhsa_user_sgpr_dispatch_id 0
		.amdhsa_user_sgpr_kernarg_preload_length 0
		.amdhsa_user_sgpr_kernarg_preload_offset 0
		.amdhsa_user_sgpr_private_segment_size 0
		.amdhsa_uses_dynamic_stack 0
		.amdhsa_enable_private_segment 0
		.amdhsa_system_sgpr_workgroup_id_x 1
		.amdhsa_system_sgpr_workgroup_id_y 1
		.amdhsa_system_sgpr_workgroup_id_z 0
		.amdhsa_system_sgpr_workgroup_info 0
		.amdhsa_system_vgpr_workitem_id 1
		.amdhsa_next_free_vgpr 247
		.amdhsa_next_free_sgpr 96
		.amdhsa_accum_offset 248
		.amdhsa_reserve_vcc 1
		.amdhsa_float_round_mode_32 0
		.amdhsa_float_round_mode_16_64 0
		.amdhsa_float_denorm_mode_32 3
		.amdhsa_float_denorm_mode_16_64 3
		.amdhsa_dx10_clamp 1
		.amdhsa_ieee_mode 1
		.amdhsa_fp16_overflow 0
		.amdhsa_tg_split 0
		.amdhsa_exception_fp_ieee_invalid_op 0
		.amdhsa_exception_fp_denorm_src 0
		.amdhsa_exception_fp_ieee_div_zero 0
		.amdhsa_exception_fp_ieee_overflow 0
		.amdhsa_exception_fp_ieee_underflow 0
		.amdhsa_exception_fp_ieee_inexact 0
		.amdhsa_exception_int_div_zero 0
	.end_amdhsa_kernel
	.section	.text._ZL12mul_mat_q5_0IN3c108BFloat16ELb0EEvPKvS3_PT_iiiii,"axG",@progbits,_ZL12mul_mat_q5_0IN3c108BFloat16ELb0EEvPKvS3_PT_iiiii,comdat
.Lfunc_end161:
	.size	_ZL12mul_mat_q5_0IN3c108BFloat16ELb0EEvPKvS3_PT_iiiii, .Lfunc_end161-_ZL12mul_mat_q5_0IN3c108BFloat16ELb0EEvPKvS3_PT_iiiii
                                        ; -- End function
	.set _ZL12mul_mat_q5_0IN3c108BFloat16ELb0EEvPKvS3_PT_iiiii.num_vgpr, 247
	.set _ZL12mul_mat_q5_0IN3c108BFloat16ELb0EEvPKvS3_PT_iiiii.num_agpr, 0
	.set _ZL12mul_mat_q5_0IN3c108BFloat16ELb0EEvPKvS3_PT_iiiii.numbered_sgpr, 20
	.set _ZL12mul_mat_q5_0IN3c108BFloat16ELb0EEvPKvS3_PT_iiiii.num_named_barrier, 0
	.set _ZL12mul_mat_q5_0IN3c108BFloat16ELb0EEvPKvS3_PT_iiiii.private_seg_size, 0
	.set _ZL12mul_mat_q5_0IN3c108BFloat16ELb0EEvPKvS3_PT_iiiii.uses_vcc, 1
	.set _ZL12mul_mat_q5_0IN3c108BFloat16ELb0EEvPKvS3_PT_iiiii.uses_flat_scratch, 0
	.set _ZL12mul_mat_q5_0IN3c108BFloat16ELb0EEvPKvS3_PT_iiiii.has_dyn_sized_stack, 0
	.set _ZL12mul_mat_q5_0IN3c108BFloat16ELb0EEvPKvS3_PT_iiiii.has_recursion, 0
	.set _ZL12mul_mat_q5_0IN3c108BFloat16ELb0EEvPKvS3_PT_iiiii.has_indirect_call, 0
	.section	.AMDGPU.csdata,"",@progbits
; Kernel info:
; codeLenInByte = 15272
; TotalNumSgprs: 26
; NumVgprs: 247
; NumAgprs: 0
; TotalNumVgprs: 247
; ScratchSize: 0
; MemoryBound: 0
; FloatMode: 240
; IeeeMode: 1
; LDSByteSize: 46720 bytes/workgroup (compile time only)
; SGPRBlocks: 12
; VGPRBlocks: 30
; NumSGPRsForWavesPerEU: 102
; NumVGPRsForWavesPerEU: 247
; AccumOffset: 248
; Occupancy: 2
; WaveLimiterHint : 0
; COMPUTE_PGM_RSRC2:SCRATCH_EN: 0
; COMPUTE_PGM_RSRC2:USER_SGPR: 2
; COMPUTE_PGM_RSRC2:TRAP_HANDLER: 0
; COMPUTE_PGM_RSRC2:TGID_X_EN: 1
; COMPUTE_PGM_RSRC2:TGID_Y_EN: 1
; COMPUTE_PGM_RSRC2:TGID_Z_EN: 0
; COMPUTE_PGM_RSRC2:TIDIG_COMP_CNT: 1
; COMPUTE_PGM_RSRC3_GFX90A:ACCUM_OFFSET: 61
; COMPUTE_PGM_RSRC3_GFX90A:TG_SPLIT: 0
	.section	.text._ZL12mul_mat_q5_0IN3c108BFloat16ELb1EEvPKvS3_PT_iiiii,"axG",@progbits,_ZL12mul_mat_q5_0IN3c108BFloat16ELb1EEvPKvS3_PT_iiiii,comdat
	.globl	_ZL12mul_mat_q5_0IN3c108BFloat16ELb1EEvPKvS3_PT_iiiii ; -- Begin function _ZL12mul_mat_q5_0IN3c108BFloat16ELb1EEvPKvS3_PT_iiiii
	.p2align	8
	.type	_ZL12mul_mat_q5_0IN3c108BFloat16ELb1EEvPKvS3_PT_iiiii,@function
_ZL12mul_mat_q5_0IN3c108BFloat16ELb1EEvPKvS3_PT_iiiii: ; @_ZL12mul_mat_q5_0IN3c108BFloat16ELb1EEvPKvS3_PT_iiiii
; %bb.0:
	s_load_dwordx4 s[8:11], s[0:1], 0x18
	s_load_dword s14, s[0:1], 0x28
	s_lshl_b32 s15, s3, 6
	v_bfe_u32 v77, v0, 10, 10
	s_waitcnt lgkmcnt(0)
	s_cmp_gt_i32 s8, 31
	s_cbranch_scc1 .LBB162_4
; %bb.1:
	v_bfe_u32 v1, v0, 10, 10
	v_and_b32_e32 v73, 0x3ff, v0
	v_add_u32_e32 v79, s15, v1
	s_load_dwordx2 s[12:13], s[0:1], 0x10
	s_lshl_b32 s4, s2, 7
	s_cbranch_execz .LBB162_5
; %bb.2:
	v_mov_b32_e32 v48, 0
	v_mov_b32_e32 v49, v48
	v_mov_b64_e32 v[56:57], v[48:49]
	v_mov_b64_e32 v[64:65], v[48:49]
	v_mov_b64_e32 v[82:83], v[48:49]
	v_mov_b64_e32 v[50:51], v[48:49]
	v_mov_b64_e32 v[58:59], v[48:49]
	v_mov_b64_e32 v[66:67], v[48:49]
	v_mov_b64_e32 v[100:101], v[48:49]
	v_mov_b64_e32 v[52:53], v[48:49]
	v_mov_b64_e32 v[60:61], v[48:49]
	v_mov_b64_e32 v[68:69], v[48:49]
	v_mov_b64_e32 v[120:121], v[48:49]
	v_mov_b64_e32 v[54:55], v[48:49]
	v_mov_b64_e32 v[62:63], v[48:49]
	v_mov_b64_e32 v[70:71], v[48:49]
	v_mov_b64_e32 v[124:125], v[48:49]
	v_cmp_gt_u32_e32 vcc, s10, v79
	s_and_saveexec_b64 s[0:1], vcc
	s_cbranch_execnz .LBB162_15
.LBB162_3:
	s_endpgm
.LBB162_4:
                                        ; implicit-def: $vgpr1
                                        ; implicit-def: $vgpr73
                                        ; implicit-def: $vgpr79
	s_load_dwordx2 s[12:13], s[0:1], 0x10
	s_lshl_b32 s4, s2, 7
.LBB162_5:
	s_ashr_i32 s5, s8, 31
	s_load_dwordx4 s[0:3], s[0:1], 0x0
	s_lshr_b32 s5, s5, 27
	s_ashr_i32 s6, s11, 31
	s_add_i32 s5, s8, s5
	s_lshr_b32 s6, s6, 27
	s_ashr_i32 s5, s5, 5
	s_add_i32 s6, s11, s6
	s_ashr_i32 s11, s6, 5
	s_mul_i32 s6, s5, s4
	s_mul_hi_i32 s7, s6, 22
	s_mul_i32 s6, s6, 22
	s_waitcnt lgkmcnt(0)
	s_add_u32 s6, s0, s6
	s_addc_u32 s7, s1, s7
	s_not_b32 s0, s4
	s_add_i32 s1, s9, s0
	v_and_b32_e32 v73, 0x3ff, v0
	v_min_i32_e32 v1, s1, v77
	v_lshlrev_b32_e32 v4, 3, v73
	s_movk_i32 s0, 0x104
	v_mul_lo_u32 v76, v1, s5
	v_mad_u64_u32 v[78:79], s[8:9], v1, s0, v[4:5]
	v_add_u32_e32 v1, 8, v77
	v_min_i32_e32 v3, s1, v1
	v_add_u32_e32 v8, 16, v77
	v_mul_lo_u32 v80, v3, s5
	v_mad_u64_u32 v[84:85], s[8:9], v3, s0, v[4:5]
	v_min_i32_e32 v3, s1, v8
	v_add_u32_e32 v9, 24, v77
	v_mul_lo_u32 v86, v3, s5
	v_mad_u64_u32 v[88:89], s[8:9], v3, s0, v[4:5]
	;; [unrolled: 4-line block ×6, first 2 shown]
	v_min_i32_e32 v3, s1, v13
	v_mul_lo_u32 v108, v3, s5
	v_mad_u64_u32 v[110:111], s[8:9], v3, s0, v[4:5]
	v_add_u32_e32 v3, 64, v77
	v_min_i32_e32 v3, s1, v3
	v_mul_lo_u32 v112, v3, s5
	v_mad_u64_u32 v[114:115], s[8:9], v3, s0, v[4:5]
	v_add_u32_e32 v3, 0x48, v77
	;; [unrolled: 4-line block ×8, first 2 shown]
	v_min_i32_e32 v3, s1, v3
	v_bfe_u32 v81, v0, 3, 7
	v_mul_lo_u32 v144, v3, s5
	v_mad_u64_u32 v[146:147], s[8:9], v3, s0, v[4:5]
	v_lshl_add_u32 v3, v77, 2, v81
	v_min_i32_e32 v4, s1, v3
	v_ashrrev_i32_e32 v5, 31, v4
	v_lshrrev_b32_e32 v5, 30, v5
	v_and_b32_e32 v148, 7, v0
	v_mul_lo_u32 v150, v4, s5
	v_add_u32_e32 v5, v4, v5
	v_lshlrev_b32_e32 v15, 5, v4
	v_add_u32_e32 v4, 32, v3
	v_and_b32_e32 v5, -4, v5
	v_lshlrev_b32_e32 v6, 2, v148
	s_mov_b32 s8, 0xa200
	v_min_i32_e32 v4, s1, v4
	v_add3_u32 v14, v5, v6, s8
	v_ashrrev_i32_e32 v5, 31, v4
	v_lshrrev_b32_e32 v5, 30, v5
	v_mul_lo_u32 v152, v4, s5
	v_add_u32_e32 v5, v4, v5
	v_lshlrev_b32_e32 v17, 5, v4
	v_add_u32_e32 v4, 64, v3
	v_and_b32_e32 v5, -4, v5
	v_min_i32_e32 v4, s1, v4
	v_add3_u32 v16, v5, v6, s8
	v_ashrrev_i32_e32 v5, 31, v4
	v_add_u32_e32 v3, 0x60, v3
	v_lshrrev_b32_e32 v5, 30, v5
	v_min_i32_e32 v3, s1, v3
	v_mul_lo_u32 v154, v4, s5
	v_add_u32_e32 v5, v4, v5
	v_lshlrev_b32_e32 v19, 5, v4
	v_ashrrev_i32_e32 v4, 31, v3
	v_lshrrev_b32_e32 v4, 30, v4
	v_bfe_u32 v72, v0, 2, 8
	v_mul_lo_u32 v156, v3, s5
	v_add_u32_e32 v4, v3, v4
	v_lshlrev_b32_e32 v21, 5, v3
	v_and_b32_e32 v3, 31, v0
	v_mov_b32_e32 v22, 0x8200
	v_lshl_or_b32 v85, v3, 2, v22
	v_lshl_add_u32 v3, v77, 3, v72
	v_and_b32_e32 v3, 63, v3
	v_and_b32_e32 v2, 3, v0
	s_add_i32 s1, s10, -1
	v_or_b32_e32 v22, s15, v3
	v_lshlrev_b32_e32 v74, 2, v2
	v_and_b32_e32 v5, -4, v5
	v_and_b32_e32 v4, -4, v4
	v_min_i32_e32 v22, s1, v22
	v_add3_u32 v18, v5, v6, s8
	v_add3_u32 v20, v4, v6, s8
	v_add_u32_e32 v79, s15, v77
	v_mad_u64_u32 v[158:159], s[8:9], v22, s11, v[2:3]
	v_lshl_or_b32 v2, v3, 4, v74
	v_cvt_f64_i32_e32 v[4:5], s1
	v_add_u32_e32 v87, 0xb280, v2
	v_cvt_f64_u32_e32 v[2:3], v79
	v_min_f64 v[2:3], v[2:3], v[4:5]
	v_cvt_i32_f64_e32 v2, v[2:3]
	v_mul_lo_u32 v89, s11, v2
	v_add_u32_e32 v2, 8, v79
	v_cvt_f64_u32_e32 v[2:3], v2
	v_min_f64 v[2:3], v[2:3], v[4:5]
	v_cvt_i32_f64_e32 v2, v[2:3]
	v_mul_lo_u32 v93, s11, v2
	;; [unrolled: 5-line block ×7, first 2 shown]
	v_add_u32_e32 v2, 56, v79
	v_mov_b32_e32 v75, 0
	v_lshlrev_b32_e32 v6, 2, v73
	v_cvt_f64_u32_e32 v[2:3], v2
	v_and_b32_e32 v6, 28, v6
	v_mov_b32_e32 v7, v75
	v_min_f64 v[2:3], v[2:3], v[4:5]
	v_cvt_i32_f64_e32 v2, v[2:3]
	v_add_u32_e32 v3, 32, v73
	v_add_u32_e32 v4, 64, v73
	;; [unrolled: 1-line block ×3, first 2 shown]
	v_lshl_add_u64 v[160:161], s[2:3], 0, v[6:7]
	v_lshlrev_b32_e32 v6, 5, v73
	v_and_b32_e32 v0, 0xfc, v0
	v_lshrrev_b32_e32 v111, 3, v3
	v_and_b32_e32 v5, 0x1fc, v5
	v_and_b32_e32 v4, 0x1fc, v4
	;; [unrolled: 1-line block ×3, first 2 shown]
	v_add_u32_e32 v0, v6, v0
	v_lshlrev_b32_e32 v91, 7, v77
	v_lshlrev_b32_e32 v1, 7, v1
	;; [unrolled: 1-line block ×7, first 2 shown]
	v_mul_lo_u32 v107, s11, v2
	v_lshlrev_b32_e32 v2, 7, v13
	v_add_u32_e32 v5, v6, v5
	v_add_u32_e32 v4, v6, v4
	;; [unrolled: 1-line block ×4, first 2 shown]
	v_mov_b32_e32 v6, 0xb280
	v_add_u32_e32 v135, 0xa210, v0
	v_mov_b32_e32 v0, 0x80
	v_mov_b32_e32 v124, v75
	;; [unrolled: 1-line block ×3, first 2 shown]
	s_add_i32 s8, s5, 3
	v_mul_u32_u24_e32 v109, 0x104, v73
	v_add_u32_e32 v113, 0xae00, v5
	v_add_u32_e32 v115, 0xaa00, v4
	;; [unrolled: 1-line block ×3, first 2 shown]
	v_lshl_add_u32 v123, v77, 4, v6
	v_add_u32_e32 v127, 0x8200, v91
	v_add_u32_e32 v129, 0xae10, v5
	v_add_u32_e32 v131, 0xaa10, v4
	v_add_u32_e32 v133, 0xa610, v3
	v_mad_u32_u24 v137, v73, s0, v0
	s_mov_b32 s9, 0
	s_movk_i32 s11, 0x1f00
	s_mov_b32 s16, 0xc0c0105
	v_add_u32_e32 v139, v14, v15
	v_add_u32_e32 v141, v16, v17
	;; [unrolled: 1-line block ×4, first 2 shown]
	v_mov_b32_e32 v147, 8
	v_add_u32_e32 v149, v85, v1
	v_add_u32_e32 v151, v85, v8
	;; [unrolled: 1-line block ×7, first 2 shown]
	v_mov_b64_e32 v[70:71], v[124:125]
	v_mov_b64_e32 v[62:63], v[124:125]
	;; [unrolled: 1-line block ×15, first 2 shown]
	s_branch .LBB162_7
.LBB162_6:                              ;   in Loop: Header=BB162_7 Depth=1
	s_add_i32 s9, s9, 8
	s_add_i32 s8, s8, -8
	s_cmp_ge_i32 s9, s5
	s_cbranch_scc1 .LBB162_14
.LBB162_7:                              ; =>This Loop Header: Depth=1
                                        ;     Child Loop BB162_9 Depth 2
                                        ;     Child Loop BB162_12 Depth 2
	s_mul_i32 s0, s9, 22
	s_mul_hi_u32 s1, s9, 22
	s_add_u32 s0, s6, s0
	s_addc_u32 s1, s7, s1
	v_mad_u64_u32 v[0:1], s[18:19], v72, 22, s[0:1]
	v_mad_i64_i32 v[2:3], s[18:19], v76, 22, v[0:1]
	v_mad_i64_i32 v[10:11], s[18:19], v90, 22, v[0:1]
	v_lshl_add_u64 v[4:5], v[2:3], 0, v[74:75]
	v_mad_i64_i32 v[6:7], s[18:19], v80, 22, v[0:1]
	v_mad_i64_i32 v[8:9], s[18:19], v86, 22, v[0:1]
	global_load_dword v18, v[10:11], off offset:2
	global_load_dword v12, v[8:9], off offset:2
	;; [unrolled: 1-line block ×5, first 2 shown]
	v_lshl_add_u64 v[2:3], v[6:7], 0, v[74:75]
	global_load_dword v6, v[2:3], off offset:6
	v_lshl_add_u64 v[2:3], v[8:9], 0, v[74:75]
	v_lshl_add_u64 v[4:5], v[10:11], 0, v[74:75]
	global_load_dword v19, v[2:3], off offset:6
	global_load_dword v20, v[4:5], off offset:6
	s_cmp_gt_u32 s8, 3
	s_waitcnt vmcnt(5)
	v_ashrrev_i32_e32 v5, v74, v13
	s_waitcnt vmcnt(4)
	v_ashrrev_i32_e32 v2, v74, v14
	s_waitcnt vmcnt(3)
	v_lshrrev_b32_e32 v4, 4, v15
	v_lshlrev_b32_e32 v8, 4, v2
	v_lshlrev_b32_e32 v9, 11, v2
	;; [unrolled: 1-line block ×4, first 2 shown]
	v_lshrrev_b32_e32 v13, 12, v2
	v_lshrrev_b32_e32 v14, 5, v2
	v_and_b32_e32 v3, 0xf0f0f0f, v15
	v_and_b32_e32 v4, 0xf0f0f0f, v4
	;; [unrolled: 1-line block ×8, first 2 shown]
	v_lshlrev_b32_e32 v15, 2, v2
	v_lshlrev_b32_e32 v2, 9, v2
	v_or3_b32 v8, v8, v3, v9
	v_or3_b32 v3, v3, v10, v11
	;; [unrolled: 1-line block ×3, first 2 shown]
	v_and_b32_e32 v15, 0x100000, v15
	v_and_b32_e32 v2, 0x10000000, v2
	;; [unrolled: 1-line block ×3, first 2 shown]
	v_lshlrev_b16_e32 v8, 8, v8
	v_and_b32_sdwa v11, v3, s11 dst_sel:DWORD dst_unused:UNUSED_PAD src0_sel:WORD_1 src1_sel:DWORD
	v_lshlrev_b16_sdwa v3, v147, v3 dst_sel:DWORD dst_unused:UNUSED_PAD src0_sel:DWORD src1_sel:WORD_1
	v_lshlrev_b16_e32 v14, 8, v9
	v_or3_b32 v2, v4, v15, v2
	v_add_u16_e32 v10, 0xf000, v10
	v_add_u16_e32 v8, 0xf000, v8
	;; [unrolled: 1-line block ×5, first 2 shown]
	v_and_b32_sdwa v13, v2, s11 dst_sel:DWORD dst_unused:UNUSED_PAD src0_sel:WORD_1 src1_sel:DWORD
	v_lshlrev_b16_sdwa v2, v147, v2 dst_sel:DWORD dst_unused:UNUSED_PAD src0_sel:DWORD src1_sel:WORD_1
	v_perm_b32 v8, v8, v10, s16
	v_perm_b32 v3, v3, v11, s16
	v_lshrrev_b16_e32 v10, 8, v14
	v_add_u16_e32 v13, 0xf000, v13
	v_add_u16_e32 v2, 0xf000, v2
	v_lshl_or_b32 v3, v3, 16, v8
	v_bitop3_b16 v8, v9, v10, s11 bitop3:0xec
	v_perm_b32 v2, v2, v13, s16
	v_add_u16_e32 v8, 0xf000, v8
	s_waitcnt vmcnt(2)
	v_and_b32_e32 v7, 0xf0f0f0f, v6
	v_lshrrev_b32_e32 v6, 4, v6
	v_lshl_or_b32 v2, v2, 16, v8
	ds_write2_b32 v78, v3, v2 offset1:1
	v_and_b32_e32 v2, 0xf0f0f0f, v6
	v_lshrrev_b32_e32 v3, 12, v5
	v_lshrrev_b32_e32 v6, 5, v5
	v_lshlrev_b32_e32 v16, 4, v5
	v_lshlrev_b32_e32 v17, 11, v5
	v_and_b32_e32 v3, 16, v3
	v_and_b32_e32 v6, 0x1000, v6
	v_lshlrev_b32_e32 v21, 18, v5
	v_lshlrev_b32_e32 v22, 25, v5
	v_and_b32_e32 v16, 16, v16
	v_and_b32_e32 v17, 0x1000, v17
	v_or3_b32 v3, v3, v2, v6
	v_lshlrev_b32_e32 v6, 2, v5
	v_lshlrev_b32_e32 v5, 9, v5
	v_or3_b32 v4, v16, v7, v17
	v_and_b32_e32 v6, 0x100000, v6
	v_and_b32_e32 v5, 0x10000000, v5
	v_and_b32_e32 v21, 0x100000, v21
	v_and_b32_e32 v22, 0x10000000, v22
	v_lshlrev_b16_e32 v16, 8, v4
	v_or3_b32 v2, v2, v6, v5
	v_and_b32_e32 v5, 0x1f00, v3
	v_lshlrev_b16_e32 v3, 8, v3
	v_or3_b32 v7, v7, v21, v22
	v_add_u16_e32 v16, 0xf000, v16
	v_add_u16_e32 v5, 0xf000, v5
	;; [unrolled: 1-line block ×3, first 2 shown]
	v_and_b32_sdwa v15, v7, s11 dst_sel:DWORD dst_unused:UNUSED_PAD src0_sel:WORD_1 src1_sel:DWORD
	v_lshlrev_b16_sdwa v7, v147, v7 dst_sel:DWORD dst_unused:UNUSED_PAD src0_sel:DWORD src1_sel:WORD_1
	v_lshrrev_b16_e32 v11, 8, v16
	v_perm_b32 v3, v3, v5, s16
	v_and_b32_sdwa v5, v2, s11 dst_sel:DWORD dst_unused:UNUSED_PAD src0_sel:WORD_1 src1_sel:DWORD
	v_lshlrev_b16_sdwa v2, v147, v2 dst_sel:DWORD dst_unused:UNUSED_PAD src0_sel:DWORD src1_sel:WORD_1
	v_add_u16_e32 v15, 0xf000, v15
	v_add_u16_e32 v7, 0xf000, v7
	v_bitop3_b16 v4, v4, v11, s11 bitop3:0xec
	v_add_u16_e32 v5, 0xf000, v5
	v_add_u16_e32 v2, 0xf000, v2
	v_perm_b32 v7, v7, v15, s16
	v_add_u16_e32 v4, 0xf000, v4
	v_perm_b32 v2, v2, v5, s16
	v_lshl_or_b32 v4, v7, 16, v4
	v_lshl_or_b32 v2, v2, 16, v3
	v_ashrrev_i32_e32 v21, v74, v12
	ds_write2_b32 v84, v4, v2 offset1:1
	v_lshlrev_b32_e32 v3, 4, v21
	v_lshlrev_b32_e32 v4, 11, v21
	s_waitcnt vmcnt(1)
	v_and_b32_e32 v2, 0xf0f0f0f, v19
	v_and_b32_e32 v3, 16, v3
	;; [unrolled: 1-line block ×3, first 2 shown]
	v_or3_b32 v22, v3, v2, v4
	v_lshlrev_b32_e32 v3, 18, v21
	v_lshlrev_b32_e32 v4, 25, v21
	v_and_b32_e32 v3, 0x100000, v3
	v_and_b32_e32 v4, 0x10000000, v4
	v_or3_b32 v2, v2, v3, v4
	v_and_b32_sdwa v3, v2, s11 dst_sel:DWORD dst_unused:UNUSED_PAD src0_sel:WORD_1 src1_sel:DWORD
	v_add_u16_e32 v23, 0xf000, v3
	v_lshlrev_b16_sdwa v24, v147, v2 dst_sel:DWORD dst_unused:UNUSED_PAD src0_sel:DWORD src1_sel:WORD_1
	v_mad_i64_i32 v[2:3], s[18:19], v94, 22, v[0:1]
	v_mad_i64_i32 v[6:7], s[18:19], v98, 22, v[0:1]
	v_lshl_add_u64 v[4:5], v[2:3], 0, v[74:75]
	v_lshl_add_u64 v[8:9], v[6:7], 0, v[74:75]
	v_mad_i64_i32 v[10:11], s[18:19], v104, 22, v[0:1]
	v_mad_i64_i32 v[14:15], s[18:19], v108, 22, v[0:1]
	v_lshl_add_u64 v[12:13], v[10:11], 0, v[74:75]
	v_lshl_add_u64 v[16:17], v[14:15], 0, v[74:75]
	global_load_dword v4, v[4:5], off offset:6
	s_nop 0
	global_load_dword v5, v[8:9], off offset:6
	global_load_dword v25, v[12:13], off offset:6
	;; [unrolled: 1-line block ×4, first 2 shown]
	s_nop 0
	global_load_dword v8, v[10:11], off offset:2
	s_nop 0
	global_load_dword v6, v[6:7], off offset:2
	;; [unrolled: 2-line block ×3, first 2 shown]
	v_lshlrev_b16_e32 v7, 8, v22
	v_add_u16_e32 v7, 0xf000, v7
	v_lshrrev_b16_e32 v7, 8, v7
	v_add_u16_e32 v3, 0xf000, v24
	v_bitop3_b16 v7, v22, v7, s11 bitop3:0xec
	v_perm_b32 v3, v3, v23, s16
	v_add_u16_e32 v7, 0xf000, v7
	v_lshl_or_b32 v3, v3, 16, v7
	v_lshrrev_b32_e32 v7, 4, v19
	v_lshrrev_b32_e32 v9, 12, v21
	;; [unrolled: 1-line block ×3, first 2 shown]
	v_and_b32_e32 v7, 0xf0f0f0f, v7
	v_and_b32_e32 v9, 16, v9
	;; [unrolled: 1-line block ×3, first 2 shown]
	v_or3_b32 v9, v9, v7, v10
	v_lshlrev_b32_e32 v10, 2, v21
	v_lshlrev_b32_e32 v11, 9, v21
	v_and_b32_e32 v10, 0x100000, v10
	v_and_b32_e32 v11, 0x10000000, v11
	v_or3_b32 v7, v7, v10, v11
	v_and_b32_e32 v10, 0x1f00, v9
	v_lshlrev_b16_e32 v9, 8, v9
	v_add_u16_e32 v10, 0xf000, v10
	v_add_u16_e32 v9, 0xf000, v9
	v_perm_b32 v9, v9, v10, s16
	v_and_b32_sdwa v10, v7, s11 dst_sel:DWORD dst_unused:UNUSED_PAD src0_sel:WORD_1 src1_sel:DWORD
	v_lshlrev_b16_sdwa v7, v147, v7 dst_sel:DWORD dst_unused:UNUSED_PAD src0_sel:DWORD src1_sel:WORD_1
	v_add_u16_e32 v10, 0xf000, v10
	v_add_u16_e32 v7, 0xf000, v7
	v_perm_b32 v7, v7, v10, s16
	v_lshl_or_b32 v7, v7, 16, v9
	ds_write2_b32 v88, v3, v7 offset1:1
	v_ashrrev_i32_e32 v3, v74, v18
	v_lshlrev_b32_e32 v9, 4, v3
	v_lshlrev_b32_e32 v10, 11, v3
	s_waitcnt vmcnt(8)
	v_and_b32_e32 v7, 0xf0f0f0f, v20
	v_and_b32_e32 v9, 16, v9
	;; [unrolled: 1-line block ×3, first 2 shown]
	v_or3_b32 v9, v9, v7, v10
	v_lshlrev_b32_e32 v10, 18, v3
	v_lshlrev_b32_e32 v11, 25, v3
	v_and_b32_e32 v10, 0x100000, v10
	v_and_b32_e32 v11, 0x10000000, v11
	v_or3_b32 v7, v7, v10, v11
	v_and_b32_sdwa v10, v7, s11 dst_sel:DWORD dst_unused:UNUSED_PAD src0_sel:WORD_1 src1_sel:DWORD
	v_lshlrev_b16_sdwa v7, v147, v7 dst_sel:DWORD dst_unused:UNUSED_PAD src0_sel:DWORD src1_sel:WORD_1
	v_add_u16_e32 v10, 0xf000, v10
	v_add_u16_e32 v7, 0xf000, v7
	v_perm_b32 v7, v7, v10, s16
	v_lshlrev_b16_e32 v10, 8, v9
	v_add_u16_e32 v10, 0xf000, v10
	v_lshrrev_b16_e32 v10, 8, v10
	v_bitop3_b16 v9, v9, v10, s11 bitop3:0xec
	v_add_u16_e32 v9, 0xf000, v9
	v_lshl_or_b32 v7, v7, 16, v9
	v_lshrrev_b32_e32 v9, 4, v20
	v_lshrrev_b32_e32 v10, 12, v3
	;; [unrolled: 1-line block ×3, first 2 shown]
	v_and_b32_e32 v9, 0xf0f0f0f, v9
	v_and_b32_e32 v10, 16, v10
	;; [unrolled: 1-line block ×3, first 2 shown]
	v_or3_b32 v10, v10, v9, v11
	v_lshlrev_b32_e32 v11, 2, v3
	v_lshlrev_b32_e32 v3, 9, v3
	v_and_b32_e32 v11, 0x100000, v11
	v_and_b32_e32 v3, 0x10000000, v3
	v_or3_b32 v3, v9, v11, v3
	v_and_b32_e32 v9, 0x1f00, v10
	v_lshlrev_b16_e32 v10, 8, v10
	v_add_u16_e32 v9, 0xf000, v9
	v_add_u16_e32 v10, 0xf000, v10
	v_perm_b32 v9, v10, v9, s16
	v_and_b32_sdwa v10, v3, s11 dst_sel:DWORD dst_unused:UNUSED_PAD src0_sel:WORD_1 src1_sel:DWORD
	v_lshlrev_b16_sdwa v3, v147, v3 dst_sel:DWORD dst_unused:UNUSED_PAD src0_sel:DWORD src1_sel:WORD_1
	v_add_u16_e32 v10, 0xf000, v10
	v_add_u16_e32 v3, 0xf000, v3
	v_perm_b32 v3, v3, v10, s16
	v_lshl_or_b32 v3, v3, 16, v9
	ds_write2_b32 v92, v7, v3 offset1:1
	s_waitcnt vmcnt(0)
	v_ashrrev_i32_e32 v2, v74, v2
	v_lshlrev_b32_e32 v7, 4, v2
	v_lshlrev_b32_e32 v9, 11, v2
	v_and_b32_e32 v3, 0xf0f0f0f, v4
	v_and_b32_e32 v7, 16, v7
	v_and_b32_e32 v9, 0x1000, v9
	v_or3_b32 v7, v7, v3, v9
	v_lshlrev_b32_e32 v9, 18, v2
	v_lshlrev_b32_e32 v10, 25, v2
	v_and_b32_e32 v9, 0x100000, v9
	v_and_b32_e32 v10, 0x10000000, v10
	v_or3_b32 v3, v3, v9, v10
	v_and_b32_sdwa v9, v3, s11 dst_sel:DWORD dst_unused:UNUSED_PAD src0_sel:WORD_1 src1_sel:DWORD
	v_lshlrev_b16_sdwa v3, v147, v3 dst_sel:DWORD dst_unused:UNUSED_PAD src0_sel:DWORD src1_sel:WORD_1
	v_add_u16_e32 v9, 0xf000, v9
	v_add_u16_e32 v3, 0xf000, v3
	v_perm_b32 v3, v3, v9, s16
	v_lshlrev_b16_e32 v9, 8, v7
	v_add_u16_e32 v9, 0xf000, v9
	v_lshrrev_b16_e32 v9, 8, v9
	v_bitop3_b16 v7, v7, v9, s11 bitop3:0xec
	v_add_u16_e32 v7, 0xf000, v7
	v_lshl_or_b32 v3, v3, 16, v7
	v_lshrrev_b32_e32 v4, 4, v4
	v_lshrrev_b32_e32 v7, 12, v2
	;; [unrolled: 1-line block ×3, first 2 shown]
	v_and_b32_e32 v4, 0xf0f0f0f, v4
	v_and_b32_e32 v7, 16, v7
	;; [unrolled: 1-line block ×3, first 2 shown]
	v_or3_b32 v7, v7, v4, v9
	v_lshlrev_b32_e32 v9, 2, v2
	v_lshlrev_b32_e32 v2, 9, v2
	v_and_b32_e32 v9, 0x100000, v9
	v_and_b32_e32 v2, 0x10000000, v2
	v_or3_b32 v2, v4, v9, v2
	v_and_b32_e32 v4, 0x1f00, v7
	v_lshlrev_b16_e32 v7, 8, v7
	v_add_u16_e32 v4, 0xf000, v4
	v_add_u16_e32 v7, 0xf000, v7
	v_perm_b32 v4, v7, v4, s16
	v_and_b32_sdwa v7, v2, s11 dst_sel:DWORD dst_unused:UNUSED_PAD src0_sel:WORD_1 src1_sel:DWORD
	v_lshlrev_b16_sdwa v2, v147, v2 dst_sel:DWORD dst_unused:UNUSED_PAD src0_sel:DWORD src1_sel:WORD_1
	v_add_u16_e32 v7, 0xf000, v7
	v_add_u16_e32 v2, 0xf000, v2
	v_perm_b32 v2, v2, v7, s16
	v_lshl_or_b32 v2, v2, 16, v4
	ds_write2_b32 v96, v3, v2 offset1:1
	v_ashrrev_i32_e32 v2, v74, v6
	v_lshlrev_b32_e32 v4, 4, v2
	v_lshlrev_b32_e32 v6, 11, v2
	v_and_b32_e32 v3, 0xf0f0f0f, v5
	v_and_b32_e32 v4, 16, v4
	;; [unrolled: 1-line block ×3, first 2 shown]
	v_or3_b32 v4, v4, v3, v6
	v_lshlrev_b32_e32 v6, 18, v2
	v_lshlrev_b32_e32 v7, 25, v2
	v_and_b32_e32 v6, 0x100000, v6
	v_and_b32_e32 v7, 0x10000000, v7
	v_or3_b32 v3, v3, v6, v7
	v_and_b32_e32 v6, 0x1f00, v4
	v_lshlrev_b16_e32 v4, 8, v4
	v_add_u16_e32 v6, 0xf000, v6
	v_add_u16_e32 v4, 0xf000, v4
	v_perm_b32 v4, v4, v6, s16
	v_and_b32_sdwa v6, v3, s11 dst_sel:DWORD dst_unused:UNUSED_PAD src0_sel:WORD_1 src1_sel:DWORD
	v_lshlrev_b16_sdwa v3, v147, v3 dst_sel:DWORD dst_unused:UNUSED_PAD src0_sel:DWORD src1_sel:WORD_1
	v_add_u16_e32 v6, 0xf000, v6
	v_add_u16_e32 v3, 0xf000, v3
	v_perm_b32 v3, v3, v6, s16
	v_lshl_or_b32 v3, v3, 16, v4
	v_lshrrev_b32_e32 v4, 4, v5
	v_lshrrev_b32_e32 v5, 12, v2
	;; [unrolled: 1-line block ×3, first 2 shown]
	v_and_b32_e32 v4, 0xf0f0f0f, v4
	v_and_b32_e32 v5, 16, v5
	;; [unrolled: 1-line block ×3, first 2 shown]
	v_or3_b32 v5, v5, v4, v6
	v_lshlrev_b32_e32 v6, 2, v2
	v_lshlrev_b32_e32 v2, 9, v2
	v_and_b32_e32 v6, 0x100000, v6
	v_and_b32_e32 v2, 0x10000000, v2
	v_or3_b32 v2, v4, v6, v2
	v_and_b32_sdwa v4, v2, s11 dst_sel:DWORD dst_unused:UNUSED_PAD src0_sel:WORD_1 src1_sel:DWORD
	v_lshlrev_b16_sdwa v2, v147, v2 dst_sel:DWORD dst_unused:UNUSED_PAD src0_sel:DWORD src1_sel:WORD_1
	v_add_u16_e32 v4, 0xf000, v4
	v_add_u16_e32 v2, 0xf000, v2
	v_perm_b32 v2, v2, v4, s16
	v_lshlrev_b16_e32 v4, 8, v5
	v_add_u16_e32 v4, 0xf000, v4
	v_lshrrev_b16_e32 v4, 8, v4
	v_bitop3_b16 v4, v5, v4, s11 bitop3:0xec
	v_add_u16_e32 v4, 0xf000, v4
	v_lshl_or_b32 v2, v2, 16, v4
	v_ashrrev_i32_e32 v18, v74, v8
	ds_write2_b32 v102, v3, v2 offset1:1
	v_lshlrev_b32_e32 v3, 4, v18
	v_lshlrev_b32_e32 v4, 11, v18
	v_and_b32_e32 v2, 0xf0f0f0f, v25
	v_and_b32_e32 v3, 16, v3
	;; [unrolled: 1-line block ×3, first 2 shown]
	v_or3_b32 v3, v3, v2, v4
	v_lshlrev_b32_e32 v4, 18, v18
	v_lshlrev_b32_e32 v5, 25, v18
	v_and_b32_e32 v4, 0x100000, v4
	v_and_b32_e32 v5, 0x10000000, v5
	v_or3_b32 v19, v2, v4, v5
	v_and_b32_e32 v2, 0x1f00, v3
	v_add_u16_e32 v20, 0xf000, v2
	v_lshlrev_b16_e32 v21, 8, v3
	v_mad_i64_i32 v[2:3], s[18:19], v112, 22, v[0:1]
	v_mad_i64_i32 v[6:7], s[18:19], v116, 22, v[0:1]
	;; [unrolled: 1-line block ×3, first 2 shown]
	v_lshl_add_u64 v[4:5], v[2:3], 0, v[74:75]
	v_lshl_add_u64 v[8:9], v[6:7], 0, v[74:75]
	v_mad_i64_i32 v[10:11], s[18:19], v122, 22, v[0:1]
	v_lshl_add_u64 v[16:17], v[14:15], 0, v[74:75]
	v_lshl_add_u64 v[12:13], v[10:11], 0, v[74:75]
	global_load_dword v4, v[4:5], off offset:6
	s_nop 0
	global_load_dword v5, v[8:9], off offset:6
	global_load_dword v22, v[12:13], off offset:6
	s_nop 0
	global_load_dword v16, v[16:17], off offset:6
	s_nop 0
	global_load_dword v17, v[14:15], off offset:2
	global_load_dword v8, v[10:11], off offset:2
	s_nop 0
	global_load_dword v6, v[6:7], off offset:2
	s_nop 0
	global_load_dword v2, v[2:3], off offset:2
	v_and_b32_sdwa v7, v19, s11 dst_sel:DWORD dst_unused:UNUSED_PAD src0_sel:WORD_1 src1_sel:DWORD
	v_lshlrev_b16_sdwa v9, v147, v19 dst_sel:DWORD dst_unused:UNUSED_PAD src0_sel:DWORD src1_sel:WORD_1
	v_add_u16_e32 v3, 0xf000, v21
	v_add_u16_e32 v7, 0xf000, v7
	;; [unrolled: 1-line block ×3, first 2 shown]
	v_perm_b32 v3, v3, v20, s16
	v_perm_b32 v7, v9, v7, s16
	v_lshl_or_b32 v3, v7, 16, v3
	v_lshrrev_b32_e32 v7, 4, v25
	v_lshrrev_b32_e32 v9, 12, v18
	v_lshrrev_b32_e32 v10, 5, v18
	v_and_b32_e32 v7, 0xf0f0f0f, v7
	v_and_b32_e32 v9, 16, v9
	;; [unrolled: 1-line block ×3, first 2 shown]
	v_or3_b32 v9, v9, v7, v10
	v_lshlrev_b32_e32 v10, 2, v18
	v_lshlrev_b32_e32 v11, 9, v18
	v_and_b32_e32 v10, 0x100000, v10
	v_and_b32_e32 v11, 0x10000000, v11
	v_or3_b32 v7, v7, v10, v11
	v_and_b32_sdwa v10, v7, s11 dst_sel:DWORD dst_unused:UNUSED_PAD src0_sel:WORD_1 src1_sel:DWORD
	v_lshlrev_b16_sdwa v7, v147, v7 dst_sel:DWORD dst_unused:UNUSED_PAD src0_sel:DWORD src1_sel:WORD_1
	v_add_u16_e32 v10, 0xf000, v10
	v_add_u16_e32 v7, 0xf000, v7
	v_perm_b32 v7, v7, v10, s16
	v_lshlrev_b16_e32 v10, 8, v9
	v_add_u16_e32 v10, 0xf000, v10
	v_lshrrev_b16_e32 v10, 8, v10
	v_bitop3_b16 v9, v9, v10, s11 bitop3:0xec
	v_add_u16_e32 v9, 0xf000, v9
	v_lshl_or_b32 v7, v7, 16, v9
	ds_write2_b32 v106, v3, v7 offset1:1
	v_ashrrev_i32_e32 v3, v74, v27
	v_lshlrev_b32_e32 v9, 4, v3
	v_lshlrev_b32_e32 v10, 11, v3
	v_and_b32_e32 v7, 0xf0f0f0f, v26
	v_and_b32_e32 v9, 16, v9
	;; [unrolled: 1-line block ×3, first 2 shown]
	v_or3_b32 v9, v9, v7, v10
	v_lshlrev_b32_e32 v10, 18, v3
	v_lshlrev_b32_e32 v11, 25, v3
	v_and_b32_e32 v10, 0x100000, v10
	v_and_b32_e32 v11, 0x10000000, v11
	v_or3_b32 v7, v7, v10, v11
	v_and_b32_e32 v10, 0x1f00, v9
	v_lshlrev_b16_e32 v9, 8, v9
	v_add_u16_e32 v10, 0xf000, v10
	v_add_u16_e32 v9, 0xf000, v9
	v_perm_b32 v9, v9, v10, s16
	v_and_b32_sdwa v10, v7, s11 dst_sel:DWORD dst_unused:UNUSED_PAD src0_sel:WORD_1 src1_sel:DWORD
	v_lshlrev_b16_sdwa v7, v147, v7 dst_sel:DWORD dst_unused:UNUSED_PAD src0_sel:DWORD src1_sel:WORD_1
	v_add_u16_e32 v10, 0xf000, v10
	v_add_u16_e32 v7, 0xf000, v7
	v_perm_b32 v7, v7, v10, s16
	v_lshl_or_b32 v7, v7, 16, v9
	v_lshrrev_b32_e32 v9, 4, v26
	v_lshrrev_b32_e32 v10, 12, v3
	;; [unrolled: 1-line block ×3, first 2 shown]
	v_and_b32_e32 v9, 0xf0f0f0f, v9
	v_and_b32_e32 v10, 16, v10
	;; [unrolled: 1-line block ×3, first 2 shown]
	v_or3_b32 v10, v10, v9, v11
	v_lshlrev_b32_e32 v11, 2, v3
	v_lshlrev_b32_e32 v3, 9, v3
	v_and_b32_e32 v11, 0x100000, v11
	v_and_b32_e32 v3, 0x10000000, v3
	v_or3_b32 v3, v9, v11, v3
	v_and_b32_sdwa v9, v3, s11 dst_sel:DWORD dst_unused:UNUSED_PAD src0_sel:WORD_1 src1_sel:DWORD
	v_lshlrev_b16_sdwa v3, v147, v3 dst_sel:DWORD dst_unused:UNUSED_PAD src0_sel:DWORD src1_sel:WORD_1
	v_add_u16_e32 v9, 0xf000, v9
	v_add_u16_e32 v3, 0xf000, v3
	v_perm_b32 v3, v3, v9, s16
	v_lshlrev_b16_e32 v9, 8, v10
	v_add_u16_e32 v9, 0xf000, v9
	v_lshrrev_b16_e32 v9, 8, v9
	v_bitop3_b16 v9, v10, v9, s11 bitop3:0xec
	v_add_u16_e32 v9, 0xf000, v9
	v_lshl_or_b32 v3, v3, 16, v9
	ds_write2_b32 v110, v7, v3 offset1:1
	s_waitcnt vmcnt(0)
	v_ashrrev_i32_e32 v2, v74, v2
	v_lshlrev_b32_e32 v7, 4, v2
	v_lshlrev_b32_e32 v9, 11, v2
	v_and_b32_e32 v3, 0xf0f0f0f, v4
	v_and_b32_e32 v7, 16, v7
	;; [unrolled: 1-line block ×3, first 2 shown]
	v_or3_b32 v7, v7, v3, v9
	v_lshlrev_b32_e32 v9, 18, v2
	v_lshlrev_b32_e32 v10, 25, v2
	v_and_b32_e32 v9, 0x100000, v9
	v_and_b32_e32 v10, 0x10000000, v10
	v_or3_b32 v3, v3, v9, v10
	v_and_b32_e32 v9, 0x1f00, v7
	v_lshlrev_b16_e32 v7, 8, v7
	v_add_u16_e32 v9, 0xf000, v9
	v_add_u16_e32 v7, 0xf000, v7
	v_perm_b32 v7, v7, v9, s16
	v_and_b32_sdwa v9, v3, s11 dst_sel:DWORD dst_unused:UNUSED_PAD src0_sel:WORD_1 src1_sel:DWORD
	v_lshlrev_b16_sdwa v3, v147, v3 dst_sel:DWORD dst_unused:UNUSED_PAD src0_sel:DWORD src1_sel:WORD_1
	v_add_u16_e32 v9, 0xf000, v9
	v_add_u16_e32 v3, 0xf000, v3
	v_perm_b32 v3, v3, v9, s16
	v_lshl_or_b32 v3, v3, 16, v7
	v_lshrrev_b32_e32 v4, 4, v4
	v_lshrrev_b32_e32 v7, 12, v2
	;; [unrolled: 1-line block ×3, first 2 shown]
	v_and_b32_e32 v4, 0xf0f0f0f, v4
	v_and_b32_e32 v7, 16, v7
	;; [unrolled: 1-line block ×3, first 2 shown]
	v_or3_b32 v7, v7, v4, v9
	v_lshlrev_b32_e32 v9, 2, v2
	v_lshlrev_b32_e32 v2, 9, v2
	v_and_b32_e32 v9, 0x100000, v9
	v_and_b32_e32 v2, 0x10000000, v2
	v_or3_b32 v2, v4, v9, v2
	v_and_b32_sdwa v4, v2, s11 dst_sel:DWORD dst_unused:UNUSED_PAD src0_sel:WORD_1 src1_sel:DWORD
	v_lshlrev_b16_sdwa v2, v147, v2 dst_sel:DWORD dst_unused:UNUSED_PAD src0_sel:DWORD src1_sel:WORD_1
	v_add_u16_e32 v4, 0xf000, v4
	v_add_u16_e32 v2, 0xf000, v2
	v_perm_b32 v2, v2, v4, s16
	v_lshlrev_b16_e32 v4, 8, v7
	v_add_u16_e32 v4, 0xf000, v4
	v_lshrrev_b16_e32 v4, 8, v4
	v_bitop3_b16 v4, v7, v4, s11 bitop3:0xec
	v_add_u16_e32 v4, 0xf000, v4
	v_lshl_or_b32 v2, v2, 16, v4
	ds_write2_b32 v114, v3, v2 offset1:1
	v_ashrrev_i32_e32 v2, v74, v6
	v_lshlrev_b32_e32 v4, 4, v2
	v_lshlrev_b32_e32 v6, 11, v2
	v_and_b32_e32 v3, 0xf0f0f0f, v5
	v_and_b32_e32 v4, 16, v4
	;; [unrolled: 1-line block ×3, first 2 shown]
	v_or3_b32 v4, v4, v3, v6
	v_lshlrev_b32_e32 v6, 18, v2
	v_lshlrev_b32_e32 v7, 25, v2
	v_and_b32_e32 v6, 0x100000, v6
	v_and_b32_e32 v7, 0x10000000, v7
	v_or3_b32 v3, v3, v6, v7
	v_and_b32_e32 v6, 0x1f00, v4
	v_lshlrev_b16_e32 v4, 8, v4
	v_add_u16_e32 v6, 0xf000, v6
	v_add_u16_e32 v4, 0xf000, v4
	v_perm_b32 v4, v4, v6, s16
	v_and_b32_sdwa v6, v3, s11 dst_sel:DWORD dst_unused:UNUSED_PAD src0_sel:WORD_1 src1_sel:DWORD
	v_lshlrev_b16_sdwa v3, v147, v3 dst_sel:DWORD dst_unused:UNUSED_PAD src0_sel:DWORD src1_sel:WORD_1
	v_add_u16_e32 v6, 0xf000, v6
	v_add_u16_e32 v3, 0xf000, v3
	v_perm_b32 v3, v3, v6, s16
	v_lshl_or_b32 v3, v3, 16, v4
	v_lshrrev_b32_e32 v4, 4, v5
	v_lshrrev_b32_e32 v5, 12, v2
	;; [unrolled: 1-line block ×3, first 2 shown]
	v_and_b32_e32 v4, 0xf0f0f0f, v4
	v_and_b32_e32 v5, 16, v5
	;; [unrolled: 1-line block ×3, first 2 shown]
	v_or3_b32 v5, v5, v4, v6
	v_lshlrev_b32_e32 v6, 2, v2
	v_lshlrev_b32_e32 v2, 9, v2
	v_and_b32_e32 v6, 0x100000, v6
	v_and_b32_e32 v2, 0x10000000, v2
	v_or3_b32 v2, v4, v6, v2
	v_and_b32_sdwa v4, v2, s11 dst_sel:DWORD dst_unused:UNUSED_PAD src0_sel:WORD_1 src1_sel:DWORD
	v_lshlrev_b16_sdwa v2, v147, v2 dst_sel:DWORD dst_unused:UNUSED_PAD src0_sel:DWORD src1_sel:WORD_1
	v_add_u16_e32 v4, 0xf000, v4
	v_add_u16_e32 v2, 0xf000, v2
	v_perm_b32 v2, v2, v4, s16
	v_lshlrev_b16_e32 v4, 8, v5
	v_add_u16_e32 v4, 0xf000, v4
	v_lshrrev_b16_e32 v4, 8, v4
	v_bitop3_b16 v4, v5, v4, s11 bitop3:0xec
	v_add_u16_e32 v4, 0xf000, v4
	v_lshl_or_b32 v2, v2, 16, v4
	v_ashrrev_i32_e32 v18, v74, v8
	ds_write2_b32 v118, v3, v2 offset1:1
	v_lshlrev_b32_e32 v3, 4, v18
	v_lshlrev_b32_e32 v4, 11, v18
	v_and_b32_e32 v2, 0xf0f0f0f, v22
	v_and_b32_e32 v3, 16, v3
	;; [unrolled: 1-line block ×3, first 2 shown]
	v_or3_b32 v3, v3, v2, v4
	v_lshlrev_b32_e32 v4, 18, v18
	v_lshlrev_b32_e32 v5, 25, v18
	v_and_b32_e32 v4, 0x100000, v4
	v_and_b32_e32 v5, 0x10000000, v5
	v_or3_b32 v19, v2, v4, v5
	v_and_b32_e32 v2, 0x1f00, v3
	v_add_u16_e32 v20, 0xf000, v2
	v_lshlrev_b16_e32 v21, 8, v3
	v_mad_i64_i32 v[2:3], s[18:19], v132, 22, v[0:1]
	v_mad_i64_i32 v[6:7], s[18:19], v136, 22, v[0:1]
	;; [unrolled: 1-line block ×3, first 2 shown]
	v_lshl_add_u64 v[4:5], v[2:3], 0, v[74:75]
	v_lshl_add_u64 v[8:9], v[6:7], 0, v[74:75]
	;; [unrolled: 1-line block ×3, first 2 shown]
	v_mad_i64_i32 v[0:1], s[18:19], v144, 22, v[0:1]
	v_lshl_add_u64 v[14:15], v[0:1], 0, v[74:75]
	global_load_dword v4, v[4:5], off offset:6
	s_nop 0
	global_load_dword v5, v[8:9], off offset:6
	s_nop 0
	global_load_dword v8, v[12:13], off offset:6
	global_load_dword v9, v[14:15], off offset:6
	s_nop 0
	global_load_dword v12, v[0:1], off offset:2
	s_nop 0
	global_load_dword v0, v[10:11], off offset:2
	global_load_dword v1, v[6:7], off offset:2
	s_nop 0
	global_load_dword v2, v[2:3], off offset:2
	v_and_b32_sdwa v6, v19, s11 dst_sel:DWORD dst_unused:UNUSED_PAD src0_sel:WORD_1 src1_sel:DWORD
	v_lshlrev_b16_sdwa v7, v147, v19 dst_sel:DWORD dst_unused:UNUSED_PAD src0_sel:DWORD src1_sel:WORD_1
	v_add_u16_e32 v3, 0xf000, v21
	v_add_u16_e32 v6, 0xf000, v6
	;; [unrolled: 1-line block ×3, first 2 shown]
	v_perm_b32 v3, v3, v20, s16
	v_perm_b32 v6, v7, v6, s16
	v_lshl_or_b32 v3, v6, 16, v3
	v_lshrrev_b32_e32 v6, 4, v22
	v_lshrrev_b32_e32 v7, 12, v18
	;; [unrolled: 1-line block ×3, first 2 shown]
	v_and_b32_e32 v6, 0xf0f0f0f, v6
	v_and_b32_e32 v7, 16, v7
	;; [unrolled: 1-line block ×3, first 2 shown]
	v_or3_b32 v7, v7, v6, v10
	v_lshlrev_b32_e32 v10, 2, v18
	v_lshlrev_b32_e32 v11, 9, v18
	v_and_b32_e32 v10, 0x100000, v10
	v_and_b32_e32 v11, 0x10000000, v11
	v_or3_b32 v6, v6, v10, v11
	v_and_b32_sdwa v10, v6, s11 dst_sel:DWORD dst_unused:UNUSED_PAD src0_sel:WORD_1 src1_sel:DWORD
	v_lshlrev_b16_sdwa v6, v147, v6 dst_sel:DWORD dst_unused:UNUSED_PAD src0_sel:DWORD src1_sel:WORD_1
	v_add_u16_e32 v10, 0xf000, v10
	v_add_u16_e32 v6, 0xf000, v6
	v_perm_b32 v6, v6, v10, s16
	v_lshlrev_b16_e32 v10, 8, v7
	v_add_u16_e32 v10, 0xf000, v10
	v_lshrrev_b16_e32 v10, 8, v10
	v_bitop3_b16 v7, v7, v10, s11 bitop3:0xec
	v_add_u16_e32 v7, 0xf000, v7
	v_lshl_or_b32 v6, v6, 16, v7
	ds_write2_b32 v126, v3, v6 offset1:1
	v_ashrrev_i32_e32 v3, v74, v17
	v_lshlrev_b32_e32 v7, 4, v3
	v_lshlrev_b32_e32 v10, 11, v3
	v_and_b32_e32 v6, 0xf0f0f0f, v16
	v_and_b32_e32 v7, 16, v7
	;; [unrolled: 1-line block ×3, first 2 shown]
	v_or3_b32 v7, v7, v6, v10
	v_lshlrev_b32_e32 v10, 18, v3
	v_lshlrev_b32_e32 v11, 25, v3
	v_and_b32_e32 v10, 0x100000, v10
	v_and_b32_e32 v11, 0x10000000, v11
	v_or3_b32 v6, v6, v10, v11
	v_and_b32_e32 v10, 0x1f00, v7
	v_lshlrev_b16_e32 v7, 8, v7
	v_add_u16_e32 v10, 0xf000, v10
	v_add_u16_e32 v7, 0xf000, v7
	v_perm_b32 v7, v7, v10, s16
	v_and_b32_sdwa v10, v6, s11 dst_sel:DWORD dst_unused:UNUSED_PAD src0_sel:WORD_1 src1_sel:DWORD
	v_lshlrev_b16_sdwa v6, v147, v6 dst_sel:DWORD dst_unused:UNUSED_PAD src0_sel:DWORD src1_sel:WORD_1
	v_add_u16_e32 v10, 0xf000, v10
	v_add_u16_e32 v6, 0xf000, v6
	v_perm_b32 v6, v6, v10, s16
	v_lshl_or_b32 v6, v6, 16, v7
	v_lshrrev_b32_e32 v7, 4, v16
	v_lshrrev_b32_e32 v10, 12, v3
	;; [unrolled: 1-line block ×3, first 2 shown]
	v_and_b32_e32 v7, 0xf0f0f0f, v7
	v_and_b32_e32 v10, 16, v10
	;; [unrolled: 1-line block ×3, first 2 shown]
	v_or3_b32 v10, v10, v7, v11
	v_lshlrev_b32_e32 v11, 2, v3
	v_lshlrev_b32_e32 v3, 9, v3
	v_and_b32_e32 v11, 0x100000, v11
	v_and_b32_e32 v3, 0x10000000, v3
	v_or3_b32 v3, v7, v11, v3
	v_and_b32_sdwa v7, v3, s11 dst_sel:DWORD dst_unused:UNUSED_PAD src0_sel:WORD_1 src1_sel:DWORD
	v_lshlrev_b16_sdwa v3, v147, v3 dst_sel:DWORD dst_unused:UNUSED_PAD src0_sel:DWORD src1_sel:WORD_1
	v_add_u16_e32 v7, 0xf000, v7
	v_add_u16_e32 v3, 0xf000, v3
	v_perm_b32 v3, v3, v7, s16
	v_lshlrev_b16_e32 v7, 8, v10
	v_add_u16_e32 v7, 0xf000, v7
	v_lshrrev_b16_e32 v7, 8, v7
	v_bitop3_b16 v7, v10, v7, s11 bitop3:0xec
	v_add_u16_e32 v7, 0xf000, v7
	v_lshl_or_b32 v3, v3, 16, v7
	ds_write2_b32 v130, v6, v3 offset1:1
	s_waitcnt vmcnt(0)
	v_ashrrev_i32_e32 v2, v74, v2
	v_lshlrev_b32_e32 v6, 4, v2
	v_lshlrev_b32_e32 v7, 11, v2
	v_and_b32_e32 v3, 0xf0f0f0f, v4
	v_and_b32_e32 v6, 16, v6
	;; [unrolled: 1-line block ×3, first 2 shown]
	v_or3_b32 v6, v6, v3, v7
	v_lshlrev_b32_e32 v7, 18, v2
	v_lshlrev_b32_e32 v10, 25, v2
	v_and_b32_e32 v7, 0x100000, v7
	v_and_b32_e32 v10, 0x10000000, v10
	v_or3_b32 v3, v3, v7, v10
	v_and_b32_e32 v7, 0x1f00, v6
	v_lshlrev_b16_e32 v6, 8, v6
	v_add_u16_e32 v7, 0xf000, v7
	v_add_u16_e32 v6, 0xf000, v6
	v_perm_b32 v6, v6, v7, s16
	v_and_b32_sdwa v7, v3, s11 dst_sel:DWORD dst_unused:UNUSED_PAD src0_sel:WORD_1 src1_sel:DWORD
	v_lshlrev_b16_sdwa v3, v147, v3 dst_sel:DWORD dst_unused:UNUSED_PAD src0_sel:DWORD src1_sel:WORD_1
	v_add_u16_e32 v7, 0xf000, v7
	v_add_u16_e32 v3, 0xf000, v3
	v_perm_b32 v3, v3, v7, s16
	v_lshl_or_b32 v3, v3, 16, v6
	v_lshrrev_b32_e32 v4, 4, v4
	v_lshrrev_b32_e32 v6, 12, v2
	;; [unrolled: 1-line block ×3, first 2 shown]
	v_and_b32_e32 v4, 0xf0f0f0f, v4
	v_and_b32_e32 v6, 16, v6
	v_and_b32_e32 v7, 0x1000, v7
	v_or3_b32 v6, v6, v4, v7
	v_lshlrev_b32_e32 v7, 2, v2
	v_lshlrev_b32_e32 v2, 9, v2
	v_and_b32_e32 v7, 0x100000, v7
	v_and_b32_e32 v2, 0x10000000, v2
	v_or3_b32 v2, v4, v7, v2
	v_and_b32_sdwa v4, v2, s11 dst_sel:DWORD dst_unused:UNUSED_PAD src0_sel:WORD_1 src1_sel:DWORD
	v_lshlrev_b16_sdwa v2, v147, v2 dst_sel:DWORD dst_unused:UNUSED_PAD src0_sel:DWORD src1_sel:WORD_1
	v_add_u16_e32 v4, 0xf000, v4
	v_add_u16_e32 v2, 0xf000, v2
	v_perm_b32 v2, v2, v4, s16
	v_lshlrev_b16_e32 v4, 8, v6
	v_add_u16_e32 v4, 0xf000, v4
	v_lshrrev_b16_e32 v4, 8, v4
	v_bitop3_b16 v4, v6, v4, s11 bitop3:0xec
	v_add_u16_e32 v4, 0xf000, v4
	v_lshl_or_b32 v2, v2, 16, v4
	v_ashrrev_i32_e32 v1, v74, v1
	ds_write2_b32 v134, v3, v2 offset1:1
	v_lshlrev_b32_e32 v3, 4, v1
	v_lshlrev_b32_e32 v4, 11, v1
	v_and_b32_e32 v2, 0xf0f0f0f, v5
	v_and_b32_e32 v3, 16, v3
	;; [unrolled: 1-line block ×3, first 2 shown]
	v_or3_b32 v3, v3, v2, v4
	v_lshlrev_b32_e32 v4, 18, v1
	v_lshlrev_b32_e32 v6, 25, v1
	v_and_b32_e32 v4, 0x100000, v4
	v_and_b32_e32 v6, 0x10000000, v6
	v_or3_b32 v2, v2, v4, v6
	v_and_b32_e32 v4, 0x1f00, v3
	v_lshlrev_b16_e32 v3, 8, v3
	v_add_u16_e32 v4, 0xf000, v4
	v_add_u16_e32 v3, 0xf000, v3
	v_perm_b32 v3, v3, v4, s16
	v_and_b32_sdwa v4, v2, s11 dst_sel:DWORD dst_unused:UNUSED_PAD src0_sel:WORD_1 src1_sel:DWORD
	v_lshlrev_b16_sdwa v2, v147, v2 dst_sel:DWORD dst_unused:UNUSED_PAD src0_sel:DWORD src1_sel:WORD_1
	v_add_u16_e32 v4, 0xf000, v4
	v_add_u16_e32 v2, 0xf000, v2
	v_perm_b32 v2, v2, v4, s16
	v_lshl_or_b32 v2, v2, 16, v3
	v_lshrrev_b32_e32 v3, 4, v5
	v_lshrrev_b32_e32 v4, 12, v1
	;; [unrolled: 1-line block ×3, first 2 shown]
	v_and_b32_e32 v3, 0xf0f0f0f, v3
	v_and_b32_e32 v4, 16, v4
	;; [unrolled: 1-line block ×3, first 2 shown]
	v_or3_b32 v4, v4, v3, v5
	v_lshlrev_b32_e32 v5, 2, v1
	v_lshlrev_b32_e32 v1, 9, v1
	v_and_b32_e32 v5, 0x100000, v5
	v_and_b32_e32 v1, 0x10000000, v1
	v_or3_b32 v1, v3, v5, v1
	v_and_b32_sdwa v3, v1, s11 dst_sel:DWORD dst_unused:UNUSED_PAD src0_sel:WORD_1 src1_sel:DWORD
	v_lshlrev_b16_sdwa v1, v147, v1 dst_sel:DWORD dst_unused:UNUSED_PAD src0_sel:DWORD src1_sel:WORD_1
	v_add_u16_e32 v3, 0xf000, v3
	v_add_u16_e32 v1, 0xf000, v1
	v_perm_b32 v1, v1, v3, s16
	v_lshlrev_b16_e32 v3, 8, v4
	v_add_u16_e32 v3, 0xf000, v3
	v_lshrrev_b16_e32 v3, 8, v3
	v_bitop3_b16 v3, v4, v3, s11 bitop3:0xec
	v_add_u16_e32 v3, 0xf000, v3
	v_lshl_or_b32 v1, v1, 16, v3
	v_ashrrev_i32_e32 v10, v74, v0
	ds_write2_b32 v138, v2, v1 offset1:1
	v_lshlrev_b32_e32 v1, 4, v10
	v_lshlrev_b32_e32 v2, 11, v10
	v_and_b32_e32 v0, 0xf0f0f0f, v8
	v_and_b32_e32 v1, 16, v1
	;; [unrolled: 1-line block ×3, first 2 shown]
	v_or3_b32 v1, v1, v0, v2
	v_lshlrev_b32_e32 v2, 18, v10
	v_lshlrev_b32_e32 v3, 25, v10
	v_and_b32_e32 v2, 0x100000, v2
	v_and_b32_e32 v3, 0x10000000, v3
	v_or3_b32 v11, v0, v2, v3
	v_and_b32_e32 v0, 0x1f00, v1
	v_lshlrev_b16_e32 v1, 8, v1
	v_add_u16_e32 v0, 0xf000, v0
	v_add_u16_e32 v1, 0xf000, v1
	v_perm_b32 v13, v1, v0, s16
	v_and_b32_sdwa v0, v11, s11 dst_sel:DWORD dst_unused:UNUSED_PAD src0_sel:WORD_1 src1_sel:DWORD
	v_add_u16_e32 v14, 0xf000, v0
	v_mad_u64_u32 v[0:1], s[0:1], v148, 22, s[0:1]
	v_mad_i64_i32 v[2:3], s[0:1], v150, 22, v[0:1]
	v_mad_i64_i32 v[4:5], s[0:1], v152, 22, v[0:1]
	;; [unrolled: 1-line block ×4, first 2 shown]
	global_load_ushort v2, v[2:3], off
	s_nop 0
	global_load_ushort v3, v[4:5], off
	s_nop 0
	global_load_ushort v4, v[6:7], off
	v_lshrrev_b32_e32 v5, 4, v8
	global_load_ushort v0, v[0:1], off
	v_lshrrev_b32_e32 v6, 12, v10
	v_lshrrev_b32_e32 v7, 5, v10
	v_and_b32_e32 v5, 0xf0f0f0f, v5
	v_and_b32_e32 v6, 16, v6
	;; [unrolled: 1-line block ×3, first 2 shown]
	v_or3_b32 v6, v6, v5, v7
	v_lshlrev_b32_e32 v7, 2, v10
	v_lshlrev_b32_e32 v8, 9, v10
	v_and_b32_e32 v7, 0x100000, v7
	v_and_b32_e32 v8, 0x10000000, v8
	v_or3_b32 v5, v5, v7, v8
	v_and_b32_sdwa v7, v5, s11 dst_sel:DWORD dst_unused:UNUSED_PAD src0_sel:WORD_1 src1_sel:DWORD
	v_lshlrev_b16_sdwa v5, v147, v5 dst_sel:DWORD dst_unused:UNUSED_PAD src0_sel:DWORD src1_sel:WORD_1
	v_add_u16_e32 v7, 0xf000, v7
	v_add_u16_e32 v5, 0xf000, v5
	v_perm_b32 v5, v5, v7, s16
	v_lshlrev_b16_e32 v7, 8, v6
	v_add_u16_e32 v7, 0xf000, v7
	v_lshlrev_b16_sdwa v1, v147, v11 dst_sel:DWORD dst_unused:UNUSED_PAD src0_sel:DWORD src1_sel:WORD_1
	v_lshrrev_b16_e32 v7, 8, v7
	v_add_u16_e32 v1, 0xf000, v1
	v_bitop3_b16 v6, v6, v7, s11 bitop3:0xec
	v_perm_b32 v1, v1, v14, s16
	v_add_u16_e32 v6, 0xf000, v6
	v_lshl_or_b32 v1, v1, 16, v13
	v_lshl_or_b32 v5, v5, 16, v6
	ds_write2_b32 v142, v1, v5 offset1:1
	v_ashrrev_i32_e32 v1, v74, v12
	v_lshlrev_b32_e32 v6, 4, v1
	v_lshlrev_b32_e32 v7, 11, v1
	v_and_b32_e32 v5, 0xf0f0f0f, v9
	v_and_b32_e32 v6, 16, v6
	;; [unrolled: 1-line block ×3, first 2 shown]
	v_or3_b32 v6, v6, v5, v7
	v_lshlrev_b32_e32 v7, 18, v1
	v_lshlrev_b32_e32 v8, 25, v1
	v_and_b32_e32 v7, 0x100000, v7
	v_and_b32_e32 v8, 0x10000000, v8
	v_or3_b32 v5, v5, v7, v8
	v_and_b32_e32 v7, 0x1f00, v6
	v_lshlrev_b16_e32 v6, 8, v6
	v_add_u16_e32 v7, 0xf000, v7
	v_add_u16_e32 v6, 0xf000, v6
	v_perm_b32 v6, v6, v7, s16
	v_and_b32_sdwa v7, v5, s11 dst_sel:DWORD dst_unused:UNUSED_PAD src0_sel:WORD_1 src1_sel:DWORD
	v_lshlrev_b16_sdwa v5, v147, v5 dst_sel:DWORD dst_unused:UNUSED_PAD src0_sel:DWORD src1_sel:WORD_1
	v_add_u16_e32 v7, 0xf000, v7
	v_add_u16_e32 v5, 0xf000, v5
	v_perm_b32 v5, v5, v7, s16
	v_lshl_or_b32 v5, v5, 16, v6
	v_lshrrev_b32_e32 v6, 4, v9
	v_lshrrev_b32_e32 v7, 12, v1
	;; [unrolled: 1-line block ×3, first 2 shown]
	v_and_b32_e32 v6, 0xf0f0f0f, v6
	v_and_b32_e32 v7, 16, v7
	;; [unrolled: 1-line block ×3, first 2 shown]
	v_or3_b32 v7, v7, v6, v8
	v_lshlrev_b32_e32 v8, 2, v1
	v_lshlrev_b32_e32 v1, 9, v1
	v_and_b32_e32 v8, 0x100000, v8
	v_and_b32_e32 v1, 0x10000000, v1
	v_or3_b32 v1, v6, v8, v1
	v_and_b32_sdwa v6, v1, s11 dst_sel:DWORD dst_unused:UNUSED_PAD src0_sel:WORD_1 src1_sel:DWORD
	v_lshlrev_b16_sdwa v1, v147, v1 dst_sel:DWORD dst_unused:UNUSED_PAD src0_sel:DWORD src1_sel:WORD_1
	v_add_u16_e32 v6, 0xf000, v6
	v_add_u16_e32 v1, 0xf000, v1
	v_perm_b32 v1, v1, v6, s16
	v_lshlrev_b16_e32 v6, 8, v7
	v_add_u16_e32 v6, 0xf000, v6
	v_lshrrev_b16_e32 v6, 8, v6
	v_bitop3_b16 v6, v7, v6, s11 bitop3:0xec
	v_add_u16_e32 v6, 0xf000, v6
	v_lshl_or_b32 v1, v1, 16, v6
	ds_write2_b32 v146, v5, v1 offset1:1
	s_waitcnt vmcnt(3)
	v_cvt_f32_f16_e32 v2, v2
	s_waitcnt vmcnt(2)
	v_cvt_f32_f16_e32 v1, v3
	;; [unrolled: 2-line block ×4, first 2 shown]
	ds_write_b32 v139, v2
	ds_write_b32 v141, v1
	;; [unrolled: 1-line block ×4, first 2 shown]
	s_cbranch_scc0 .LBB162_6
; %bb.8:                                ;   in Loop: Header=BB162_7 Depth=1
	v_add_u32_e32 v14, s9, v81
	v_add_u32_e32 v218, s9, v158
	;; [unrolled: 1-line block ×6, first 2 shown]
	v_mad_i64_i32 v[0:1], s[0:1], v0, 36, v[160:161]
	v_mad_i64_i32 v[2:3], s[0:1], v2, 36, v[160:161]
	v_mad_i64_i32 v[4:5], s[0:1], v4, 36, v[160:161]
	v_mad_i64_i32 v[6:7], s[0:1], v6, 36, v[160:161]
	v_add_u32_e32 v8, v14, v99
	v_add_u32_e32 v10, v14, v103
	;; [unrolled: 1-line block ×4, first 2 shown]
	v_mad_u64_u32 v[16:17], s[0:1], v218, 36, s[2:3]
	v_mad_i64_i32 v[8:9], s[0:1], v8, 36, v[160:161]
	v_mad_i64_i32 v[10:11], s[0:1], v10, 36, v[160:161]
	;; [unrolled: 1-line block ×4, first 2 shown]
	global_load_dword v16, v[16:17], off
	s_nop 0
	global_load_dword v0, v[0:1], off offset:4
	s_nop 0
	global_load_dword v1, v[2:3], off offset:4
	;; [unrolled: 2-line block ×3, first 2 shown]
	global_load_dword v3, v[6:7], off offset:4
	s_nop 0
	global_load_dword v4, v[8:9], off offset:4
	global_load_dword v5, v[10:11], off offset:4
	;; [unrolled: 1-line block ×4, first 2 shown]
	v_add_u32_e32 v219, v85, v91
	s_mov_b32 s0, -4
	v_mov_b32_e32 v220, v127
	v_mov_b32_e32 v221, v109
	;; [unrolled: 1-line block ×7, first 2 shown]
	s_waitcnt vmcnt(8)
	v_cvt_f32_f16_e32 v8, v16
	s_waitcnt vmcnt(7)
	ds_write_b32 v219, v0
	s_waitcnt vmcnt(6)
	ds_write_b32 v149, v1
	;; [unrolled: 2-line block ×8, first 2 shown]
	ds_write_b32 v87, v8
	s_waitcnt lgkmcnt(0)
	s_barrier
.LBB162_9:                              ;   Parent Loop BB162_7 Depth=1
                                        ; =>  This Inner Loop Header: Depth=2
	ds_read_b128 v[32:35], v220
	ds_read_b128 v[0:3], v220 offset:16
	ds_read2_b32 v[188:189], v222 offset1:32
	v_add_u32_e32 v170, 0x2080, v221
	v_add_u32_e32 v182, 0x4108, v221
	;; [unrolled: 1-line block ×5, first 2 shown]
	ds_read2_b32 v[168:169], v221 offset1:1
	ds_read2_b32 v[166:167], v221 offset0:2 offset1:3
	ds_read2_b32 v[164:165], v221 offset0:4 offset1:5
	ds_read2_b32 v[162:163], v221 offset0:6 offset1:7
	v_add_u32_e32 v171, 0x2088, v221
	v_add_u32_e32 v173, 0x2090, v221
	;; [unrolled: 1-line block ×4, first 2 shown]
	ds_read_b32 v172, v223
	ds_read_b32 v174, v224
	ds_read_b32 v176, v225
	ds_read_b32 v178, v226
	v_add_u32_e32 v186, 0x6188, v221
	v_add_u32_e32 v187, 0x6190, v221
	;; [unrolled: 1-line block ×3, first 2 shown]
	ds_read_b128 v[36:39], v220 offset:1024
	ds_read_b128 v[4:7], v220 offset:1040
	;; [unrolled: 1-line block ×4, first 2 shown]
	ds_read2_b32 v[192:193], v222 offset0:64 offset1:96
	ds_read_b128 v[44:47], v220 offset:3072
	ds_read_b128 v[12:15], v220 offset:3088
	;; [unrolled: 1-line block ×4, first 2 shown]
	ds_read2_b32 v[198:199], v222 offset0:128 offset1:160
	ds_read_b128 v[20:23], v220 offset:5120
	ds_read_b128 v[24:27], v220 offset:6144
	ds_read2_b32 v[216:217], v222 offset0:192 offset1:224
	ds_read2_b32 v[214:215], v170 offset1:1
	ds_read2_b32 v[208:209], v171 offset1:1
	;; [unrolled: 1-line block ×12, first 2 shown]
	v_mov_b32_e32 v228, 0
	v_mov_b32_e32 v227, 0
	v_mov_b32_e32 v229, 0
	v_mov_b32_e32 v230, 0
	s_waitcnt lgkmcnt(14)
	v_dot4c_i32_i8_e32 v228, v168, v32
	s_waitcnt lgkmcnt(11)
	v_dot4c_i32_i8_e32 v227, v214, v32
	;; [unrolled: 2-line block ×4, first 2 shown]
	v_dot4c_i32_i8_e32 v228, v169, v0
	v_dot4c_i32_i8_e32 v227, v215, v0
	;; [unrolled: 1-line block ×7, first 2 shown]
	s_waitcnt lgkmcnt(2)
	v_dot4c_i32_i8_e32 v230, v204, v33
	v_dot4c_i32_i8_e32 v228, v167, v1
	;; [unrolled: 1-line block ×8, first 2 shown]
	s_waitcnt lgkmcnt(1)
	v_dot4c_i32_i8_e32 v230, v194, v34
	v_mov_b32_e32 v240, 0
	v_mov_b32_e32 v242, 0
	;; [unrolled: 1-line block ×3, first 2 shown]
	v_dot4c_i32_i8_e32 v228, v165, v2
	v_dot4c_i32_i8_e32 v227, v203, v2
	;; [unrolled: 1-line block ×4, first 2 shown]
	v_mov_b32_e32 v2, 0
	v_mov_b32_e32 v232, 0
	;; [unrolled: 1-line block ×9, first 2 shown]
	v_dot4c_i32_i8_e32 v240, v168, v28
	v_dot4c_i32_i8_e32 v242, v214, v28
	;; [unrolled: 1-line block ×40, first 2 shown]
	v_mov_b32_e32 v239, 0
	v_mov_b32_e32 v243, 0
	;; [unrolled: 1-line block ×4, first 2 shown]
	v_dot4c_i32_i8_e32 v232, v167, v5
	v_dot4c_i32_i8_e32 v231, v209, v5
	;; [unrolled: 1-line block ×43, first 2 shown]
	s_waitcnt lgkmcnt(0)
	v_dot4c_i32_i8_e32 v2, v184, v31
	ds_read_b128 v[28:31], v220 offset:7168
	v_dot4c_i32_i8_e32 v228, v162, v35
	v_dot4c_i32_i8_e32 v227, v180, v35
	;; [unrolled: 1-line block ×16, first 2 shown]
	ds_read_b128 v[32:35], v220 offset:5136
	ds_read_b128 v[40:43], v220 offset:6160
	;; [unrolled: 1-line block ×3, first 2 shown]
	v_dot4c_i32_i8_e32 v239, v167, v13
	v_dot4c_i32_i8_e32 v243, v209, v13
	;; [unrolled: 1-line block ×8, first 2 shown]
	v_mov_b32_e32 v241, 0
	v_dot4c_i32_i8_e32 v239, v165, v14
	v_dot4c_i32_i8_e32 v243, v203, v14
	;; [unrolled: 1-line block ×4, first 2 shown]
	v_mov_b32_e32 v14, 0
	v_mov_b32_e32 v18, 0
	v_dot4c_i32_i8_e32 v241, v168, v20
	v_dot4c_i32_i8_e32 v14, v168, v24
	s_waitcnt lgkmcnt(3)
	v_dot4c_i32_i8_e32 v18, v168, v28
	v_pk_mul_f32 v[170:171], v[172:173], v[188:189] op_sel_hi:[0,1]
	v_pk_mul_f32 v[0:1], v[174:175], v[188:189] op_sel_hi:[0,1]
	;; [unrolled: 1-line block ×9, first 2 shown]
	v_dot4c_i32_i8_e32 v239, v162, v47
	v_dot4c_i32_i8_e32 v243, v180, v47
	;; [unrolled: 1-line block ×4, first 2 shown]
	v_pk_mul_f32 v[12:13], v[174:175], v[198:199] op_sel_hi:[0,1]
	v_pk_mul_f32 v[44:45], v[176:177], v[198:199] op_sel_hi:[0,1]
	;; [unrolled: 1-line block ×7, first 2 shown]
	s_waitcnt lgkmcnt(2)
	v_dot4c_i32_i8_e32 v241, v169, v32
	s_waitcnt lgkmcnt(1)
	v_dot4c_i32_i8_e32 v14, v169, v40
	s_waitcnt lgkmcnt(0)
	v_dot4c_i32_i8_e32 v18, v169, v36
	v_mov_b32_e32 v168, 0
	v_mov_b32_e32 v169, 0
	v_mov_b32_e32 v178, 0
	v_dot4c_i32_i8_e32 v168, v214, v20
	v_dot4c_i32_i8_e32 v169, v214, v24
	v_dot4c_i32_i8_e32 v178, v214, v28
	v_dot4c_i32_i8_e32 v168, v215, v32
	v_dot4c_i32_i8_e32 v169, v215, v40
	v_dot4c_i32_i8_e32 v178, v215, v36
	v_mov_b32_e32 v214, 0
	v_mov_b32_e32 v215, 0
	v_mov_b32_e32 v216, 0
	v_dot4c_i32_i8_e32 v214, v212, v20
	v_dot4c_i32_i8_e32 v215, v212, v24
	v_dot4c_i32_i8_e32 v216, v212, v28
	v_dot4c_i32_i8_e32 v214, v213, v32
	v_dot4c_i32_i8_e32 v215, v213, v40
	v_dot4c_i32_i8_e32 v216, v213, v36
	;; [unrolled: 9-line block ×3, first 2 shown]
	v_dot4c_i32_i8_e32 v241, v166, v21
	v_dot4c_i32_i8_e32 v14, v166, v25
	v_dot4c_i32_i8_e32 v18, v166, v29
	v_dot4c_i32_i8_e32 v168, v208, v21
	v_dot4c_i32_i8_e32 v169, v208, v25
	v_dot4c_i32_i8_e32 v178, v208, v29
	v_dot4c_i32_i8_e32 v214, v206, v21
	v_dot4c_i32_i8_e32 v215, v206, v25
	v_dot4c_i32_i8_e32 v216, v206, v29
	v_dot4c_i32_i8_e32 v212, v204, v21
	v_dot4c_i32_i8_e32 v213, v204, v25
	v_dot4c_i32_i8_e32 v217, v204, v29
	v_dot4c_i32_i8_e32 v241, v167, v33
	v_dot4c_i32_i8_e32 v14, v167, v41
	v_dot4c_i32_i8_e32 v18, v167, v37
	v_dot4c_i32_i8_e32 v168, v209, v33
	v_dot4c_i32_i8_e32 v169, v209, v41
	v_dot4c_i32_i8_e32 v178, v209, v37
	v_dot4c_i32_i8_e32 v214, v207, v33
	v_dot4c_i32_i8_e32 v215, v207, v41
	v_dot4c_i32_i8_e32 v216, v207, v37
	v_dot4c_i32_i8_e32 v212, v205, v33
	v_dot4c_i32_i8_e32 v213, v205, v41
	v_dot4c_i32_i8_e32 v217, v205, v37
	v_dot4c_i32_i8_e32 v241, v164, v22
	v_dot4c_i32_i8_e32 v14, v164, v26
	v_dot4c_i32_i8_e32 v18, v164, v30
	v_dot4c_i32_i8_e32 v168, v202, v22
	v_dot4c_i32_i8_e32 v169, v202, v26
	v_dot4c_i32_i8_e32 v178, v202, v30
	v_dot4c_i32_i8_e32 v214, v200, v22
	v_dot4c_i32_i8_e32 v215, v200, v26
	v_dot4c_i32_i8_e32 v216, v200, v30
	v_dot4c_i32_i8_e32 v212, v194, v22
	v_dot4c_i32_i8_e32 v213, v194, v26
	v_dot4c_i32_i8_e32 v217, v194, v30
	v_dot4c_i32_i8_e32 v241, v165, v34
	v_dot4c_i32_i8_e32 v14, v165, v42
	v_dot4c_i32_i8_e32 v18, v165, v38
	v_dot4c_i32_i8_e32 v168, v203, v34
	v_dot4c_i32_i8_e32 v169, v203, v42
	v_dot4c_i32_i8_e32 v178, v203, v38
	v_dot4c_i32_i8_e32 v214, v201, v34
	v_dot4c_i32_i8_e32 v215, v201, v42
	v_dot4c_i32_i8_e32 v216, v201, v38
	v_dot4c_i32_i8_e32 v212, v195, v34
	v_dot4c_i32_i8_e32 v213, v195, v42
	v_dot4c_i32_i8_e32 v217, v195, v38
	v_dot4c_i32_i8_e32 v241, v162, v23
	v_dot4c_i32_i8_e32 v14, v162, v27
	v_dot4c_i32_i8_e32 v18, v162, v31
	v_dot4c_i32_i8_e32 v168, v180, v23
	v_dot4c_i32_i8_e32 v214, v182, v23
	v_dot4c_i32_i8_e32 v212, v184, v23
	v_dot4c_i32_i8_e32 v169, v180, v27
	v_dot4c_i32_i8_e32 v215, v182, v27
	v_dot4c_i32_i8_e32 v213, v184, v27
	v_dot4c_i32_i8_e32 v178, v180, v31
	v_dot4c_i32_i8_e32 v216, v182, v31
	v_dot4c_i32_i8_e32 v217, v184, v31
	v_dot4c_i32_i8_e32 v228, v163, v3
	v_dot4c_i32_i8_e32 v232, v163, v7
	v_dot4c_i32_i8_e32 v236, v163, v11
	v_dot4c_i32_i8_e32 v239, v163, v15
	v_dot4c_i32_i8_e32 v240, v163, v19
	v_dot4c_i32_i8_e32 v241, v163, v35
	v_dot4c_i32_i8_e32 v14, v163, v43
	v_dot4c_i32_i8_e32 v18, v163, v39
	v_dot4c_i32_i8_e32 v227, v181, v3
	v_dot4c_i32_i8_e32 v229, v183, v3
	v_dot4c_i32_i8_e32 v230, v185, v3
	v_dot4c_i32_i8_e32 v231, v181, v7
	v_dot4c_i32_i8_e32 v233, v183, v7
	v_dot4c_i32_i8_e32 v234, v185, v7
	v_dot4c_i32_i8_e32 v235, v181, v11
	v_dot4c_i32_i8_e32 v237, v183, v11
	v_dot4c_i32_i8_e32 v238, v185, v11
	v_dot4c_i32_i8_e32 v243, v181, v15
	v_dot4c_i32_i8_e32 v245, v183, v15
	v_dot4c_i32_i8_e32 v246, v185, v15
	v_dot4c_i32_i8_e32 v242, v181, v19
	v_dot4c_i32_i8_e32 v244, v183, v19
	v_dot4c_i32_i8_e32 v2, v185, v19
	v_dot4c_i32_i8_e32 v168, v181, v35
	v_dot4c_i32_i8_e32 v214, v183, v35
	v_dot4c_i32_i8_e32 v212, v185, v35
	v_dot4c_i32_i8_e32 v169, v181, v43
	v_dot4c_i32_i8_e32 v215, v183, v43
	v_dot4c_i32_i8_e32 v213, v185, v43
	v_dot4c_i32_i8_e32 v178, v181, v39
	v_dot4c_i32_i8_e32 v216, v183, v39
	v_dot4c_i32_i8_e32 v217, v185, v39
	v_cvt_f32_i32_e32 v17, v232
	v_cvt_f32_i32_e32 v16, v228
	;; [unrolled: 1-line block ×32, first 2 shown]
	s_add_i32 s0, s0, 4
	v_add_u32_e32 v226, 4, v226
	v_add_u32_e32 v225, 4, v225
	;; [unrolled: 1-line block ×7, first 2 shown]
	s_cmp_lt_u32 s0, 12
	v_pk_fma_f32 v[124:125], v[170:171], v[16:17], v[124:125]
	v_pk_fma_f32 v[70:71], v[190:191], v[6:7], v[70:71]
	;; [unrolled: 1-line block ×16, first 2 shown]
	s_cbranch_scc1 .LBB162_9
; %bb.10:                               ;   in Loop: Header=BB162_7 Depth=1
	s_and_b32 s0, s8, -4
	s_cmp_eq_u32 s0, 4
	s_barrier
	s_cbranch_scc1 .LBB162_6
; %bb.11:                               ;   in Loop: Header=BB162_7 Depth=1
	v_add_u32_e32 v14, s9, v111
	v_add_u32_e32 v0, v14, v89
	;; [unrolled: 1-line block ×8, first 2 shown]
	v_mad_i64_i32 v[0:1], s[0:1], v0, 36, v[160:161]
	v_mad_i64_i32 v[2:3], s[0:1], v2, 36, v[160:161]
	;; [unrolled: 1-line block ×6, first 2 shown]
	v_add_u32_e32 v12, v14, v105
	v_add_u32_e32 v14, v14, v107
	v_mad_u64_u32 v[16:17], s[0:1], v16, 36, s[2:3]
	v_mad_i64_i32 v[12:13], s[0:1], v12, 36, v[160:161]
	v_mad_i64_i32 v[14:15], s[0:1], v14, 36, v[160:161]
	global_load_dword v16, v[16:17], off
	s_nop 0
	global_load_dword v0, v[0:1], off offset:4
	s_nop 0
	global_load_dword v2, v[2:3], off offset:4
	;; [unrolled: 2-line block ×6, first 2 shown]
	global_load_dword v9, v[12:13], off offset:4
	s_nop 0
	global_load_dword v10, v[14:15], off offset:4
	s_mov_b32 s0, 12
	v_mov_b32_e32 v1, v123
	v_mov_b32_e32 v3, v127
	v_mov_b32_e32 v5, v137
	v_mov_b32_e32 v13, v135
	v_mov_b32_e32 v42, v133
	v_mov_b32_e32 v43, v131
	v_mov_b32_e32 v44, v129
	s_waitcnt vmcnt(8)
	v_cvt_f32_f16_e32 v11, v16
	s_waitcnt vmcnt(7)
	ds_write_b32 v219, v0
	s_waitcnt vmcnt(6)
	ds_write_b32 v149, v2
	;; [unrolled: 2-line block ×8, first 2 shown]
	ds_write_b32 v87, v11
	s_waitcnt lgkmcnt(0)
	s_barrier
.LBB162_12:                             ;   Parent Loop BB162_7 Depth=1
                                        ; =>  This Inner Loop Header: Depth=2
	v_add_u32_e32 v2, 0x2080, v5
	ds_read_b128 v[162:165], v3
	ds_read_b128 v[166:169], v3 offset:16
	ds_read2_b32 v[40:41], v1 offset1:32
	ds_read_b32 v4, v13
	ds_read2_b32 v[10:11], v5 offset1:1
	ds_read2_b32 v[20:21], v5 offset0:2 offset1:3
	ds_read2_b32 v[26:27], v5 offset0:4 offset1:5
	;; [unrolled: 1-line block ×3, first 2 shown]
	ds_read_b32 v0, v42
	ds_read2_b32 v[6:7], v2 offset1:1
	v_add_u32_e32 v2, 0x2088, v5
	ds_read2_b32 v[14:15], v2 offset1:1
	v_add_u32_e32 v2, 0x2090, v5
	;; [unrolled: 2-line block ×3, first 2 shown]
	v_add_u32_e32 v8, 0x4100, v5
	v_add_u32_e32 v12, 0x4108, v5
	ds_read2_b32 v[32:33], v2 offset1:1
	ds_read_b32 v2, v43
	ds_read2_b32 v[8:9], v8 offset1:1
	ds_read2_b32 v[18:19], v12 offset1:1
	v_add_u32_e32 v12, 0x4110, v5
	ds_read2_b32 v[28:29], v12 offset1:1
	v_add_u32_e32 v12, 0x4118, v5
	v_add_u32_e32 v16, 0x6180, v5
	ds_read2_b32 v[36:37], v12 offset1:1
	ds_read_b32 v12, v44
	ds_read2_b32 v[16:17], v16 offset1:1
	v_add_u32_e32 v24, 0x6188, v5
	ds_read2_b32 v[24:25], v24 offset1:1
	v_add_u32_e32 v34, 0x6190, v5
	v_mov_b32_e32 v45, 0
	v_mov_b32_e32 v172, 0
	;; [unrolled: 1-line block ×4, first 2 shown]
	ds_read2_b32 v[34:35], v34 offset1:1
	s_waitcnt lgkmcnt(14)
	v_dot4c_i32_i8_e32 v45, v10, v162
	s_waitcnt lgkmcnt(12)
	v_dot4c_i32_i8_e32 v172, v6, v162
	s_waitcnt lgkmcnt(7)
	v_dot4c_i32_i8_e32 v173, v8, v162
	s_waitcnt lgkmcnt(2)
	v_dot4c_i32_i8_e32 v174, v16, v162
	v_add_u32_e32 v38, 0x6198, v5
	v_dot4c_i32_i8_e32 v45, v11, v166
	v_dot4c_i32_i8_e32 v172, v7, v166
	;; [unrolled: 1-line block ×4, first 2 shown]
	ds_read2_b32 v[38:39], v38 offset1:1
	v_dot4c_i32_i8_e32 v45, v20, v163
	v_dot4c_i32_i8_e32 v172, v14, v163
	v_dot4c_i32_i8_e32 v173, v18, v163
	s_waitcnt lgkmcnt(2)
	v_dot4c_i32_i8_e32 v174, v24, v163
	v_dot4c_i32_i8_e32 v45, v21, v167
	v_dot4c_i32_i8_e32 v172, v15, v167
	v_dot4c_i32_i8_e32 v173, v19, v167
	v_dot4c_i32_i8_e32 v174, v25, v167
	v_dot4c_i32_i8_e32 v45, v26, v164
	v_dot4c_i32_i8_e32 v172, v22, v164
	v_dot4c_i32_i8_e32 v173, v28, v164
	s_waitcnt lgkmcnt(1)
	v_dot4c_i32_i8_e32 v174, v34, v164
	v_dot4c_i32_i8_e32 v45, v27, v168
	v_dot4c_i32_i8_e32 v172, v23, v168
	v_dot4c_i32_i8_e32 v173, v29, v168
	v_dot4c_i32_i8_e32 v174, v35, v168
	;; [unrolled: 9-line block ×3, first 2 shown]
	ds_read_b128 v[162:165], v3 offset:1024
	ds_read_b128 v[166:169], v3 offset:1040
	v_mov_b32_e32 v170, 0
	v_pk_mul_f32 v[46:47], v[4:5], v[40:41] op_sel_hi:[0,1]
	s_add_i32 s0, s0, 4
	s_waitcnt lgkmcnt(1)
	v_dot4c_i32_i8_e32 v170, v10, v162
	s_waitcnt lgkmcnt(0)
	v_dot4c_i32_i8_e32 v170, v11, v166
	v_dot4c_i32_i8_e32 v170, v20, v163
	;; [unrolled: 1-line block ×7, first 2 shown]
	v_add_u32_e32 v44, 4, v44
	v_add_u32_e32 v43, 4, v43
	;; [unrolled: 1-line block ×3, first 2 shown]
	v_cvt_f32_i32_e32 v171, v170
	v_cvt_f32_i32_e32 v170, v45
	v_mov_b32_e32 v45, 0
	v_dot4c_i32_i8_e32 v45, v6, v162
	v_dot4c_i32_i8_e32 v45, v7, v166
	v_dot4c_i32_i8_e32 v45, v14, v163
	v_dot4c_i32_i8_e32 v45, v15, v167
	v_dot4c_i32_i8_e32 v45, v22, v164
	v_dot4c_i32_i8_e32 v45, v23, v168
	v_dot4c_i32_i8_e32 v45, v32, v165
	v_dot4c_i32_i8_e32 v45, v33, v169
	v_pk_fma_f32 v[124:125], v[46:47], v[170:171], v[124:125]
	v_cvt_f32_i32_e32 v170, v172
	v_pk_mul_f32 v[46:47], v[0:1], v[40:41] op_sel_hi:[0,1]
	v_cvt_f32_i32_e32 v171, v45
	v_mov_b32_e32 v45, 0
	v_dot4c_i32_i8_e32 v45, v8, v162
	v_dot4c_i32_i8_e32 v45, v9, v166
	v_dot4c_i32_i8_e32 v45, v18, v163
	v_dot4c_i32_i8_e32 v45, v19, v167
	v_dot4c_i32_i8_e32 v45, v28, v164
	v_dot4c_i32_i8_e32 v45, v29, v168
	v_dot4c_i32_i8_e32 v45, v36, v165
	v_dot4c_i32_i8_e32 v45, v37, v169
	v_pk_fma_f32 v[120:121], v[46:47], v[170:171], v[120:121]
	v_cvt_f32_i32_e32 v170, v173
	v_pk_mul_f32 v[46:47], v[2:3], v[40:41] op_sel_hi:[0,1]
	;; [unrolled: 13-line block ×3, first 2 shown]
	v_cvt_f32_i32_e32 v47, v45
	v_mov_b32_e32 v45, 0
	v_mov_b32_e32 v172, 0
	;; [unrolled: 1-line block ×3, first 2 shown]
	v_pk_fma_f32 v[82:83], v[40:41], v[46:47], v[82:83]
	ds_read_b128 v[162:165], v3 offset:2048
	ds_read_b128 v[166:169], v3 offset:2064
	ds_read2_b32 v[40:41], v1 offset0:64 offset1:96
	v_mov_b32_e32 v174, 0
	v_mov_b32_e32 v170, 0
	s_waitcnt lgkmcnt(2)
	v_dot4c_i32_i8_e32 v45, v10, v162
	v_dot4c_i32_i8_e32 v172, v6, v162
	;; [unrolled: 1-line block ×4, first 2 shown]
	s_waitcnt lgkmcnt(1)
	v_dot4c_i32_i8_e32 v45, v11, v166
	v_dot4c_i32_i8_e32 v172, v7, v166
	;; [unrolled: 1-line block ×28, first 2 shown]
	ds_read_b128 v[162:165], v3 offset:3072
	ds_read_b128 v[166:169], v3 offset:3088
	s_waitcnt lgkmcnt(2)
	v_pk_mul_f32 v[46:47], v[4:5], v[40:41] op_sel_hi:[0,1]
	s_cmp_lt_u32 s0, 28
	s_waitcnt lgkmcnt(1)
	v_dot4c_i32_i8_e32 v170, v10, v162
	s_waitcnt lgkmcnt(0)
	v_dot4c_i32_i8_e32 v170, v11, v166
	v_dot4c_i32_i8_e32 v170, v20, v163
	v_dot4c_i32_i8_e32 v170, v21, v167
	v_dot4c_i32_i8_e32 v170, v26, v164
	v_dot4c_i32_i8_e32 v170, v27, v168
	v_dot4c_i32_i8_e32 v170, v30, v165
	v_dot4c_i32_i8_e32 v170, v31, v169
	s_nop 2
	v_cvt_f32_i32_e32 v171, v170
	v_cvt_f32_i32_e32 v170, v45
	v_mov_b32_e32 v45, 0
	v_dot4c_i32_i8_e32 v45, v6, v162
	v_dot4c_i32_i8_e32 v45, v7, v166
	v_dot4c_i32_i8_e32 v45, v14, v163
	v_dot4c_i32_i8_e32 v45, v15, v167
	v_dot4c_i32_i8_e32 v45, v22, v164
	v_dot4c_i32_i8_e32 v45, v23, v168
	v_dot4c_i32_i8_e32 v45, v32, v165
	v_dot4c_i32_i8_e32 v45, v33, v169
	v_pk_fma_f32 v[70:71], v[46:47], v[170:171], v[70:71]
	v_cvt_f32_i32_e32 v170, v172
	v_pk_mul_f32 v[46:47], v[0:1], v[40:41] op_sel_hi:[0,1]
	v_cvt_f32_i32_e32 v171, v45
	v_mov_b32_e32 v45, 0
	v_dot4c_i32_i8_e32 v45, v8, v162
	v_dot4c_i32_i8_e32 v45, v9, v166
	v_dot4c_i32_i8_e32 v45, v18, v163
	v_dot4c_i32_i8_e32 v45, v19, v167
	v_dot4c_i32_i8_e32 v45, v28, v164
	v_dot4c_i32_i8_e32 v45, v29, v168
	v_dot4c_i32_i8_e32 v45, v36, v165
	v_dot4c_i32_i8_e32 v45, v37, v169
	v_pk_fma_f32 v[68:69], v[46:47], v[170:171], v[68:69]
	v_cvt_f32_i32_e32 v170, v173
	v_pk_mul_f32 v[46:47], v[2:3], v[40:41] op_sel_hi:[0,1]
	;; [unrolled: 13-line block ×3, first 2 shown]
	v_cvt_f32_i32_e32 v47, v45
	v_mov_b32_e32 v45, 0
	v_mov_b32_e32 v172, 0
	;; [unrolled: 1-line block ×3, first 2 shown]
	v_pk_fma_f32 v[64:65], v[40:41], v[46:47], v[64:65]
	ds_read_b128 v[162:165], v3 offset:4096
	ds_read_b128 v[166:169], v3 offset:4112
	ds_read2_b32 v[40:41], v1 offset0:128 offset1:160
	v_mov_b32_e32 v174, 0
	v_mov_b32_e32 v170, 0
	s_waitcnt lgkmcnt(2)
	v_dot4c_i32_i8_e32 v45, v10, v162
	v_dot4c_i32_i8_e32 v172, v6, v162
	;; [unrolled: 1-line block ×4, first 2 shown]
	s_waitcnt lgkmcnt(1)
	v_dot4c_i32_i8_e32 v45, v11, v166
	v_dot4c_i32_i8_e32 v172, v7, v166
	;; [unrolled: 1-line block ×28, first 2 shown]
	ds_read_b128 v[162:165], v3 offset:5120
	ds_read_b128 v[166:169], v3 offset:5136
	s_waitcnt lgkmcnt(2)
	v_pk_mul_f32 v[46:47], v[4:5], v[40:41] op_sel_hi:[0,1]
	s_waitcnt lgkmcnt(1)
	v_dot4c_i32_i8_e32 v170, v10, v162
	s_waitcnt lgkmcnt(0)
	v_dot4c_i32_i8_e32 v170, v11, v166
	v_dot4c_i32_i8_e32 v170, v20, v163
	;; [unrolled: 1-line block ×7, first 2 shown]
	s_nop 2
	v_cvt_f32_i32_e32 v171, v170
	v_cvt_f32_i32_e32 v170, v45
	v_mov_b32_e32 v45, 0
	v_dot4c_i32_i8_e32 v45, v6, v162
	v_dot4c_i32_i8_e32 v45, v7, v166
	v_dot4c_i32_i8_e32 v45, v14, v163
	v_dot4c_i32_i8_e32 v45, v15, v167
	v_dot4c_i32_i8_e32 v45, v22, v164
	v_dot4c_i32_i8_e32 v45, v23, v168
	v_dot4c_i32_i8_e32 v45, v32, v165
	v_dot4c_i32_i8_e32 v45, v33, v169
	v_pk_fma_f32 v[62:63], v[46:47], v[170:171], v[62:63]
	v_cvt_f32_i32_e32 v170, v172
	v_pk_mul_f32 v[46:47], v[0:1], v[40:41] op_sel_hi:[0,1]
	v_cvt_f32_i32_e32 v171, v45
	v_mov_b32_e32 v45, 0
	v_dot4c_i32_i8_e32 v45, v8, v162
	v_dot4c_i32_i8_e32 v45, v9, v166
	v_dot4c_i32_i8_e32 v45, v18, v163
	v_dot4c_i32_i8_e32 v45, v19, v167
	v_dot4c_i32_i8_e32 v45, v28, v164
	v_dot4c_i32_i8_e32 v45, v29, v168
	v_dot4c_i32_i8_e32 v45, v36, v165
	v_dot4c_i32_i8_e32 v45, v37, v169
	v_pk_fma_f32 v[60:61], v[46:47], v[170:171], v[60:61]
	v_cvt_f32_i32_e32 v170, v173
	v_pk_mul_f32 v[46:47], v[2:3], v[40:41] op_sel_hi:[0,1]
	;; [unrolled: 13-line block ×3, first 2 shown]
	v_cvt_f32_i32_e32 v47, v45
	v_mov_b32_e32 v45, 0
	v_mov_b32_e32 v170, 0
	;; [unrolled: 1-line block ×3, first 2 shown]
	v_pk_fma_f32 v[56:57], v[40:41], v[46:47], v[56:57]
	ds_read_b128 v[162:165], v3 offset:6144
	ds_read_b128 v[166:169], v3 offset:6160
	ds_read2_b32 v[40:41], v1 offset0:192 offset1:224
	v_mov_b32_e32 v46, 0
	v_mov_b32_e32 v47, 0
	s_waitcnt lgkmcnt(2)
	v_dot4c_i32_i8_e32 v45, v10, v162
	v_dot4c_i32_i8_e32 v46, v6, v162
	;; [unrolled: 1-line block ×4, first 2 shown]
	s_waitcnt lgkmcnt(1)
	v_dot4c_i32_i8_e32 v45, v11, v166
	v_dot4c_i32_i8_e32 v46, v7, v166
	v_dot4c_i32_i8_e32 v47, v9, v166
	v_dot4c_i32_i8_e32 v170, v17, v166
	v_dot4c_i32_i8_e32 v45, v20, v163
	v_dot4c_i32_i8_e32 v46, v14, v163
	v_dot4c_i32_i8_e32 v47, v18, v163
	v_dot4c_i32_i8_e32 v170, v24, v163
	v_dot4c_i32_i8_e32 v45, v21, v167
	v_dot4c_i32_i8_e32 v46, v15, v167
	v_dot4c_i32_i8_e32 v47, v19, v167
	v_dot4c_i32_i8_e32 v170, v25, v167
	v_dot4c_i32_i8_e32 v45, v26, v164
	v_dot4c_i32_i8_e32 v46, v22, v164
	v_dot4c_i32_i8_e32 v47, v28, v164
	v_dot4c_i32_i8_e32 v170, v34, v164
	v_dot4c_i32_i8_e32 v45, v27, v168
	v_dot4c_i32_i8_e32 v46, v23, v168
	v_dot4c_i32_i8_e32 v47, v29, v168
	v_dot4c_i32_i8_e32 v170, v35, v168
	v_dot4c_i32_i8_e32 v45, v30, v165
	v_dot4c_i32_i8_e32 v46, v32, v165
	v_dot4c_i32_i8_e32 v47, v36, v165
	v_dot4c_i32_i8_e32 v170, v38, v165
	v_dot4c_i32_i8_e32 v45, v31, v169
	v_dot4c_i32_i8_e32 v46, v33, v169
	v_dot4c_i32_i8_e32 v47, v37, v169
	v_dot4c_i32_i8_e32 v170, v39, v169
	ds_read_b128 v[162:165], v3 offset:7168
	ds_read_b128 v[166:169], v3 offset:7184
	s_waitcnt lgkmcnt(1)
	v_dot4c_i32_i8_e32 v171, v10, v162
	s_waitcnt lgkmcnt(0)
	v_dot4c_i32_i8_e32 v171, v11, v166
	v_pk_mul_f32 v[10:11], v[4:5], v[40:41] op_sel_hi:[0,1]
	v_mov_b32_e32 v4, 0
	v_dot4c_i32_i8_e32 v4, v6, v162
	v_dot4c_i32_i8_e32 v4, v7, v166
	v_pk_mul_f32 v[6:7], v[0:1], v[40:41] op_sel_hi:[0,1]
	v_mov_b32_e32 v0, 0
	v_dot4c_i32_i8_e32 v0, v8, v162
	v_dot4c_i32_i8_e32 v0, v9, v166
	;; [unrolled: 1-line block ×16, first 2 shown]
	v_cvt_f32_i32_e32 v20, v45
	v_cvt_f32_i32_e32 v21, v171
	v_dot4c_i32_i8_e32 v4, v22, v164
	v_cvt_f32_i32_e32 v9, v0
	v_mov_b32_e32 v0, 0
	v_dot4c_i32_i8_e32 v4, v23, v168
	v_dot4c_i32_i8_e32 v0, v16, v162
	;; [unrolled: 1-line block ×6, first 2 shown]
	v_pk_fma_f32 v[54:55], v[10:11], v[20:21], v[54:55]
	v_cvt_f32_i32_e32 v10, v46
	v_cvt_f32_i32_e32 v11, v4
	v_dot4c_i32_i8_e32 v0, v25, v167
	v_cvt_f32_i32_e32 v8, v47
	v_dot4c_i32_i8_e32 v0, v34, v164
	v_dot4c_i32_i8_e32 v0, v35, v168
	;; [unrolled: 1-line block ×3, first 2 shown]
	v_pk_fma_f32 v[52:53], v[6:7], v[10:11], v[52:53]
	v_pk_mul_f32 v[6:7], v[2:3], v[40:41] op_sel_hi:[0,1]
	v_dot4c_i32_i8_e32 v0, v39, v169
	v_pk_fma_f32 v[50:51], v[6:7], v[8:9], v[50:51]
	v_cvt_f32_i32_e32 v8, v170
	v_pk_mul_f32 v[6:7], v[12:13], v[40:41] op_sel_hi:[0,1]
	v_cvt_f32_i32_e32 v9, v0
	v_add_u32_e32 v13, 4, v13
	v_add_u32_e32 v5, 32, v5
	;; [unrolled: 1-line block ×3, first 2 shown]
	v_pk_fma_f32 v[48:49], v[6:7], v[8:9], v[48:49]
	v_add_u32_e32 v1, 4, v1
	s_cbranch_scc1 .LBB162_12
; %bb.13:                               ;   in Loop: Header=BB162_7 Depth=1
	s_barrier
	s_branch .LBB162_6
.LBB162_14:
	v_mov_b32_e32 v1, v77
	v_cmp_gt_u32_e32 vcc, s10, v79
	s_and_saveexec_b64 s[0:1], vcc
	s_cbranch_execz .LBB162_3
.LBB162_15:
	v_add_u32_e32 v0, s4, v73
	v_mul_lo_u32 v5, v79, s14
	v_cmp_gt_u32_e64 s[0:1], s14, v0
	s_and_saveexec_b64 s[2:3], s[0:1]
	s_cbranch_execz .LBB162_17
; %bb.16:
	v_bfe_u32 v2, v124, 16, 1
	s_movk_i32 s4, 0x7fff
	v_add3_u32 v2, v124, v2, s4
	v_cmp_o_f32_e32 vcc, v124, v124
	v_mov_b32_e32 v3, 0x7fc0
	s_nop 0
	v_cndmask_b32_sdwa v4, v3, v2, vcc dst_sel:DWORD dst_unused:UNUSED_PAD src0_sel:DWORD src1_sel:WORD_1
	v_add_u32_e32 v2, v0, v5
	v_mov_b32_e32 v3, 0
	s_waitcnt lgkmcnt(0)
	v_lshl_add_u64 v[2:3], v[2:3], 1, s[12:13]
	global_store_short v[2:3], v4, off
.LBB162_17:
	s_or_b64 exec, exec, s[2:3]
	v_add_u32_e32 v2, 32, v0
	v_cmp_gt_u32_e64 s[2:3], s14, v2
	s_and_saveexec_b64 s[4:5], s[2:3]
	s_cbranch_execz .LBB162_19
; %bb.18:
	v_bfe_u32 v3, v120, 16, 1
	s_movk_i32 s6, 0x7fff
	v_add3_u32 v3, v120, v3, s6
	v_cmp_o_f32_e32 vcc, v120, v120
	v_mov_b32_e32 v4, 0x7fc0
	v_add_u32_e32 v6, v2, v5
	v_mov_b32_e32 v7, 0
	v_cndmask_b32_sdwa v3, v4, v3, vcc dst_sel:DWORD dst_unused:UNUSED_PAD src0_sel:DWORD src1_sel:WORD_1
	s_waitcnt lgkmcnt(0)
	v_lshl_add_u64 v[6:7], v[6:7], 1, s[12:13]
	global_store_short v[6:7], v3, off
.LBB162_19:
	s_or_b64 exec, exec, s[4:5]
	v_add_u32_e32 v3, 64, v0
	v_cmp_gt_u32_e64 s[4:5], s14, v3
	s_and_saveexec_b64 s[6:7], s[4:5]
	s_cbranch_execz .LBB162_21
; %bb.20:
	v_bfe_u32 v4, v100, 16, 1
	s_movk_i32 s8, 0x7fff
	v_add3_u32 v4, v100, v4, s8
	v_cmp_o_f32_e32 vcc, v100, v100
	v_mov_b32_e32 v6, 0x7fc0
	v_mov_b32_e32 v7, 0
	v_cndmask_b32_sdwa v4, v6, v4, vcc dst_sel:DWORD dst_unused:UNUSED_PAD src0_sel:DWORD src1_sel:WORD_1
	v_add_u32_e32 v6, v3, v5
	s_waitcnt lgkmcnt(0)
	v_lshl_add_u64 v[6:7], v[6:7], 1, s[12:13]
	global_store_short v[6:7], v4, off
.LBB162_21:
	s_or_b64 exec, exec, s[6:7]
	v_add_u32_e32 v4, 0x60, v0
	v_cmp_gt_u32_e64 s[6:7], s14, v4
	s_and_saveexec_b64 s[8:9], s[6:7]
	s_cbranch_execz .LBB162_23
; %bb.22:
	v_bfe_u32 v6, v82, 16, 1
	s_movk_i32 s11, 0x7fff
	v_add3_u32 v6, v82, v6, s11
	v_cmp_o_f32_e32 vcc, v82, v82
	v_mov_b32_e32 v7, 0x7fc0
	s_nop 0
	v_cndmask_b32_sdwa v8, v7, v6, vcc dst_sel:DWORD dst_unused:UNUSED_PAD src0_sel:DWORD src1_sel:WORD_1
	v_add_u32_e32 v6, v4, v5
	v_mov_b32_e32 v7, 0
	s_waitcnt lgkmcnt(0)
	v_lshl_add_u64 v[6:7], v[6:7], 1, s[12:13]
	global_store_short v[6:7], v8, off
.LBB162_23:
	s_or_b64 exec, exec, s[8:9]
	v_add3_u32 v5, v1, s15, 8
	v_cmp_gt_u32_e32 vcc, s10, v5
	s_and_b64 exec, exec, vcc
	s_cbranch_execz .LBB162_3
; %bb.24:
	v_mul_lo_u32 v5, v5, s14
	s_and_saveexec_b64 s[8:9], s[0:1]
	s_cbranch_execnz .LBB162_64
; %bb.25:
	s_or_b64 exec, exec, s[8:9]
	s_and_saveexec_b64 s[8:9], s[2:3]
	s_cbranch_execnz .LBB162_65
.LBB162_26:
	s_or_b64 exec, exec, s[8:9]
	s_and_saveexec_b64 s[8:9], s[4:5]
	s_cbranch_execnz .LBB162_66
.LBB162_27:
	s_or_b64 exec, exec, s[8:9]
	s_and_saveexec_b64 s[8:9], s[6:7]
	s_cbranch_execz .LBB162_29
.LBB162_28:
	v_bfe_u32 v6, v83, 16, 1
	s_movk_i32 s11, 0x7fff
	v_add3_u32 v6, v83, v6, s11
	v_cmp_o_f32_e32 vcc, v83, v83
	v_mov_b32_e32 v7, 0x7fc0
	s_nop 0
	v_cndmask_b32_sdwa v8, v7, v6, vcc dst_sel:DWORD dst_unused:UNUSED_PAD src0_sel:DWORD src1_sel:WORD_1
	v_add_u32_e32 v6, v5, v4
	v_mov_b32_e32 v7, 0
	s_waitcnt lgkmcnt(0)
	v_lshl_add_u64 v[6:7], v[6:7], 1, s[12:13]
	global_store_short v[6:7], v8, off
.LBB162_29:
	s_or_b64 exec, exec, s[8:9]
	v_add3_u32 v5, v1, s15, 16
	v_cmp_gt_u32_e32 vcc, s10, v5
	s_and_b64 exec, exec, vcc
	s_cbranch_execz .LBB162_3
; %bb.30:
	v_mul_lo_u32 v5, v5, s14
	s_and_saveexec_b64 s[8:9], s[0:1]
	s_cbranch_execnz .LBB162_67
; %bb.31:
	s_or_b64 exec, exec, s[8:9]
	s_and_saveexec_b64 s[8:9], s[2:3]
	s_cbranch_execnz .LBB162_68
.LBB162_32:
	s_or_b64 exec, exec, s[8:9]
	s_and_saveexec_b64 s[8:9], s[4:5]
	s_cbranch_execnz .LBB162_69
.LBB162_33:
	s_or_b64 exec, exec, s[8:9]
	s_and_saveexec_b64 s[8:9], s[6:7]
	s_cbranch_execz .LBB162_35
.LBB162_34:
	v_bfe_u32 v6, v64, 16, 1
	s_movk_i32 s11, 0x7fff
	v_add3_u32 v6, v64, v6, s11
	v_cmp_o_f32_e32 vcc, v64, v64
	v_mov_b32_e32 v7, 0x7fc0
	s_nop 0
	v_cndmask_b32_sdwa v8, v7, v6, vcc dst_sel:DWORD dst_unused:UNUSED_PAD src0_sel:DWORD src1_sel:WORD_1
	v_add_u32_e32 v6, v5, v4
	v_mov_b32_e32 v7, 0
	s_waitcnt lgkmcnt(0)
	v_lshl_add_u64 v[6:7], v[6:7], 1, s[12:13]
	global_store_short v[6:7], v8, off
.LBB162_35:
	s_or_b64 exec, exec, s[8:9]
	v_add3_u32 v5, v1, s15, 24
	v_cmp_gt_u32_e32 vcc, s10, v5
	s_and_b64 exec, exec, vcc
	s_cbranch_execz .LBB162_3
; %bb.36:
	v_mul_lo_u32 v5, v5, s14
	s_and_saveexec_b64 s[8:9], s[0:1]
	s_cbranch_execnz .LBB162_70
; %bb.37:
	s_or_b64 exec, exec, s[8:9]
	s_and_saveexec_b64 s[8:9], s[2:3]
	s_cbranch_execnz .LBB162_71
.LBB162_38:
	s_or_b64 exec, exec, s[8:9]
	s_and_saveexec_b64 s[8:9], s[4:5]
	s_cbranch_execnz .LBB162_72
.LBB162_39:
	s_or_b64 exec, exec, s[8:9]
	s_and_saveexec_b64 s[8:9], s[6:7]
	s_cbranch_execz .LBB162_41
.LBB162_40:
	v_bfe_u32 v6, v65, 16, 1
	s_movk_i32 s11, 0x7fff
	v_add3_u32 v6, v65, v6, s11
	v_cmp_o_f32_e32 vcc, v65, v65
	v_mov_b32_e32 v7, 0x7fc0
	s_nop 0
	v_cndmask_b32_sdwa v8, v7, v6, vcc dst_sel:DWORD dst_unused:UNUSED_PAD src0_sel:DWORD src1_sel:WORD_1
	v_add_u32_e32 v6, v5, v4
	v_mov_b32_e32 v7, 0
	s_waitcnt lgkmcnt(0)
	v_lshl_add_u64 v[6:7], v[6:7], 1, s[12:13]
	global_store_short v[6:7], v8, off
.LBB162_41:
	s_or_b64 exec, exec, s[8:9]
	v_add3_u32 v5, v1, s15, 32
	v_cmp_gt_u32_e32 vcc, s10, v5
	s_and_b64 exec, exec, vcc
	s_cbranch_execz .LBB162_3
; %bb.42:
	v_mul_lo_u32 v5, v5, s14
	s_and_saveexec_b64 s[8:9], s[0:1]
	s_cbranch_execnz .LBB162_73
; %bb.43:
	s_or_b64 exec, exec, s[8:9]
	s_and_saveexec_b64 s[8:9], s[2:3]
	s_cbranch_execnz .LBB162_74
.LBB162_44:
	s_or_b64 exec, exec, s[8:9]
	s_and_saveexec_b64 s[8:9], s[4:5]
	s_cbranch_execnz .LBB162_75
.LBB162_45:
	s_or_b64 exec, exec, s[8:9]
	s_and_saveexec_b64 s[8:9], s[6:7]
	s_cbranch_execz .LBB162_47
.LBB162_46:
	v_bfe_u32 v6, v56, 16, 1
	s_movk_i32 s11, 0x7fff
	v_add3_u32 v6, v56, v6, s11
	v_cmp_o_f32_e32 vcc, v56, v56
	v_mov_b32_e32 v7, 0x7fc0
	s_nop 0
	v_cndmask_b32_sdwa v8, v7, v6, vcc dst_sel:DWORD dst_unused:UNUSED_PAD src0_sel:DWORD src1_sel:WORD_1
	v_add_u32_e32 v6, v5, v4
	v_mov_b32_e32 v7, 0
	s_waitcnt lgkmcnt(0)
	v_lshl_add_u64 v[6:7], v[6:7], 1, s[12:13]
	global_store_short v[6:7], v8, off
.LBB162_47:
	s_or_b64 exec, exec, s[8:9]
	v_add3_u32 v5, v1, s15, 40
	v_cmp_gt_u32_e32 vcc, s10, v5
	s_and_b64 exec, exec, vcc
	s_cbranch_execz .LBB162_3
; %bb.48:
	v_mul_lo_u32 v5, v5, s14
	s_and_saveexec_b64 s[8:9], s[0:1]
	s_cbranch_execnz .LBB162_76
; %bb.49:
	s_or_b64 exec, exec, s[8:9]
	s_and_saveexec_b64 s[8:9], s[2:3]
	s_cbranch_execnz .LBB162_77
.LBB162_50:
	s_or_b64 exec, exec, s[8:9]
	s_and_saveexec_b64 s[8:9], s[4:5]
	s_cbranch_execnz .LBB162_78
.LBB162_51:
	s_or_b64 exec, exec, s[8:9]
	s_and_saveexec_b64 s[8:9], s[6:7]
	s_cbranch_execz .LBB162_53
.LBB162_52:
	v_bfe_u32 v6, v57, 16, 1
	s_movk_i32 s11, 0x7fff
	v_add3_u32 v6, v57, v6, s11
	v_cmp_o_f32_e32 vcc, v57, v57
	v_mov_b32_e32 v7, 0x7fc0
	s_nop 0
	v_cndmask_b32_sdwa v8, v7, v6, vcc dst_sel:DWORD dst_unused:UNUSED_PAD src0_sel:DWORD src1_sel:WORD_1
	v_add_u32_e32 v6, v5, v4
	v_mov_b32_e32 v7, 0
	s_waitcnt lgkmcnt(0)
	v_lshl_add_u64 v[6:7], v[6:7], 1, s[12:13]
	global_store_short v[6:7], v8, off
.LBB162_53:
	s_or_b64 exec, exec, s[8:9]
	v_add3_u32 v5, v1, s15, 48
	v_cmp_gt_u32_e32 vcc, s10, v5
	s_and_b64 exec, exec, vcc
	s_cbranch_execz .LBB162_3
; %bb.54:
	v_mul_lo_u32 v5, v5, s14
	s_and_saveexec_b64 s[8:9], s[0:1]
	s_cbranch_execnz .LBB162_79
; %bb.55:
	s_or_b64 exec, exec, s[8:9]
	s_and_saveexec_b64 s[8:9], s[2:3]
	s_cbranch_execnz .LBB162_80
.LBB162_56:
	s_or_b64 exec, exec, s[8:9]
	s_and_saveexec_b64 s[8:9], s[4:5]
	s_cbranch_execnz .LBB162_81
.LBB162_57:
	s_or_b64 exec, exec, s[8:9]
	s_and_saveexec_b64 s[8:9], s[6:7]
	s_cbranch_execz .LBB162_59
.LBB162_58:
	v_bfe_u32 v6, v48, 16, 1
	s_movk_i32 s11, 0x7fff
	v_add3_u32 v6, v48, v6, s11
	v_cmp_o_f32_e32 vcc, v48, v48
	v_mov_b32_e32 v7, 0x7fc0
	s_nop 0
	v_cndmask_b32_sdwa v8, v7, v6, vcc dst_sel:DWORD dst_unused:UNUSED_PAD src0_sel:DWORD src1_sel:WORD_1
	v_add_u32_e32 v6, v5, v4
	v_mov_b32_e32 v7, 0
	s_waitcnt lgkmcnt(0)
	v_lshl_add_u64 v[6:7], v[6:7], 1, s[12:13]
	global_store_short v[6:7], v8, off
.LBB162_59:
	s_or_b64 exec, exec, s[8:9]
	v_add3_u32 v1, v1, s15, 56
	v_cmp_gt_u32_e32 vcc, s10, v1
	s_and_b64 exec, exec, vcc
	s_cbranch_execz .LBB162_3
; %bb.60:
	v_mul_lo_u32 v1, v1, s14
	s_and_saveexec_b64 s[8:9], s[0:1]
	s_cbranch_execnz .LBB162_82
; %bb.61:
	s_or_b64 exec, exec, s[8:9]
	s_and_saveexec_b64 s[0:1], s[2:3]
	s_cbranch_execnz .LBB162_83
.LBB162_62:
	s_or_b64 exec, exec, s[0:1]
	s_and_saveexec_b64 s[0:1], s[4:5]
	s_cbranch_execnz .LBB162_84
.LBB162_63:
	s_or_b64 exec, exec, s[0:1]
	s_and_b64 exec, exec, s[6:7]
	s_cbranch_execz .LBB162_3
	s_branch .LBB162_85
.LBB162_64:
	v_bfe_u32 v6, v125, 16, 1
	s_movk_i32 s11, 0x7fff
	v_add3_u32 v6, v125, v6, s11
	v_cmp_o_f32_e32 vcc, v125, v125
	v_mov_b32_e32 v7, 0x7fc0
	s_nop 0
	v_cndmask_b32_sdwa v8, v7, v6, vcc dst_sel:DWORD dst_unused:UNUSED_PAD src0_sel:DWORD src1_sel:WORD_1
	v_add_u32_e32 v6, v5, v0
	v_mov_b32_e32 v7, 0
	s_waitcnt lgkmcnt(0)
	v_lshl_add_u64 v[6:7], v[6:7], 1, s[12:13]
	global_store_short v[6:7], v8, off
	s_or_b64 exec, exec, s[8:9]
	s_and_saveexec_b64 s[8:9], s[2:3]
	s_cbranch_execz .LBB162_26
.LBB162_65:
	v_bfe_u32 v6, v121, 16, 1
	s_movk_i32 s11, 0x7fff
	v_add3_u32 v6, v121, v6, s11
	v_cmp_o_f32_e32 vcc, v121, v121
	v_mov_b32_e32 v7, 0x7fc0
	s_nop 0
	v_cndmask_b32_sdwa v8, v7, v6, vcc dst_sel:DWORD dst_unused:UNUSED_PAD src0_sel:DWORD src1_sel:WORD_1
	v_add_u32_e32 v6, v5, v2
	v_mov_b32_e32 v7, 0
	s_waitcnt lgkmcnt(0)
	v_lshl_add_u64 v[6:7], v[6:7], 1, s[12:13]
	global_store_short v[6:7], v8, off
	s_or_b64 exec, exec, s[8:9]
	s_and_saveexec_b64 s[8:9], s[4:5]
	s_cbranch_execz .LBB162_27
.LBB162_66:
	v_bfe_u32 v6, v101, 16, 1
	s_movk_i32 s11, 0x7fff
	v_add3_u32 v6, v101, v6, s11
	v_cmp_o_f32_e32 vcc, v101, v101
	v_mov_b32_e32 v7, 0x7fc0
	s_nop 0
	v_cndmask_b32_sdwa v8, v7, v6, vcc dst_sel:DWORD dst_unused:UNUSED_PAD src0_sel:DWORD src1_sel:WORD_1
	v_add_u32_e32 v6, v5, v3
	v_mov_b32_e32 v7, 0
	s_waitcnt lgkmcnt(0)
	v_lshl_add_u64 v[6:7], v[6:7], 1, s[12:13]
	global_store_short v[6:7], v8, off
	s_or_b64 exec, exec, s[8:9]
	s_and_saveexec_b64 s[8:9], s[6:7]
	s_cbranch_execnz .LBB162_28
	s_branch .LBB162_29
.LBB162_67:
	v_bfe_u32 v6, v70, 16, 1
	s_movk_i32 s11, 0x7fff
	v_add3_u32 v6, v70, v6, s11
	v_cmp_o_f32_e32 vcc, v70, v70
	v_mov_b32_e32 v7, 0x7fc0
	s_nop 0
	v_cndmask_b32_sdwa v8, v7, v6, vcc dst_sel:DWORD dst_unused:UNUSED_PAD src0_sel:DWORD src1_sel:WORD_1
	v_add_u32_e32 v6, v5, v0
	v_mov_b32_e32 v7, 0
	s_waitcnt lgkmcnt(0)
	v_lshl_add_u64 v[6:7], v[6:7], 1, s[12:13]
	global_store_short v[6:7], v8, off
	s_or_b64 exec, exec, s[8:9]
	s_and_saveexec_b64 s[8:9], s[2:3]
	s_cbranch_execz .LBB162_32
.LBB162_68:
	v_bfe_u32 v6, v68, 16, 1
	s_movk_i32 s11, 0x7fff
	v_add3_u32 v6, v68, v6, s11
	v_cmp_o_f32_e32 vcc, v68, v68
	v_mov_b32_e32 v7, 0x7fc0
	s_nop 0
	v_cndmask_b32_sdwa v8, v7, v6, vcc dst_sel:DWORD dst_unused:UNUSED_PAD src0_sel:DWORD src1_sel:WORD_1
	v_add_u32_e32 v6, v5, v2
	v_mov_b32_e32 v7, 0
	s_waitcnt lgkmcnt(0)
	v_lshl_add_u64 v[6:7], v[6:7], 1, s[12:13]
	global_store_short v[6:7], v8, off
	s_or_b64 exec, exec, s[8:9]
	s_and_saveexec_b64 s[8:9], s[4:5]
	s_cbranch_execz .LBB162_33
.LBB162_69:
	v_bfe_u32 v6, v66, 16, 1
	s_movk_i32 s11, 0x7fff
	v_add3_u32 v6, v66, v6, s11
	v_cmp_o_f32_e32 vcc, v66, v66
	v_mov_b32_e32 v7, 0x7fc0
	s_nop 0
	v_cndmask_b32_sdwa v8, v7, v6, vcc dst_sel:DWORD dst_unused:UNUSED_PAD src0_sel:DWORD src1_sel:WORD_1
	v_add_u32_e32 v6, v5, v3
	v_mov_b32_e32 v7, 0
	s_waitcnt lgkmcnt(0)
	v_lshl_add_u64 v[6:7], v[6:7], 1, s[12:13]
	global_store_short v[6:7], v8, off
	s_or_b64 exec, exec, s[8:9]
	s_and_saveexec_b64 s[8:9], s[6:7]
	s_cbranch_execnz .LBB162_34
	s_branch .LBB162_35
.LBB162_70:
	v_bfe_u32 v6, v71, 16, 1
	s_movk_i32 s11, 0x7fff
	v_add3_u32 v6, v71, v6, s11
	v_cmp_o_f32_e32 vcc, v71, v71
	v_mov_b32_e32 v7, 0x7fc0
	s_nop 0
	v_cndmask_b32_sdwa v8, v7, v6, vcc dst_sel:DWORD dst_unused:UNUSED_PAD src0_sel:DWORD src1_sel:WORD_1
	v_add_u32_e32 v6, v5, v0
	v_mov_b32_e32 v7, 0
	s_waitcnt lgkmcnt(0)
	v_lshl_add_u64 v[6:7], v[6:7], 1, s[12:13]
	global_store_short v[6:7], v8, off
	s_or_b64 exec, exec, s[8:9]
	s_and_saveexec_b64 s[8:9], s[2:3]
	s_cbranch_execz .LBB162_38
.LBB162_71:
	v_bfe_u32 v6, v69, 16, 1
	s_movk_i32 s11, 0x7fff
	v_add3_u32 v6, v69, v6, s11
	v_cmp_o_f32_e32 vcc, v69, v69
	v_mov_b32_e32 v7, 0x7fc0
	s_nop 0
	v_cndmask_b32_sdwa v8, v7, v6, vcc dst_sel:DWORD dst_unused:UNUSED_PAD src0_sel:DWORD src1_sel:WORD_1
	v_add_u32_e32 v6, v5, v2
	v_mov_b32_e32 v7, 0
	s_waitcnt lgkmcnt(0)
	v_lshl_add_u64 v[6:7], v[6:7], 1, s[12:13]
	global_store_short v[6:7], v8, off
	s_or_b64 exec, exec, s[8:9]
	s_and_saveexec_b64 s[8:9], s[4:5]
	s_cbranch_execz .LBB162_39
.LBB162_72:
	v_bfe_u32 v6, v67, 16, 1
	s_movk_i32 s11, 0x7fff
	v_add3_u32 v6, v67, v6, s11
	v_cmp_o_f32_e32 vcc, v67, v67
	v_mov_b32_e32 v7, 0x7fc0
	s_nop 0
	v_cndmask_b32_sdwa v8, v7, v6, vcc dst_sel:DWORD dst_unused:UNUSED_PAD src0_sel:DWORD src1_sel:WORD_1
	v_add_u32_e32 v6, v5, v3
	v_mov_b32_e32 v7, 0
	s_waitcnt lgkmcnt(0)
	v_lshl_add_u64 v[6:7], v[6:7], 1, s[12:13]
	global_store_short v[6:7], v8, off
	s_or_b64 exec, exec, s[8:9]
	s_and_saveexec_b64 s[8:9], s[6:7]
	s_cbranch_execnz .LBB162_40
	s_branch .LBB162_41
.LBB162_73:
	v_bfe_u32 v6, v62, 16, 1
	s_movk_i32 s11, 0x7fff
	v_add3_u32 v6, v62, v6, s11
	v_cmp_o_f32_e32 vcc, v62, v62
	v_mov_b32_e32 v7, 0x7fc0
	s_nop 0
	v_cndmask_b32_sdwa v8, v7, v6, vcc dst_sel:DWORD dst_unused:UNUSED_PAD src0_sel:DWORD src1_sel:WORD_1
	v_add_u32_e32 v6, v5, v0
	v_mov_b32_e32 v7, 0
	s_waitcnt lgkmcnt(0)
	v_lshl_add_u64 v[6:7], v[6:7], 1, s[12:13]
	global_store_short v[6:7], v8, off
	s_or_b64 exec, exec, s[8:9]
	s_and_saveexec_b64 s[8:9], s[2:3]
	s_cbranch_execz .LBB162_44
.LBB162_74:
	v_bfe_u32 v6, v60, 16, 1
	s_movk_i32 s11, 0x7fff
	v_add3_u32 v6, v60, v6, s11
	v_cmp_o_f32_e32 vcc, v60, v60
	v_mov_b32_e32 v7, 0x7fc0
	s_nop 0
	v_cndmask_b32_sdwa v8, v7, v6, vcc dst_sel:DWORD dst_unused:UNUSED_PAD src0_sel:DWORD src1_sel:WORD_1
	v_add_u32_e32 v6, v5, v2
	v_mov_b32_e32 v7, 0
	s_waitcnt lgkmcnt(0)
	v_lshl_add_u64 v[6:7], v[6:7], 1, s[12:13]
	global_store_short v[6:7], v8, off
	s_or_b64 exec, exec, s[8:9]
	s_and_saveexec_b64 s[8:9], s[4:5]
	s_cbranch_execz .LBB162_45
.LBB162_75:
	v_bfe_u32 v6, v58, 16, 1
	s_movk_i32 s11, 0x7fff
	v_add3_u32 v6, v58, v6, s11
	v_cmp_o_f32_e32 vcc, v58, v58
	v_mov_b32_e32 v7, 0x7fc0
	s_nop 0
	v_cndmask_b32_sdwa v8, v7, v6, vcc dst_sel:DWORD dst_unused:UNUSED_PAD src0_sel:DWORD src1_sel:WORD_1
	v_add_u32_e32 v6, v5, v3
	v_mov_b32_e32 v7, 0
	s_waitcnt lgkmcnt(0)
	v_lshl_add_u64 v[6:7], v[6:7], 1, s[12:13]
	global_store_short v[6:7], v8, off
	s_or_b64 exec, exec, s[8:9]
	s_and_saveexec_b64 s[8:9], s[6:7]
	s_cbranch_execnz .LBB162_46
	s_branch .LBB162_47
.LBB162_76:
	v_bfe_u32 v6, v63, 16, 1
	s_movk_i32 s11, 0x7fff
	v_add3_u32 v6, v63, v6, s11
	v_cmp_o_f32_e32 vcc, v63, v63
	v_mov_b32_e32 v7, 0x7fc0
	s_nop 0
	v_cndmask_b32_sdwa v8, v7, v6, vcc dst_sel:DWORD dst_unused:UNUSED_PAD src0_sel:DWORD src1_sel:WORD_1
	v_add_u32_e32 v6, v5, v0
	v_mov_b32_e32 v7, 0
	s_waitcnt lgkmcnt(0)
	v_lshl_add_u64 v[6:7], v[6:7], 1, s[12:13]
	global_store_short v[6:7], v8, off
	s_or_b64 exec, exec, s[8:9]
	s_and_saveexec_b64 s[8:9], s[2:3]
	s_cbranch_execz .LBB162_50
.LBB162_77:
	v_bfe_u32 v6, v61, 16, 1
	s_movk_i32 s11, 0x7fff
	v_add3_u32 v6, v61, v6, s11
	v_cmp_o_f32_e32 vcc, v61, v61
	v_mov_b32_e32 v7, 0x7fc0
	s_nop 0
	v_cndmask_b32_sdwa v8, v7, v6, vcc dst_sel:DWORD dst_unused:UNUSED_PAD src0_sel:DWORD src1_sel:WORD_1
	v_add_u32_e32 v6, v5, v2
	v_mov_b32_e32 v7, 0
	s_waitcnt lgkmcnt(0)
	v_lshl_add_u64 v[6:7], v[6:7], 1, s[12:13]
	global_store_short v[6:7], v8, off
	s_or_b64 exec, exec, s[8:9]
	s_and_saveexec_b64 s[8:9], s[4:5]
	s_cbranch_execz .LBB162_51
.LBB162_78:
	v_bfe_u32 v6, v59, 16, 1
	s_movk_i32 s11, 0x7fff
	v_add3_u32 v6, v59, v6, s11
	v_cmp_o_f32_e32 vcc, v59, v59
	v_mov_b32_e32 v7, 0x7fc0
	s_nop 0
	v_cndmask_b32_sdwa v8, v7, v6, vcc dst_sel:DWORD dst_unused:UNUSED_PAD src0_sel:DWORD src1_sel:WORD_1
	v_add_u32_e32 v6, v5, v3
	v_mov_b32_e32 v7, 0
	s_waitcnt lgkmcnt(0)
	v_lshl_add_u64 v[6:7], v[6:7], 1, s[12:13]
	global_store_short v[6:7], v8, off
	s_or_b64 exec, exec, s[8:9]
	s_and_saveexec_b64 s[8:9], s[6:7]
	s_cbranch_execnz .LBB162_52
	s_branch .LBB162_53
.LBB162_79:
	v_bfe_u32 v6, v54, 16, 1
	s_movk_i32 s11, 0x7fff
	v_add3_u32 v6, v54, v6, s11
	v_cmp_o_f32_e32 vcc, v54, v54
	v_mov_b32_e32 v7, 0x7fc0
	s_nop 0
	v_cndmask_b32_sdwa v8, v7, v6, vcc dst_sel:DWORD dst_unused:UNUSED_PAD src0_sel:DWORD src1_sel:WORD_1
	v_add_u32_e32 v6, v5, v0
	v_mov_b32_e32 v7, 0
	s_waitcnt lgkmcnt(0)
	v_lshl_add_u64 v[6:7], v[6:7], 1, s[12:13]
	global_store_short v[6:7], v8, off
	s_or_b64 exec, exec, s[8:9]
	s_and_saveexec_b64 s[8:9], s[2:3]
	s_cbranch_execz .LBB162_56
.LBB162_80:
	v_bfe_u32 v6, v52, 16, 1
	s_movk_i32 s11, 0x7fff
	v_add3_u32 v6, v52, v6, s11
	v_cmp_o_f32_e32 vcc, v52, v52
	v_mov_b32_e32 v7, 0x7fc0
	s_nop 0
	v_cndmask_b32_sdwa v8, v7, v6, vcc dst_sel:DWORD dst_unused:UNUSED_PAD src0_sel:DWORD src1_sel:WORD_1
	v_add_u32_e32 v6, v5, v2
	v_mov_b32_e32 v7, 0
	s_waitcnt lgkmcnt(0)
	v_lshl_add_u64 v[6:7], v[6:7], 1, s[12:13]
	global_store_short v[6:7], v8, off
	s_or_b64 exec, exec, s[8:9]
	s_and_saveexec_b64 s[8:9], s[4:5]
	s_cbranch_execz .LBB162_57
.LBB162_81:
	v_bfe_u32 v6, v50, 16, 1
	s_movk_i32 s11, 0x7fff
	v_add3_u32 v6, v50, v6, s11
	v_cmp_o_f32_e32 vcc, v50, v50
	v_mov_b32_e32 v7, 0x7fc0
	s_nop 0
	v_cndmask_b32_sdwa v8, v7, v6, vcc dst_sel:DWORD dst_unused:UNUSED_PAD src0_sel:DWORD src1_sel:WORD_1
	v_add_u32_e32 v6, v5, v3
	v_mov_b32_e32 v7, 0
	s_waitcnt lgkmcnt(0)
	v_lshl_add_u64 v[6:7], v[6:7], 1, s[12:13]
	global_store_short v[6:7], v8, off
	s_or_b64 exec, exec, s[8:9]
	s_and_saveexec_b64 s[8:9], s[6:7]
	s_cbranch_execnz .LBB162_58
	s_branch .LBB162_59
.LBB162_82:
	v_bfe_u32 v5, v55, 16, 1
	s_movk_i32 s0, 0x7fff
	v_add3_u32 v5, v55, v5, s0
	v_cmp_o_f32_e32 vcc, v55, v55
	v_mov_b32_e32 v6, 0x7fc0
	v_mov_b32_e32 v7, 0
	v_cndmask_b32_sdwa v5, v6, v5, vcc dst_sel:DWORD dst_unused:UNUSED_PAD src0_sel:DWORD src1_sel:WORD_1
	v_add_u32_e32 v6, v1, v0
	s_waitcnt lgkmcnt(0)
	v_lshl_add_u64 v[6:7], v[6:7], 1, s[12:13]
	global_store_short v[6:7], v5, off
	s_or_b64 exec, exec, s[8:9]
	s_and_saveexec_b64 s[0:1], s[2:3]
	s_cbranch_execz .LBB162_62
.LBB162_83:
	v_bfe_u32 v0, v53, 16, 1
	s_movk_i32 s2, 0x7fff
	v_add3_u32 v0, v53, v0, s2
	v_cmp_o_f32_e32 vcc, v53, v53
	v_mov_b32_e32 v5, 0x7fc0
	v_add_u32_e32 v6, v1, v2
	v_mov_b32_e32 v7, 0
	v_cndmask_b32_sdwa v0, v5, v0, vcc dst_sel:DWORD dst_unused:UNUSED_PAD src0_sel:DWORD src1_sel:WORD_1
	s_waitcnt lgkmcnt(0)
	v_lshl_add_u64 v[6:7], v[6:7], 1, s[12:13]
	global_store_short v[6:7], v0, off
	s_or_b64 exec, exec, s[0:1]
	s_and_saveexec_b64 s[0:1], s[4:5]
	s_cbranch_execz .LBB162_63
.LBB162_84:
	v_bfe_u32 v0, v51, 16, 1
	s_movk_i32 s2, 0x7fff
	v_add3_u32 v0, v51, v0, s2
	v_cmp_o_f32_e32 vcc, v51, v51
	v_mov_b32_e32 v2, 0x7fc0
	s_nop 0
	v_cndmask_b32_sdwa v0, v2, v0, vcc dst_sel:DWORD dst_unused:UNUSED_PAD src0_sel:DWORD src1_sel:WORD_1
	v_add_u32_e32 v2, v1, v3
	v_mov_b32_e32 v3, 0
	s_waitcnt lgkmcnt(0)
	v_lshl_add_u64 v[2:3], v[2:3], 1, s[12:13]
	global_store_short v[2:3], v0, off
	s_or_b64 exec, exec, s[0:1]
	s_and_b64 exec, exec, s[6:7]
	s_cbranch_execz .LBB162_3
.LBB162_85:
	v_bfe_u32 v0, v49, 16, 1
	s_movk_i32 s0, 0x7fff
	v_add3_u32 v0, v49, v0, s0
	v_cmp_o_f32_e32 vcc, v49, v49
	v_mov_b32_e32 v2, 0x7fc0
	s_nop 0
	v_cndmask_b32_sdwa v2, v2, v0, vcc dst_sel:DWORD dst_unused:UNUSED_PAD src0_sel:DWORD src1_sel:WORD_1
	v_add_u32_e32 v0, v1, v4
	v_mov_b32_e32 v1, 0
	s_waitcnt lgkmcnt(0)
	v_lshl_add_u64 v[0:1], v[0:1], 1, s[12:13]
	global_store_short v[0:1], v2, off
	s_endpgm
	.section	.rodata,"a",@progbits
	.p2align	6, 0x0
	.amdhsa_kernel _ZL12mul_mat_q5_0IN3c108BFloat16ELb1EEvPKvS3_PT_iiiii
		.amdhsa_group_segment_fixed_size 46720
		.amdhsa_private_segment_fixed_size 0
		.amdhsa_kernarg_size 44
		.amdhsa_user_sgpr_count 2
		.amdhsa_user_sgpr_dispatch_ptr 0
		.amdhsa_user_sgpr_queue_ptr 0
		.amdhsa_user_sgpr_kernarg_segment_ptr 1
		.amdhsa_user_sgpr_dispatch_id 0
		.amdhsa_user_sgpr_kernarg_preload_length 0
		.amdhsa_user_sgpr_kernarg_preload_offset 0
		.amdhsa_user_sgpr_private_segment_size 0
		.amdhsa_uses_dynamic_stack 0
		.amdhsa_enable_private_segment 0
		.amdhsa_system_sgpr_workgroup_id_x 1
		.amdhsa_system_sgpr_workgroup_id_y 1
		.amdhsa_system_sgpr_workgroup_id_z 0
		.amdhsa_system_sgpr_workgroup_info 0
		.amdhsa_system_vgpr_workitem_id 1
		.amdhsa_next_free_vgpr 247
		.amdhsa_next_free_sgpr 96
		.amdhsa_accum_offset 248
		.amdhsa_reserve_vcc 1
		.amdhsa_float_round_mode_32 0
		.amdhsa_float_round_mode_16_64 0
		.amdhsa_float_denorm_mode_32 3
		.amdhsa_float_denorm_mode_16_64 3
		.amdhsa_dx10_clamp 1
		.amdhsa_ieee_mode 1
		.amdhsa_fp16_overflow 0
		.amdhsa_tg_split 0
		.amdhsa_exception_fp_ieee_invalid_op 0
		.amdhsa_exception_fp_denorm_src 0
		.amdhsa_exception_fp_ieee_div_zero 0
		.amdhsa_exception_fp_ieee_overflow 0
		.amdhsa_exception_fp_ieee_underflow 0
		.amdhsa_exception_fp_ieee_inexact 0
		.amdhsa_exception_int_div_zero 0
	.end_amdhsa_kernel
	.section	.text._ZL12mul_mat_q5_0IN3c108BFloat16ELb1EEvPKvS3_PT_iiiii,"axG",@progbits,_ZL12mul_mat_q5_0IN3c108BFloat16ELb1EEvPKvS3_PT_iiiii,comdat
.Lfunc_end162:
	.size	_ZL12mul_mat_q5_0IN3c108BFloat16ELb1EEvPKvS3_PT_iiiii, .Lfunc_end162-_ZL12mul_mat_q5_0IN3c108BFloat16ELb1EEvPKvS3_PT_iiiii
                                        ; -- End function
	.set _ZL12mul_mat_q5_0IN3c108BFloat16ELb1EEvPKvS3_PT_iiiii.num_vgpr, 247
	.set _ZL12mul_mat_q5_0IN3c108BFloat16ELb1EEvPKvS3_PT_iiiii.num_agpr, 0
	.set _ZL12mul_mat_q5_0IN3c108BFloat16ELb1EEvPKvS3_PT_iiiii.numbered_sgpr, 20
	.set _ZL12mul_mat_q5_0IN3c108BFloat16ELb1EEvPKvS3_PT_iiiii.num_named_barrier, 0
	.set _ZL12mul_mat_q5_0IN3c108BFloat16ELb1EEvPKvS3_PT_iiiii.private_seg_size, 0
	.set _ZL12mul_mat_q5_0IN3c108BFloat16ELb1EEvPKvS3_PT_iiiii.uses_vcc, 1
	.set _ZL12mul_mat_q5_0IN3c108BFloat16ELb1EEvPKvS3_PT_iiiii.uses_flat_scratch, 0
	.set _ZL12mul_mat_q5_0IN3c108BFloat16ELb1EEvPKvS3_PT_iiiii.has_dyn_sized_stack, 0
	.set _ZL12mul_mat_q5_0IN3c108BFloat16ELb1EEvPKvS3_PT_iiiii.has_recursion, 0
	.set _ZL12mul_mat_q5_0IN3c108BFloat16ELb1EEvPKvS3_PT_iiiii.has_indirect_call, 0
	.section	.AMDGPU.csdata,"",@progbits
; Kernel info:
; codeLenInByte = 15516
; TotalNumSgprs: 26
; NumVgprs: 247
; NumAgprs: 0
; TotalNumVgprs: 247
; ScratchSize: 0
; MemoryBound: 0
; FloatMode: 240
; IeeeMode: 1
; LDSByteSize: 46720 bytes/workgroup (compile time only)
; SGPRBlocks: 12
; VGPRBlocks: 30
; NumSGPRsForWavesPerEU: 102
; NumVGPRsForWavesPerEU: 247
; AccumOffset: 248
; Occupancy: 2
; WaveLimiterHint : 0
; COMPUTE_PGM_RSRC2:SCRATCH_EN: 0
; COMPUTE_PGM_RSRC2:USER_SGPR: 2
; COMPUTE_PGM_RSRC2:TRAP_HANDLER: 0
; COMPUTE_PGM_RSRC2:TGID_X_EN: 1
; COMPUTE_PGM_RSRC2:TGID_Y_EN: 1
; COMPUTE_PGM_RSRC2:TGID_Z_EN: 0
; COMPUTE_PGM_RSRC2:TIDIG_COMP_CNT: 1
; COMPUTE_PGM_RSRC3_GFX90A:ACCUM_OFFSET: 61
; COMPUTE_PGM_RSRC3_GFX90A:TG_SPLIT: 0
	.section	.text._ZL12mul_mat_q5_1IN3c108BFloat16ELb0EEvPKvS3_PT_iiiii,"axG",@progbits,_ZL12mul_mat_q5_1IN3c108BFloat16ELb0EEvPKvS3_PT_iiiii,comdat
	.globl	_ZL12mul_mat_q5_1IN3c108BFloat16ELb0EEvPKvS3_PT_iiiii ; -- Begin function _ZL12mul_mat_q5_1IN3c108BFloat16ELb0EEvPKvS3_PT_iiiii
	.p2align	8
	.type	_ZL12mul_mat_q5_1IN3c108BFloat16ELb0EEvPKvS3_PT_iiiii,@function
_ZL12mul_mat_q5_1IN3c108BFloat16ELb0EEvPKvS3_PT_iiiii: ; @_ZL12mul_mat_q5_1IN3c108BFloat16ELb0EEvPKvS3_PT_iiiii
; %bb.0:
	s_load_dword s6, s[0:1], 0x18
	s_load_dwordx4 s[8:11], s[0:1], 0x20
	s_waitcnt lgkmcnt(0)
	s_lshl_b32 s11, s3, 6
	v_bfe_u32 v85, v0, 10, 10
	s_cmp_gt_i32 s6, 31
	s_cbranch_scc1 .LBB163_4
; %bb.1:
	v_bfe_u32 v1, v0, 10, 10
	v_and_b32_e32 v81, 0x3ff, v0
	v_add_u32_e32 v89, s11, v1
	s_load_dwordx2 s[12:13], s[0:1], 0x10
	s_lshl_b32 s4, s2, 7
	s_cbranch_execz .LBB163_5
; %bb.2:
	v_mov_b32_e32 v52, 0
	v_mov_b32_e32 v53, v52
	v_mov_b64_e32 v[60:61], v[52:53]
	v_mov_b64_e32 v[68:69], v[52:53]
	;; [unrolled: 1-line block ×15, first 2 shown]
	v_cmp_gt_u32_e32 vcc, s8, v89
	s_and_saveexec_b64 s[0:1], vcc
	s_cbranch_execnz .LBB163_15
.LBB163_3:
	s_endpgm
.LBB163_4:
                                        ; implicit-def: $vgpr1
                                        ; implicit-def: $vgpr81
                                        ; implicit-def: $vgpr89
	s_load_dwordx2 s[12:13], s[0:1], 0x10
	s_lshl_b32 s4, s2, 7
.LBB163_5:
	s_ashr_i32 s5, s6, 31
	s_lshr_b32 s5, s5, 27
	s_load_dwordx4 s[0:3], s[0:1], 0x0
	s_add_i32 s14, s6, s5
	s_ashr_i32 s6, s9, 31
	s_lshr_b32 s6, s6, 27
	s_ashr_i32 s5, s14, 5
	s_add_i32 s6, s9, s6
	s_ashr_i32 s15, s6, 5
	s_mul_i32 s6, s5, s4
	s_mul_hi_i32 s7, s6, 24
	s_mul_i32 s6, s6, 24
	s_waitcnt lgkmcnt(0)
	s_add_u32 s6, s0, s6
	s_addc_u32 s7, s1, s7
	v_mul_lo_u32 v84, s5, v85
	s_lshl_b32 s0, s5, 3
	v_add_u32_e32 v88, s0, v84
	v_add_u32_e32 v90, s0, v88
	;; [unrolled: 1-line block ×11, first 2 shown]
	v_and_b32_e32 v81, 0x3ff, v0
	v_add_u32_e32 v112, s0, v110
	v_lshlrev_b32_e32 v1, 3, v81
	s_movk_i32 s16, 0x104
	v_add_u32_e32 v114, s0, v112
	v_bfe_u32 v125, v0, 3, 7
	v_mad_u32_u24 v91, v85, s16, v1
	v_add_u32_e32 v116, s0, v114
	v_and_b32_e32 v120, 7, v0
	v_lshl_add_u32 v1, v85, 2, v125
	v_add_u32_e32 v118, s0, v116
	v_and_b32_e32 v3, 0x7fc, v1
	v_lshlrev_b32_e32 v4, 2, v120
	s_mov_b32 s0, 0xa200
	v_add3_u32 v8, v3, v4, s0
	v_add_u32_e32 v3, 32, v1
	v_mul_lo_u32 v122, s5, v1
	v_lshlrev_b32_e32 v9, 5, v1
	v_and_b32_e32 v5, 0xffc, v3
	v_lshlrev_b32_e32 v11, 5, v3
	v_add_u32_e32 v3, 64, v1
	v_add_u32_e32 v1, 0x60, v1
	v_add3_u32 v10, v5, v4, s0
	v_and_b32_e32 v5, 0xffc, v3
	v_lshlrev_b32_e32 v13, 5, v3
	v_and_b32_e32 v3, 0xffc, v1
	v_bfe_u32 v80, v0, 2, 8
	v_add3_u32 v14, v3, v4, s0
	v_and_b32_e32 v3, 31, v0
	v_mov_b32_e32 v15, 0x8200
	v_lshl_or_b32 v15, v3, 2, v15
	v_lshl_add_u32 v3, v85, 3, v80
	v_and_b32_e32 v3, 63, v3
	v_and_b32_e32 v2, 3, v0
	v_add3_u32 v12, v5, v4, s0
	s_add_i32 s0, s8, -1
	v_or_b32_e32 v16, s11, v3
	v_lshlrev_b32_e32 v82, 2, v2
	v_min_i32_e32 v16, s0, v16
	v_add_u32_e32 v89, s11, v85
	v_cvt_f64_i32_e32 v[4:5], s0
	v_mad_u64_u32 v[130:131], s[0:1], v16, s15, v[2:3]
	v_lshl_or_b32 v2, v3, 4, v82
	v_add_u32_e32 v127, 0xb280, v2
	v_cvt_f64_u32_e32 v[2:3], v89
	v_min_f64 v[2:3], v[2:3], v[4:5]
	v_cvt_i32_f64_e32 v2, v[2:3]
	v_mul_lo_u32 v129, s15, v2
	v_add_u32_e32 v2, 8, v89
	v_cvt_f64_u32_e32 v[2:3], v2
	v_min_f64 v[2:3], v[2:3], v[4:5]
	v_cvt_i32_f64_e32 v2, v[2:3]
	v_mul_lo_u32 v131, s15, v2
	;; [unrolled: 5-line block ×7, first 2 shown]
	v_add_u32_e32 v2, 56, v89
	v_mov_b32_e32 v83, 0
	v_lshlrev_b32_e32 v6, 2, v81
	v_cvt_f64_u32_e32 v[2:3], v2
	v_and_b32_e32 v6, 28, v6
	v_mov_b32_e32 v7, v83
	v_min_f64 v[2:3], v[2:3], v[4:5]
	s_andn2_b32 s14, s14, 31
	v_cvt_i32_f64_e32 v2, v[2:3]
	v_add_u32_e32 v3, 32, v81
	v_add_u32_e32 v4, 64, v81
	;; [unrolled: 1-line block ×3, first 2 shown]
	v_lshl_add_u64 v[132:133], s[2:3], 0, v[6:7]
	v_lshlrev_b32_e32 v6, 5, v81
	v_and_b32_e32 v0, 0xfc, v0
	v_add_u32_e32 v124, s14, v122
	v_lshlrev_b32_e32 v16, 7, v85
	v_lshrrev_b32_e32 v179, 3, v3
	v_and_b32_e32 v5, 0x1fc, v5
	v_and_b32_e32 v4, 0x1fc, v4
	;; [unrolled: 1-line block ×3, first 2 shown]
	v_add_u32_e32 v0, v6, v0
	v_add_u32_e32 v126, s14, v124
	v_lshlrev_b32_e32 v1, 5, v1
	v_add_u32_e32 v17, 0x400, v16
	v_add_u32_e32 v18, 0x800, v16
	;; [unrolled: 1-line block ×6, first 2 shown]
	v_mul_lo_u32 v177, s15, v2
	v_add_u32_e32 v2, 0x1c00, v16
	v_add_u32_e32 v5, v6, v5
	;; [unrolled: 1-line block ×5, first 2 shown]
	v_mov_b32_e32 v6, 0xb280
	v_add_u32_e32 v189, 0xa210, v0
	v_mov_b32_e32 v0, 0x80
	v_mov_b32_e32 v92, v83
	;; [unrolled: 1-line block ×3, first 2 shown]
	v_add_u32_e32 v95, 0x820, v91
	v_add_u32_e32 v97, 0x1040, v91
	;; [unrolled: 1-line block ×16, first 2 shown]
	s_add_i32 s9, s5, 3
	v_mul_u32_u24_e32 v178, 0x104, v81
	v_add_u32_e32 v180, 0xae00, v5
	v_add_u32_e32 v181, 0xaa00, v4
	;; [unrolled: 1-line block ×3, first 2 shown]
	v_lshl_add_u32 v184, v85, 4, v6
	v_add_u32_e32 v185, 0x8200, v16
	v_add_u32_e32 v186, 0xae10, v5
	v_add_u32_e32 v187, 0xaa10, v4
	v_add_u32_e32 v188, 0xa610, v3
	v_mad_u32_u24 v190, v81, s16, v0
	s_mov_b32 s14, 0
	v_add_u32_e32 v191, v8, v9
	v_add_u32_e32 v192, v10, v11
	;; [unrolled: 1-line block ×12, first 2 shown]
	v_mov_b64_e32 v[74:75], v[92:93]
	v_mov_b64_e32 v[66:67], v[92:93]
	;; [unrolled: 1-line block ×15, first 2 shown]
	s_branch .LBB163_7
.LBB163_6:                              ;   in Loop: Header=BB163_7 Depth=1
	s_add_i32 s14, s14, 8
	s_add_i32 s9, s9, -8
	s_cmp_ge_i32 s14, s5
	s_cbranch_scc1 .LBB163_14
.LBB163_7:                              ; =>This Loop Header: Depth=1
                                        ;     Child Loop BB163_9 Depth 2
                                        ;     Child Loop BB163_12 Depth 2
	s_mul_i32 s0, s14, 24
	s_mul_hi_u32 s1, s14, 24
	s_add_u32 s0, s6, s0
	s_addc_u32 s1, s7, s1
	v_mad_u64_u32 v[0:1], s[16:17], v80, 24, s[0:1]
	v_mad_u64_u32 v[2:3], s[16:17], v84, 24, v[0:1]
	;; [unrolled: 1-line block ×3, first 2 shown]
	v_lshl_add_u64 v[4:5], v[2:3], 0, v[82:83]
	v_mad_u64_u32 v[6:7], s[16:17], v88, 24, v[0:1]
	v_mad_u64_u32 v[8:9], s[16:17], v90, 24, v[0:1]
	global_load_dword v18, v[10:11], off offset:4
	global_load_dword v19, v[8:9], off offset:4
	;; [unrolled: 1-line block ×5, first 2 shown]
	v_lshl_add_u64 v[2:3], v[6:7], 0, v[82:83]
	global_load_dword v23, v[2:3], off offset:8
	v_lshl_add_u64 v[2:3], v[8:9], 0, v[82:83]
	v_lshl_add_u64 v[4:5], v[10:11], 0, v[82:83]
	global_load_dword v24, v[2:3], off offset:8
	global_load_dword v25, v[4:5], off offset:8
	v_mad_u64_u32 v[2:3], s[16:17], v96, 24, v[0:1]
	v_mad_u64_u32 v[4:5], s[16:17], v98, 24, v[0:1]
	;; [unrolled: 1-line block ×4, first 2 shown]
	v_lshl_add_u64 v[10:11], v[2:3], 0, v[82:83]
	v_lshl_add_u64 v[12:13], v[4:5], 0, v[82:83]
	v_lshl_add_u64 v[14:15], v[6:7], 0, v[82:83]
	v_lshl_add_u64 v[16:17], v[8:9], 0, v[82:83]
	global_load_dword v10, v[10:11], off offset:8
	s_nop 0
	global_load_dword v11, v[12:13], off offset:8
	global_load_dword v26, v[14:15], off offset:8
	;; [unrolled: 1-line block ×5, first 2 shown]
	s_nop 0
	global_load_dword v4, v[4:5], off offset:4
	s_nop 0
	global_load_dword v2, v[2:3], off offset:4
	s_cmp_gt_u32 s9, 3
	s_waitcnt vmcnt(13)
	v_ashrrev_i32_e32 v7, v82, v20
	s_waitcnt vmcnt(12)
	v_ashrrev_i32_e32 v3, v82, v21
	s_waitcnt vmcnt(11)
	v_lshrrev_b32_e32 v5, 4, v22
	v_lshlrev_b32_e32 v12, 4, v3
	v_lshrrev_b32_e32 v14, 12, v3
	v_and_b32_e32 v6, 0xf0f0f0f, v22
	v_lshlrev_b32_e32 v13, 11, v3
	v_lshrrev_b32_e32 v15, 5, v3
	v_and_b32_e32 v5, 0xf0f0f0f, v5
	v_and_b32_e32 v14, 16, v14
	;; [unrolled: 1-line block ×3, first 2 shown]
	v_lshlrev_b32_e32 v16, 2, v3
	v_lshlrev_b32_e32 v17, 18, v3
	v_and_b32_e32 v15, 0x1000, v15
	v_and_b32_e32 v13, 0x1000, v13
	v_or_b32_e32 v5, v14, v5
	v_or_b32_e32 v6, v12, v6
	s_waitcnt vmcnt(10)
	v_lshrrev_b32_e32 v8, 4, v23
	v_and_b32_e32 v9, 0xf0f0f0f, v23
	v_lshlrev_b32_e32 v20, 9, v3
	v_lshlrev_b32_e32 v3, 25, v3
	;; [unrolled: 1-line block ×3, first 2 shown]
	v_lshrrev_b32_e32 v23, 12, v7
	v_and_b32_e32 v16, 0x100000, v16
	v_and_b32_e32 v17, 0x100000, v17
	v_or_b32_e32 v5, v5, v15
	v_or_b32_e32 v6, v6, v13
	v_lshlrev_b32_e32 v22, 11, v7
	v_lshrrev_b32_e32 v30, 5, v7
	v_and_b32_e32 v8, 0xf0f0f0f, v8
	v_and_b32_e32 v20, 0x10000000, v20
	;; [unrolled: 1-line block ×5, first 2 shown]
	v_or_b32_e32 v5, v5, v16
	v_or_b32_e32 v6, v6, v17
	v_lshlrev_b32_e32 v31, 2, v7
	v_lshlrev_b32_e32 v32, 18, v7
	v_and_b32_e32 v30, 0x1000, v30
	v_and_b32_e32 v22, 0x1000, v22
	v_or_b32_e32 v8, v23, v8
	v_or_b32_e32 v9, v21, v9
	;; [unrolled: 1-line block ×4, first 2 shown]
	v_and_b32_e32 v31, 0x100000, v31
	v_or_b32_e32 v8, v8, v30
	v_or_b32_e32 v9, v9, v22
	ds_write2_b32 v91, v3, v5 offset1:1
	v_and_b32_e32 v3, 0x100000, v32
	v_lshlrev_b32_e32 v6, 9, v7
	v_lshlrev_b32_e32 v7, 25, v7
	v_or_b32_e32 v5, v8, v31
	v_or_b32_e32 v3, v9, v3
	v_and_b32_e32 v6, 0x10000000, v6
	v_and_b32_e32 v7, 0x10000000, v7
	v_or_b32_e32 v5, v5, v6
	v_or_b32_e32 v3, v3, v7
	ds_write2_b32 v95, v3, v5 offset1:1
	v_ashrrev_i32_e32 v3, v82, v19
	v_lshlrev_b32_e32 v5, 4, v3
	v_lshlrev_b32_e32 v6, 11, v3
	s_waitcnt vmcnt(9)
	v_lshrrev_b32_e32 v7, 4, v24
	v_lshrrev_b32_e32 v8, 12, v3
	v_and_b32_e32 v12, 0xf0f0f0f, v24
	v_and_b32_e32 v5, 16, v5
	v_lshrrev_b32_e32 v9, 5, v3
	v_and_b32_e32 v7, 0xf0f0f0f, v7
	v_and_b32_e32 v8, 16, v8
	v_or_b32_e32 v5, v5, v12
	v_and_b32_e32 v6, 0x1000, v6
	v_or_b32_e32 v7, v8, v7
	;; [unrolled: 2-line block ×3, first 2 shown]
	v_lshlrev_b32_e32 v6, 2, v3
	v_or_b32_e32 v7, v7, v8
	v_lshlrev_b32_e32 v8, 18, v3
	v_and_b32_e32 v6, 0x100000, v6
	v_and_b32_e32 v8, 0x100000, v8
	v_or_b32_e32 v6, v7, v6
	v_lshlrev_b32_e32 v7, 9, v3
	v_lshlrev_b32_e32 v3, 25, v3
	v_or_b32_e32 v5, v5, v8
	v_and_b32_e32 v7, 0x10000000, v7
	v_and_b32_e32 v3, 0x10000000, v3
	v_or_b32_e32 v6, v6, v7
	v_or_b32_e32 v3, v5, v3
	ds_write2_b32 v97, v3, v6 offset1:1
	v_ashrrev_i32_e32 v3, v82, v18
	v_lshlrev_b32_e32 v5, 4, v3
	v_lshlrev_b32_e32 v6, 11, v3
	s_waitcnt vmcnt(8)
	v_lshrrev_b32_e32 v7, 4, v25
	v_lshrrev_b32_e32 v8, 12, v3
	v_and_b32_e32 v12, 0xf0f0f0f, v25
	v_and_b32_e32 v5, 16, v5
	v_lshrrev_b32_e32 v9, 5, v3
	v_and_b32_e32 v7, 0xf0f0f0f, v7
	v_and_b32_e32 v8, 16, v8
	v_or_b32_e32 v5, v5, v12
	v_and_b32_e32 v6, 0x1000, v6
	v_or_b32_e32 v7, v8, v7
	;; [unrolled: 2-line block ×3, first 2 shown]
	v_lshlrev_b32_e32 v6, 2, v3
	v_or_b32_e32 v7, v7, v8
	v_lshlrev_b32_e32 v8, 18, v3
	v_and_b32_e32 v6, 0x100000, v6
	v_and_b32_e32 v8, 0x100000, v8
	v_or_b32_e32 v6, v7, v6
	v_lshlrev_b32_e32 v7, 9, v3
	v_lshlrev_b32_e32 v3, 25, v3
	v_or_b32_e32 v5, v5, v8
	v_and_b32_e32 v7, 0x10000000, v7
	v_and_b32_e32 v3, 0x10000000, v3
	v_or_b32_e32 v6, v6, v7
	v_or_b32_e32 v3, v5, v3
	s_waitcnt vmcnt(0)
	v_ashrrev_i32_e32 v2, v82, v2
	ds_write2_b32 v99, v3, v6 offset1:1
	v_lshlrev_b32_e32 v3, 4, v2
	v_lshlrev_b32_e32 v5, 11, v2
	v_lshrrev_b32_e32 v6, 4, v10
	v_lshrrev_b32_e32 v7, 12, v2
	v_and_b32_e32 v9, 0xf0f0f0f, v10
	v_and_b32_e32 v3, 16, v3
	v_lshrrev_b32_e32 v8, 5, v2
	v_and_b32_e32 v6, 0xf0f0f0f, v6
	v_and_b32_e32 v7, 16, v7
	v_or_b32_e32 v3, v3, v9
	v_and_b32_e32 v5, 0x1000, v5
	v_or_b32_e32 v6, v7, v6
	;; [unrolled: 2-line block ×3, first 2 shown]
	v_lshlrev_b32_e32 v5, 2, v2
	v_or_b32_e32 v6, v6, v7
	v_lshlrev_b32_e32 v7, 18, v2
	v_and_b32_e32 v5, 0x100000, v5
	v_and_b32_e32 v7, 0x100000, v7
	v_or_b32_e32 v5, v6, v5
	v_lshlrev_b32_e32 v6, 9, v2
	v_lshlrev_b32_e32 v2, 25, v2
	v_or_b32_e32 v3, v3, v7
	v_and_b32_e32 v6, 0x10000000, v6
	v_and_b32_e32 v2, 0x10000000, v2
	v_or_b32_e32 v5, v5, v6
	v_or_b32_e32 v2, v3, v2
	ds_write2_b32 v101, v2, v5 offset1:1
	v_lshrrev_b32_e32 v2, 4, v11
	v_and_b32_e32 v23, 0xf0f0f0f, v2
	v_mad_u64_u32 v[2:3], s[16:17], v104, 24, v[0:1]
	v_mad_u64_u32 v[14:15], s[16:17], v110, 24, v[0:1]
	v_ashrrev_i32_e32 v18, v82, v4
	v_and_b32_e32 v24, 0xf0f0f0f, v11
	v_lshl_add_u64 v[4:5], v[2:3], 0, v[82:83]
	v_mad_u64_u32 v[6:7], s[16:17], v106, 24, v[0:1]
	v_mad_u64_u32 v[10:11], s[16:17], v108, 24, v[0:1]
	v_lshl_add_u64 v[16:17], v[14:15], 0, v[82:83]
	v_lshl_add_u64 v[8:9], v[6:7], 0, v[82:83]
	;; [unrolled: 1-line block ×3, first 2 shown]
	global_load_dword v4, v[4:5], off offset:8
	s_nop 0
	global_load_dword v5, v[8:9], off offset:8
	global_load_dword v25, v[12:13], off offset:8
	s_nop 0
	global_load_dword v16, v[16:17], off offset:8
	s_nop 0
	global_load_dword v17, v[14:15], off offset:4
	global_load_dword v30, v[10:11], off offset:4
	s_nop 0
	global_load_dword v6, v[6:7], off offset:4
	s_nop 0
	global_load_dword v2, v[2:3], off offset:4
	v_lshlrev_b32_e32 v19, 4, v18
	v_lshrrev_b32_e32 v21, 12, v18
	v_lshlrev_b32_e32 v20, 11, v18
	v_lshrrev_b32_e32 v22, 5, v18
	v_and_b32_e32 v3, 16, v21
	v_and_b32_e32 v7, 16, v19
	v_or_b32_e32 v3, v3, v23
	v_or_b32_e32 v7, v7, v24
	v_and_b32_e32 v8, 0x1000, v22
	v_and_b32_e32 v9, 0x1000, v20
	v_or_b32_e32 v3, v3, v8
	v_or_b32_e32 v7, v7, v9
	v_lshlrev_b32_e32 v8, 2, v18
	v_lshlrev_b32_e32 v9, 18, v18
	v_and_b32_e32 v8, 0x100000, v8
	v_and_b32_e32 v9, 0x100000, v9
	v_or_b32_e32 v3, v3, v8
	v_or_b32_e32 v7, v7, v9
	v_lshlrev_b32_e32 v8, 9, v18
	v_lshlrev_b32_e32 v9, 25, v18
	v_and_b32_e32 v8, 0x10000000, v8
	v_and_b32_e32 v9, 0x10000000, v9
	v_or_b32_e32 v3, v3, v8
	v_or_b32_e32 v7, v7, v9
	ds_write2_b32 v103, v7, v3 offset1:1
	v_ashrrev_i32_e32 v3, v82, v29
	v_lshlrev_b32_e32 v7, 4, v3
	v_lshlrev_b32_e32 v8, 11, v3
	v_lshrrev_b32_e32 v9, 4, v26
	v_lshrrev_b32_e32 v10, 12, v3
	v_and_b32_e32 v12, 0xf0f0f0f, v26
	v_and_b32_e32 v7, 16, v7
	v_lshrrev_b32_e32 v11, 5, v3
	v_and_b32_e32 v9, 0xf0f0f0f, v9
	v_and_b32_e32 v10, 16, v10
	v_or_b32_e32 v7, v7, v12
	v_and_b32_e32 v8, 0x1000, v8
	v_or_b32_e32 v9, v10, v9
	;; [unrolled: 2-line block ×3, first 2 shown]
	v_lshlrev_b32_e32 v8, 2, v3
	v_or_b32_e32 v9, v9, v10
	v_lshlrev_b32_e32 v10, 18, v3
	v_and_b32_e32 v8, 0x100000, v8
	v_and_b32_e32 v10, 0x100000, v10
	v_or_b32_e32 v8, v9, v8
	v_lshlrev_b32_e32 v9, 9, v3
	v_lshlrev_b32_e32 v3, 25, v3
	v_or_b32_e32 v7, v7, v10
	v_and_b32_e32 v9, 0x10000000, v9
	v_and_b32_e32 v3, 0x10000000, v3
	v_or_b32_e32 v8, v8, v9
	v_or_b32_e32 v3, v7, v3
	ds_write2_b32 v105, v3, v8 offset1:1
	v_ashrrev_i32_e32 v3, v82, v28
	v_lshlrev_b32_e32 v7, 4, v3
	v_lshlrev_b32_e32 v8, 11, v3
	v_lshrrev_b32_e32 v9, 4, v27
	v_lshrrev_b32_e32 v10, 12, v3
	v_and_b32_e32 v12, 0xf0f0f0f, v27
	v_and_b32_e32 v7, 16, v7
	v_lshrrev_b32_e32 v11, 5, v3
	v_and_b32_e32 v9, 0xf0f0f0f, v9
	v_and_b32_e32 v10, 16, v10
	v_or_b32_e32 v7, v7, v12
	v_and_b32_e32 v8, 0x1000, v8
	v_or_b32_e32 v9, v10, v9
	;; [unrolled: 2-line block ×3, first 2 shown]
	v_lshlrev_b32_e32 v8, 2, v3
	v_or_b32_e32 v9, v9, v10
	v_lshlrev_b32_e32 v10, 18, v3
	v_and_b32_e32 v8, 0x100000, v8
	v_and_b32_e32 v10, 0x100000, v10
	v_or_b32_e32 v8, v9, v8
	v_lshlrev_b32_e32 v9, 9, v3
	v_lshlrev_b32_e32 v3, 25, v3
	v_or_b32_e32 v7, v7, v10
	v_and_b32_e32 v9, 0x10000000, v9
	v_and_b32_e32 v3, 0x10000000, v3
	v_or_b32_e32 v8, v8, v9
	v_or_b32_e32 v3, v7, v3
	s_waitcnt vmcnt(0)
	v_ashrrev_i32_e32 v2, v82, v2
	ds_write2_b32 v107, v3, v8 offset1:1
	v_lshlrev_b32_e32 v3, 4, v2
	v_lshlrev_b32_e32 v7, 11, v2
	v_lshrrev_b32_e32 v8, 4, v4
	v_lshrrev_b32_e32 v9, 12, v2
	v_and_b32_e32 v4, 0xf0f0f0f, v4
	v_and_b32_e32 v3, 16, v3
	v_lshrrev_b32_e32 v10, 5, v2
	v_and_b32_e32 v8, 0xf0f0f0f, v8
	v_and_b32_e32 v9, 16, v9
	v_or_b32_e32 v3, v3, v4
	v_and_b32_e32 v7, 0x1000, v7
	v_or_b32_e32 v8, v9, v8
	v_and_b32_e32 v4, 0x1000, v10
	v_or_b32_e32 v3, v3, v7
	v_lshlrev_b32_e32 v7, 2, v2
	v_or_b32_e32 v4, v8, v4
	v_lshlrev_b32_e32 v8, 18, v2
	v_and_b32_e32 v7, 0x100000, v7
	v_and_b32_e32 v8, 0x100000, v8
	v_or_b32_e32 v4, v4, v7
	v_lshlrev_b32_e32 v7, 9, v2
	v_lshlrev_b32_e32 v2, 25, v2
	v_or_b32_e32 v3, v3, v8
	v_and_b32_e32 v7, 0x10000000, v7
	v_and_b32_e32 v2, 0x10000000, v2
	v_or_b32_e32 v4, v4, v7
	v_or_b32_e32 v2, v3, v2
	ds_write2_b32 v109, v2, v4 offset1:1
	v_lshrrev_b32_e32 v2, 4, v5
	v_ashrrev_i32_e32 v18, v82, v6
	v_and_b32_e32 v23, 0xf0f0f0f, v2
	v_mad_u64_u32 v[2:3], s[16:17], v112, 24, v[0:1]
	v_mad_u64_u32 v[6:7], s[16:17], v114, 24, v[0:1]
	;; [unrolled: 1-line block ×3, first 2 shown]
	v_and_b32_e32 v24, 0xf0f0f0f, v5
	v_lshl_add_u64 v[4:5], v[2:3], 0, v[82:83]
	v_lshl_add_u64 v[8:9], v[6:7], 0, v[82:83]
	;; [unrolled: 1-line block ×3, first 2 shown]
	v_mad_u64_u32 v[0:1], s[16:17], v118, 24, v[0:1]
	v_lshl_add_u64 v[14:15], v[0:1], 0, v[82:83]
	global_load_dword v4, v[4:5], off offset:8
	s_nop 0
	global_load_dword v5, v[8:9], off offset:8
	s_nop 0
	global_load_dword v8, v[12:13], off offset:8
	global_load_dword v9, v[14:15], off offset:8
	s_nop 0
	global_load_dword v12, v[0:1], off offset:4
	s_nop 0
	global_load_dword v10, v[10:11], off offset:4
	s_nop 0
	global_load_dword v0, v[6:7], off offset:4
	global_load_dword v1, v[2:3], off offset:4
	v_lshlrev_b32_e32 v19, 4, v18
	v_lshrrev_b32_e32 v21, 12, v18
	v_lshlrev_b32_e32 v20, 11, v18
	v_lshrrev_b32_e32 v22, 5, v18
	v_and_b32_e32 v2, 16, v21
	v_and_b32_e32 v3, 16, v19
	v_or_b32_e32 v2, v2, v23
	v_or_b32_e32 v3, v3, v24
	v_and_b32_e32 v6, 0x1000, v22
	v_and_b32_e32 v7, 0x1000, v20
	v_or_b32_e32 v2, v2, v6
	v_or_b32_e32 v3, v3, v7
	v_lshlrev_b32_e32 v6, 2, v18
	v_lshlrev_b32_e32 v7, 18, v18
	v_and_b32_e32 v6, 0x100000, v6
	v_and_b32_e32 v7, 0x100000, v7
	v_or_b32_e32 v2, v2, v6
	v_or_b32_e32 v3, v3, v7
	v_lshlrev_b32_e32 v6, 9, v18
	v_lshlrev_b32_e32 v7, 25, v18
	v_and_b32_e32 v6, 0x10000000, v6
	v_and_b32_e32 v7, 0x10000000, v7
	v_or_b32_e32 v2, v2, v6
	v_or_b32_e32 v3, v3, v7
	ds_write2_b32 v111, v3, v2 offset1:1
	v_ashrrev_i32_e32 v2, v82, v30
	v_lshlrev_b32_e32 v3, 4, v2
	v_lshlrev_b32_e32 v6, 11, v2
	v_lshrrev_b32_e32 v7, 4, v25
	v_lshrrev_b32_e32 v11, 12, v2
	v_and_b32_e32 v14, 0xf0f0f0f, v25
	v_and_b32_e32 v3, 16, v3
	v_lshrrev_b32_e32 v13, 5, v2
	v_and_b32_e32 v7, 0xf0f0f0f, v7
	v_and_b32_e32 v11, 16, v11
	v_or_b32_e32 v3, v3, v14
	v_and_b32_e32 v6, 0x1000, v6
	v_or_b32_e32 v7, v11, v7
	;; [unrolled: 2-line block ×3, first 2 shown]
	v_lshlrev_b32_e32 v6, 2, v2
	v_or_b32_e32 v7, v7, v11
	v_lshlrev_b32_e32 v11, 18, v2
	v_and_b32_e32 v6, 0x100000, v6
	v_and_b32_e32 v11, 0x100000, v11
	v_or_b32_e32 v6, v7, v6
	v_lshlrev_b32_e32 v7, 9, v2
	v_lshlrev_b32_e32 v2, 25, v2
	v_or_b32_e32 v3, v3, v11
	v_and_b32_e32 v7, 0x10000000, v7
	v_and_b32_e32 v2, 0x10000000, v2
	v_or_b32_e32 v6, v6, v7
	v_or_b32_e32 v2, v3, v2
	ds_write2_b32 v113, v2, v6 offset1:1
	v_ashrrev_i32_e32 v2, v82, v17
	v_lshlrev_b32_e32 v3, 4, v2
	v_lshlrev_b32_e32 v6, 11, v2
	v_lshrrev_b32_e32 v7, 4, v16
	v_lshrrev_b32_e32 v11, 12, v2
	v_and_b32_e32 v14, 0xf0f0f0f, v16
	v_and_b32_e32 v3, 16, v3
	v_lshrrev_b32_e32 v13, 5, v2
	v_and_b32_e32 v7, 0xf0f0f0f, v7
	v_and_b32_e32 v11, 16, v11
	v_or_b32_e32 v3, v3, v14
	v_and_b32_e32 v6, 0x1000, v6
	v_or_b32_e32 v7, v11, v7
	;; [unrolled: 2-line block ×3, first 2 shown]
	v_lshlrev_b32_e32 v6, 2, v2
	v_or_b32_e32 v7, v7, v11
	v_lshlrev_b32_e32 v11, 18, v2
	v_and_b32_e32 v6, 0x100000, v6
	v_and_b32_e32 v11, 0x100000, v11
	v_or_b32_e32 v6, v7, v6
	v_lshlrev_b32_e32 v7, 9, v2
	v_lshlrev_b32_e32 v2, 25, v2
	v_or_b32_e32 v3, v3, v11
	v_and_b32_e32 v7, 0x10000000, v7
	v_and_b32_e32 v2, 0x10000000, v2
	v_or_b32_e32 v6, v6, v7
	v_or_b32_e32 v2, v3, v2
	s_waitcnt vmcnt(0)
	v_ashrrev_i32_e32 v1, v82, v1
	ds_write2_b32 v115, v2, v6 offset1:1
	v_lshlrev_b32_e32 v2, 4, v1
	v_lshlrev_b32_e32 v3, 11, v1
	v_lshrrev_b32_e32 v6, 4, v4
	v_lshrrev_b32_e32 v7, 12, v1
	v_and_b32_e32 v4, 0xf0f0f0f, v4
	v_and_b32_e32 v2, 16, v2
	v_lshrrev_b32_e32 v11, 5, v1
	v_and_b32_e32 v6, 0xf0f0f0f, v6
	v_and_b32_e32 v7, 16, v7
	v_or_b32_e32 v2, v2, v4
	v_and_b32_e32 v3, 0x1000, v3
	v_or_b32_e32 v6, v7, v6
	;; [unrolled: 2-line block ×3, first 2 shown]
	v_lshlrev_b32_e32 v3, 2, v1
	v_or_b32_e32 v4, v6, v4
	v_lshlrev_b32_e32 v6, 18, v1
	v_and_b32_e32 v3, 0x100000, v3
	v_and_b32_e32 v6, 0x100000, v6
	v_or_b32_e32 v3, v4, v3
	v_lshlrev_b32_e32 v4, 9, v1
	v_lshlrev_b32_e32 v1, 25, v1
	v_or_b32_e32 v2, v2, v6
	v_and_b32_e32 v4, 0x10000000, v4
	v_and_b32_e32 v1, 0x10000000, v1
	v_or_b32_e32 v3, v3, v4
	v_or_b32_e32 v1, v2, v1
	v_ashrrev_i32_e32 v11, v82, v0
	ds_write2_b32 v117, v1, v3 offset1:1
	v_lshlrev_b32_e32 v0, 4, v11
	v_lshrrev_b32_e32 v1, 4, v5
	v_lshrrev_b32_e32 v2, 12, v11
	v_and_b32_e32 v1, 0xf0f0f0f, v1
	v_and_b32_e32 v3, 0xf0f0f0f, v5
	;; [unrolled: 1-line block ×4, first 2 shown]
	v_or_b32_e32 v15, v2, v1
	v_or_b32_e32 v16, v0, v3
	v_mad_u64_u32 v[0:1], s[0:1], v120, 24, s[0:1]
	v_mad_u64_u32 v[2:3], s[0:1], v122, 24, v[0:1]
	;; [unrolled: 1-line block ×5, first 2 shown]
	global_load_dword v2, v[2:3], off
	s_nop 0
	global_load_dword v3, v[4:5], off
	s_nop 0
	global_load_dword v4, v[6:7], off
	v_lshlrev_b32_e32 v13, 11, v11
	global_load_dword v0, v[0:1], off
	v_lshrrev_b32_e32 v14, 5, v11
	v_and_b32_e32 v1, 0x1000, v14
	v_and_b32_e32 v5, 0x1000, v13
	v_lshlrev_b32_e32 v6, 2, v11
	v_lshlrev_b32_e32 v7, 18, v11
	v_or_b32_e32 v1, v15, v1
	v_or_b32_e32 v5, v16, v5
	v_and_b32_e32 v6, 0x100000, v6
	v_and_b32_e32 v7, 0x100000, v7
	v_or_b32_e32 v1, v1, v6
	v_or_b32_e32 v5, v5, v7
	v_lshlrev_b32_e32 v6, 9, v11
	v_lshlrev_b32_e32 v7, 25, v11
	v_and_b32_e32 v6, 0x10000000, v6
	v_and_b32_e32 v7, 0x10000000, v7
	v_or_b32_e32 v1, v1, v6
	v_or_b32_e32 v5, v5, v7
	ds_write2_b32 v119, v5, v1 offset1:1
	v_ashrrev_i32_e32 v1, v82, v10
	v_lshlrev_b32_e32 v5, 4, v1
	v_lshlrev_b32_e32 v6, 11, v1
	v_lshrrev_b32_e32 v7, 4, v8
	v_lshrrev_b32_e32 v10, 12, v1
	v_and_b32_e32 v8, 0xf0f0f0f, v8
	v_and_b32_e32 v5, 16, v5
	v_lshrrev_b32_e32 v11, 5, v1
	v_and_b32_e32 v7, 0xf0f0f0f, v7
	v_and_b32_e32 v10, 16, v10
	v_or_b32_e32 v5, v5, v8
	v_and_b32_e32 v6, 0x1000, v6
	v_or_b32_e32 v7, v10, v7
	;; [unrolled: 2-line block ×3, first 2 shown]
	v_lshlrev_b32_e32 v6, 2, v1
	v_or_b32_e32 v7, v7, v8
	v_lshlrev_b32_e32 v8, 18, v1
	v_and_b32_e32 v6, 0x100000, v6
	v_and_b32_e32 v8, 0x100000, v8
	v_or_b32_e32 v6, v7, v6
	v_lshlrev_b32_e32 v7, 9, v1
	v_lshlrev_b32_e32 v1, 25, v1
	v_or_b32_e32 v5, v5, v8
	v_and_b32_e32 v7, 0x10000000, v7
	v_and_b32_e32 v1, 0x10000000, v1
	v_or_b32_e32 v6, v6, v7
	v_or_b32_e32 v1, v5, v1
	ds_write2_b32 v121, v1, v6 offset1:1
	v_ashrrev_i32_e32 v1, v82, v12
	v_lshlrev_b32_e32 v5, 4, v1
	v_lshlrev_b32_e32 v6, 11, v1
	v_lshrrev_b32_e32 v7, 4, v9
	v_lshrrev_b32_e32 v8, 12, v1
	v_and_b32_e32 v9, 0xf0f0f0f, v9
	v_and_b32_e32 v5, 16, v5
	v_lshrrev_b32_e32 v10, 5, v1
	v_and_b32_e32 v7, 0xf0f0f0f, v7
	v_and_b32_e32 v8, 16, v8
	v_or_b32_e32 v5, v5, v9
	v_and_b32_e32 v6, 0x1000, v6
	v_or_b32_e32 v7, v8, v7
	;; [unrolled: 2-line block ×3, first 2 shown]
	v_lshlrev_b32_e32 v6, 2, v1
	v_or_b32_e32 v7, v7, v8
	v_lshlrev_b32_e32 v8, 18, v1
	v_and_b32_e32 v6, 0x100000, v6
	v_and_b32_e32 v8, 0x100000, v8
	v_or_b32_e32 v6, v7, v6
	v_lshlrev_b32_e32 v7, 9, v1
	v_lshlrev_b32_e32 v1, 25, v1
	v_or_b32_e32 v5, v5, v8
	v_and_b32_e32 v7, 0x10000000, v7
	v_and_b32_e32 v1, 0x10000000, v1
	v_or_b32_e32 v6, v6, v7
	v_or_b32_e32 v1, v5, v1
	ds_write2_b32 v123, v1, v6 offset1:1
	s_waitcnt vmcnt(3)
	ds_write_b32 v191, v2
	s_waitcnt vmcnt(2)
	ds_write_b32 v192, v3
	;; [unrolled: 2-line block ×4, first 2 shown]
	s_cbranch_scc0 .LBB163_6
; %bb.8:                                ;   in Loop: Header=BB163_7 Depth=1
	v_add_u32_e32 v14, s14, v125
	v_add_u32_e32 v203, s14, v130
	;; [unrolled: 1-line block ×6, first 2 shown]
	v_mad_i64_i32 v[0:1], s[0:1], v0, 36, v[132:133]
	v_mad_i64_i32 v[2:3], s[0:1], v2, 36, v[132:133]
	;; [unrolled: 1-line block ×4, first 2 shown]
	v_add_u32_e32 v8, v14, v174
	v_add_u32_e32 v10, v14, v175
	;; [unrolled: 1-line block ×4, first 2 shown]
	v_mad_u64_u32 v[16:17], s[0:1], v203, 36, s[2:3]
	v_mad_i64_i32 v[8:9], s[0:1], v8, 36, v[132:133]
	v_mad_i64_i32 v[10:11], s[0:1], v10, 36, v[132:133]
	;; [unrolled: 1-line block ×4, first 2 shown]
	global_load_dword v16, v[16:17], off
	s_nop 0
	global_load_dword v0, v[0:1], off offset:4
	s_nop 0
	global_load_dword v1, v[2:3], off offset:4
	;; [unrolled: 2-line block ×3, first 2 shown]
	global_load_dword v3, v[6:7], off offset:4
	s_nop 0
	global_load_dword v4, v[8:9], off offset:4
	global_load_dword v5, v[10:11], off offset:4
	;; [unrolled: 1-line block ×3, first 2 shown]
                                        ; kill: killed $vgpr10_vgpr11
                                        ; kill: killed $vgpr12_vgpr13
	global_load_dword v7, v[14:15], off offset:4
	s_mov_b32 s0, -4
	v_mov_b32_e32 v204, v185
	v_mov_b32_e32 v205, v178
	v_mov_b32_e32 v206, v184
	v_mov_b32_e32 v207, v183
	v_mov_b32_e32 v208, v182
	v_mov_b32_e32 v209, v181
	v_mov_b32_e32 v210, v180
	s_waitcnt vmcnt(8)
	ds_write_b32 v127, v16
	s_waitcnt vmcnt(7)
	ds_write_b32 v195, v0
	;; [unrolled: 2-line block ×9, first 2 shown]
	s_waitcnt lgkmcnt(0)
	s_barrier
.LBB163_9:                              ;   Parent Loop BB163_7 Depth=1
                                        ; =>  This Inner Loop Header: Depth=2
	ds_read_b128 v[12:15], v204
	ds_read_b128 v[8:11], v204 offset:16
	ds_read2_b32 v[148:149], v206 offset1:32
	v_add_u32_e32 v136, 0x2080, v205
	v_add_u32_e32 v137, 0x2088, v205
	;; [unrolled: 1-line block ×10, first 2 shown]
	ds_read2_b32 v[146:147], v205 offset1:1
	ds_read2_b32 v[144:145], v205 offset0:2 offset1:3
	ds_read2_b32 v[142:143], v205 offset0:4 offset1:5
	;; [unrolled: 1-line block ×3, first 2 shown]
	ds_read_b32 v238, v207
	ds_read_b32 v237, v208
	;; [unrolled: 1-line block ×4, first 2 shown]
	v_add_u32_e32 v233, 0x6190, v205
	v_add_u32_e32 v234, 0x6198, v205
	ds_read_b128 v[44:47], v204 offset:1024
	ds_read_b128 v[16:19], v204 offset:1040
	;; [unrolled: 1-line block ×4, first 2 shown]
	ds_read2_b32 v[170:171], v206 offset0:64 offset1:96
	ds_read_b128 v[40:43], v204 offset:3072
	ds_read_b128 v[24:27], v204 offset:3088
	;; [unrolled: 1-line block ×4, first 2 shown]
	ds_read2_b32 v[150:151], v206 offset0:128 offset1:160
	ds_read_b128 v[28:31], v204 offset:5120
	ds_read_b128 v[4:7], v204 offset:5136
	;; [unrolled: 1-line block ×3, first 2 shown]
	ds_read2_b32 v[168:169], v136 offset1:1
	ds_read2_b32 v[158:159], v137 offset1:1
	;; [unrolled: 1-line block ×12, first 2 shown]
	v_mov_b32_e32 v231, 0
	v_mov_b32_e32 v211, 0
	;; [unrolled: 1-line block ×4, first 2 shown]
	s_waitcnt lgkmcnt(14)
	v_dot4c_i32_i8_e32 v231, v146, v12
	s_waitcnt lgkmcnt(11)
	v_dot4c_i32_i8_e32 v211, v168, v12
	s_waitcnt lgkmcnt(7)
	v_dot4c_i32_i8_e32 v212, v166, v12
	s_waitcnt lgkmcnt(3)
	v_dot4c_i32_i8_e32 v213, v164, v12
	v_dot4c_i32_i8_e32 v231, v147, v8
	v_dot4c_i32_i8_e32 v211, v169, v8
	;; [unrolled: 1-line block ×7, first 2 shown]
	s_waitcnt lgkmcnt(2)
	v_dot4c_i32_i8_e32 v213, v162, v13
	v_mov_b32_e32 v224, 0
	v_mov_b32_e32 v223, 0
	;; [unrolled: 1-line block ×4, first 2 shown]
	v_dot4c_i32_i8_e32 v231, v145, v9
	v_dot4c_i32_i8_e32 v211, v159, v9
	;; [unrolled: 1-line block ×4, first 2 shown]
	v_mov_b32_e32 v239, 0
	v_mov_b32_e32 v217, 0
	v_mov_b32_e32 v218, 0
	v_mov_b32_e32 v219, 0
	v_dot4c_i32_i8_e32 v231, v142, v14
	v_dot4c_i32_i8_e32 v211, v156, v14
	v_dot4c_i32_i8_e32 v212, v154, v14
	s_waitcnt lgkmcnt(1)
	v_dot4c_i32_i8_e32 v213, v152, v14
	v_dot4c_i32_i8_e32 v224, v146, v48
	;; [unrolled: 1-line block ×17, first 2 shown]
	v_mov_b32_e32 v227, 0
	v_mov_b32_e32 v228, 0
	;; [unrolled: 1-line block ×4, first 2 shown]
	v_dot4c_i32_i8_e32 v231, v134, v15
	v_dot4c_i32_i8_e32 v211, v136, v15
	v_dot4c_i32_i8_e32 v212, v138, v15
	s_waitcnt lgkmcnt(0)
	v_dot4c_i32_i8_e32 v213, v140, v15
	ds_read_b128 v[12:15], v204 offset:6160
	v_dot4c_i32_i8_e32 v239, v147, v20
	v_dot4c_i32_i8_e32 v217, v169, v20
	;; [unrolled: 1-line block ×20, first 2 shown]
	v_mov_b32_e32 v241, 0
	v_mov_b32_e32 v220, 0
	;; [unrolled: 1-line block ×4, first 2 shown]
	v_dot4c_i32_i8_e32 v239, v145, v21
	v_dot4c_i32_i8_e32 v217, v159, v21
	;; [unrolled: 1-line block ×12, first 2 shown]
	v_mov_b32_e32 v234, 0
	v_mov_b32_e32 v233, 0
	;; [unrolled: 1-line block ×3, first 2 shown]
	v_dot4c_i32_i8_e32 v239, v142, v38
	v_dot4c_i32_i8_e32 v217, v156, v38
	;; [unrolled: 1-line block ×12, first 2 shown]
	v_mov_b32_e32 v2, 0
	v_dot4c_i32_i8_e32 v227, v144, v29
	v_dot4c_i32_i8_e32 v228, v158, v29
	;; [unrolled: 1-line block ×32, first 2 shown]
	ds_read_b128 v[38:41], v204 offset:7168
	s_waitcnt lgkmcnt(1)
	v_dot4c_i32_i8_e32 v234, v147, v12
	v_dot4c_i32_i8_e32 v233, v169, v12
	;; [unrolled: 1-line block ×20, first 2 shown]
	ds_read_b128 v[28:31], v204 offset:7184
	v_dot4c_i32_i8_e32 v241, v145, v25
	v_dot4c_i32_i8_e32 v220, v159, v25
	;; [unrolled: 1-line block ×8, first 2 shown]
	v_mov_b32_e32 v232, 0
	v_mov_b32_e32 v214, 0
	;; [unrolled: 1-line block ×4, first 2 shown]
	v_dot4c_i32_i8_e32 v241, v142, v42
	v_dot4c_i32_i8_e32 v220, v156, v42
	;; [unrolled: 1-line block ×8, first 2 shown]
	v_mov_b32_e32 v14, 0
	v_dot4c_i32_i8_e32 v232, v146, v44
	v_dot4c_i32_i8_e32 v214, v168, v44
	;; [unrolled: 1-line block ×8, first 2 shown]
	v_pk_mul_f16 v36, v238, v170
	v_pk_mul_f16 v26, v237, v170
	;; [unrolled: 1-line block ×4, first 2 shown]
	v_mov_b32_e32 v170, 0
	v_mov_b32_e32 v6, 0
	s_waitcnt lgkmcnt(1)
	v_dot4c_i32_i8_e32 v14, v166, v38
	v_mov_b32_e32 v166, 0
	v_dot4c_i32_i8_e32 v232, v147, v16
	v_dot4c_i32_i8_e32 v170, v146, v38
	;; [unrolled: 1-line block ×8, first 2 shown]
	s_waitcnt lgkmcnt(0)
	v_dot4c_i32_i8_e32 v170, v147, v28
	v_dot4c_i32_i8_e32 v6, v169, v28
	;; [unrolled: 1-line block ×8, first 2 shown]
	ds_read2_b32 v[0:1], v206 offset0:192 offset1:224
	v_dot4c_i32_i8_e32 v170, v144, v39
	v_dot4c_i32_i8_e32 v6, v158, v39
	;; [unrolled: 1-line block ×32, first 2 shown]
	v_pk_mul_f16 v8, v148, v238
	v_pk_mul_f16 v9, v238, v149
	v_dot4c_i32_i8_e32 v220, v136, v43
	v_dot4c_i32_i8_e32 v221, v138, v43
	;; [unrolled: 1-line block ×7, first 2 shown]
	v_pk_mul_f16 v42, v238, v171
	v_dot4c_i32_i8_e32 v234, v134, v35
	v_dot4c_i32_i8_e32 v233, v136, v35
	;; [unrolled: 1-line block ×12, first 2 shown]
	v_pk_mul_f16 v16, v148, v237
	v_pk_mul_f16 v18, v148, v236
	;; [unrolled: 1-line block ×17, first 2 shown]
	s_waitcnt lgkmcnt(0)
	v_pk_mul_f16 v242, v238, v0
	v_pk_mul_f16 v238, v238, v1
	;; [unrolled: 1-line block ×8, first 2 shown]
	v_cvt_f32_f16_e32 v1, v9
	v_cvt_f32_f16_e32 v0, v8
	v_cvt_f32_f16_sdwa v9, v9 dst_sel:DWORD dst_unused:UNUSED_PAD src0_sel:WORD_1
	v_cvt_f32_f16_sdwa v8, v8 dst_sel:DWORD dst_unused:UNUSED_PAD src0_sel:WORD_1
	v_cvt_f32_f16_e32 v35, v42
	v_cvt_f32_f16_e32 v34, v36
	v_cvt_f32_f16_sdwa v39, v42 dst_sel:DWORD dst_unused:UNUSED_PAD src0_sel:WORD_1
	v_cvt_f32_f16_sdwa v38, v36 dst_sel:DWORD dst_unused:UNUSED_PAD src0_sel:WORD_1
	v_dot4c_i32_i8_e32 v211, v137, v11
	v_dot4c_i32_i8_e32 v212, v139, v11
	;; [unrolled: 1-line block ×16, first 2 shown]
	v_cvt_f32_i32_e32 v161, v232
	v_cvt_f32_i32_e32 v160, v231
	;; [unrolled: 1-line block ×4, first 2 shown]
	v_dot4c_i32_i8_e32 v223, v137, v3
	v_dot4c_i32_i8_e32 v225, v139, v3
	;; [unrolled: 1-line block ×12, first 2 shown]
	v_cvt_f32_f16_e32 v5, v17
	v_cvt_f32_f16_e32 v4, v16
	v_cvt_f32_f16_sdwa v13, v17 dst_sel:DWORD dst_unused:UNUSED_PAD src0_sel:WORD_1
	v_cvt_f32_f16_sdwa v12, v16 dst_sel:DWORD dst_unused:UNUSED_PAD src0_sel:WORD_1
	v_cvt_f32_f16_e32 v17, v20
	v_cvt_f32_f16_e32 v16, v18
	v_cvt_f32_f16_sdwa v21, v20 dst_sel:DWORD dst_unused:UNUSED_PAD src0_sel:WORD_1
	v_cvt_f32_f16_sdwa v20, v18 dst_sel:DWORD dst_unused:UNUSED_PAD src0_sel:WORD_1
	;; [unrolled: 4-line block ×14, first 2 shown]
	v_cvt_f32_i32_e32 v165, v227
	v_cvt_f32_i32_e32 v164, v224
	;; [unrolled: 1-line block ×28, first 2 shown]
	v_pk_fma_f32 v[0:1], v[0:1], v[160:161], v[8:9]
	v_pk_fma_f32 v[8:9], v[162:163], v[34:35], v[38:39]
	s_add_i32 s0, s0, 4
	v_pk_fma_f32 v[34:35], v[164:165], v[50:51], v[144:145]
	v_pk_fma_f32 v[38:39], v[168:169], v[154:155], v[156:157]
	v_pk_add_f32 v[92:93], v[92:93], v[0:1]
	v_pk_fma_f32 v[0:1], v[4:5], v[30:31], v[12:13]
	v_pk_fma_f32 v[4:5], v[16:17], v[136:137], v[20:21]
	v_pk_fma_f32 v[12:13], v[24:25], v[138:139], v[28:29]
	v_pk_add_f32 v[74:75], v[74:75], v[8:9]
	v_pk_fma_f32 v[8:9], v[140:141], v[32:33], v[36:37]
	v_pk_fma_f32 v[16:17], v[170:171], v[40:41], v[42:43]
	;; [unrolled: 1-line block ×9, first 2 shown]
	v_add_u32_e32 v210, 4, v210
	v_add_u32_e32 v209, 4, v209
	;; [unrolled: 1-line block ×7, first 2 shown]
	s_cmp_lt_u32 s0, 12
	v_pk_add_f32 v[66:67], v[66:67], v[34:35]
	v_pk_add_f32 v[58:59], v[58:59], v[38:39]
	v_pk_add_f32 v[86:87], v[86:87], v[0:1]
	v_pk_add_f32 v[78:79], v[78:79], v[4:5]
	v_pk_add_f32 v[76:77], v[76:77], v[12:13]
	v_pk_add_f32 v[72:73], v[72:73], v[8:9]
	v_pk_add_f32 v[70:71], v[70:71], v[16:17]
	v_pk_add_f32 v[68:69], v[68:69], v[10:11]
	v_pk_add_f32 v[64:65], v[64:65], v[18:19]
	v_pk_add_f32 v[62:63], v[62:63], v[20:21]
	v_pk_add_f32 v[60:61], v[60:61], v[22:23]
	v_pk_add_f32 v[56:57], v[56:57], v[6:7]
	v_pk_add_f32 v[54:55], v[54:55], v[14:15]
	v_pk_add_f32 v[52:53], v[52:53], v[2:3]
	s_cbranch_scc1 .LBB163_9
; %bb.10:                               ;   in Loop: Header=BB163_7 Depth=1
	s_and_b32 s0, s9, -4
	s_cmp_eq_u32 s0, 4
	s_barrier
	s_cbranch_scc1 .LBB163_6
; %bb.11:                               ;   in Loop: Header=BB163_7 Depth=1
	v_add_u32_e32 v14, s14, v179
	v_add_u32_e32 v0, v14, v129
	;; [unrolled: 1-line block ×6, first 2 shown]
	v_mad_i64_i32 v[0:1], s[0:1], v0, 36, v[132:133]
	v_mad_i64_i32 v[2:3], s[0:1], v2, 36, v[132:133]
	;; [unrolled: 1-line block ×4, first 2 shown]
	v_add_u32_e32 v8, v14, v174
	v_add_u32_e32 v10, v14, v175
	;; [unrolled: 1-line block ×4, first 2 shown]
	v_mad_u64_u32 v[16:17], s[0:1], v16, 36, s[2:3]
	v_mad_i64_i32 v[8:9], s[0:1], v8, 36, v[132:133]
	v_mad_i64_i32 v[10:11], s[0:1], v10, 36, v[132:133]
	v_mad_i64_i32 v[12:13], s[0:1], v12, 36, v[132:133]
	v_mad_i64_i32 v[14:15], s[0:1], v14, 36, v[132:133]
	global_load_dword v16, v[16:17], off
	s_nop 0
	global_load_dword v0, v[0:1], off offset:4
	s_nop 0
	global_load_dword v1, v[2:3], off offset:4
	;; [unrolled: 2-line block ×3, first 2 shown]
	global_load_dword v3, v[6:7], off offset:4
	s_nop 0
	global_load_dword v4, v[8:9], off offset:4
	global_load_dword v5, v[10:11], off offset:4
                                        ; kill: killed $vgpr8_vgpr9
                                        ; kill: killed $vgpr10_vgpr11
	global_load_dword v6, v[12:13], off offset:4
	global_load_dword v7, v[14:15], off offset:4
	s_mov_b32 s0, 12
	v_mov_b32_e32 v42, v184
	v_mov_b32_e32 v43, v185
	;; [unrolled: 1-line block ×7, first 2 shown]
	s_waitcnt vmcnt(8)
	ds_write_b32 v127, v16
	s_waitcnt vmcnt(7)
	ds_write_b32 v195, v0
	;; [unrolled: 2-line block ×9, first 2 shown]
	s_waitcnt lgkmcnt(0)
	s_barrier
.LBB163_12:                             ;   Parent Loop BB163_7 Depth=1
                                        ; =>  This Inner Loop Header: Depth=2
	v_add_u32_e32 v8, 0x2080, v44
	ds_read_b128 v[0:3], v43
	ds_read_b128 v[4:7], v43 offset:16
	ds_read2_b32 v[40:41], v42 offset1:32
	ds_read_b32 v134, v45
	ds_read2_b32 v[26:27], v44 offset1:1
	ds_read2_b32 v[32:33], v44 offset0:2 offset1:3
	ds_read2_b32 v[36:37], v44 offset0:4 offset1:5
	;; [unrolled: 1-line block ×3, first 2 shown]
	ds_read_b32 v51, v46
	ds_read2_b32 v[14:15], v8 offset1:1
	v_add_u32_e32 v8, 0x2088, v44
	ds_read2_b32 v[22:23], v8 offset1:1
	v_add_u32_e32 v8, 0x2090, v44
	;; [unrolled: 2-line block ×4, first 2 shown]
	ds_read_b32 v50, v47
	ds_read2_b32 v[10:11], v8 offset1:1
	v_add_u32_e32 v8, 0x4108, v44
	ds_read2_b32 v[16:17], v8 offset1:1
	v_add_u32_e32 v8, 0x4110, v44
	;; [unrolled: 2-line block ×4, first 2 shown]
	ds_read_b32 v49, v48
	ds_read2_b32 v[8:9], v8 offset1:1
	v_mov_b32_e32 v135, 0
	v_mov_b32_e32 v142, 0
	;; [unrolled: 1-line block ×4, first 2 shown]
	s_waitcnt lgkmcnt(14)
	v_dot4c_i32_i8_e32 v135, v26, v0
	s_waitcnt lgkmcnt(10)
	v_dot4c_i32_i8_e32 v142, v14, v0
	;; [unrolled: 2-line block ×4, first 2 shown]
	v_add_u32_e32 v0, 0x6188, v44
	ds_read2_b32 v[12:13], v0 offset1:1
	v_add_u32_e32 v0, 0x6190, v44
	ds_read2_b32 v[18:19], v0 offset1:1
	v_add_u32_e32 v0, 0x6198, v44
	v_dot4c_i32_i8_e32 v135, v27, v4
	v_dot4c_i32_i8_e32 v142, v15, v4
	;; [unrolled: 1-line block ×4, first 2 shown]
	ds_read2_b32 v[24:25], v0 offset1:1
	v_dot4c_i32_i8_e32 v135, v32, v1
	v_dot4c_i32_i8_e32 v142, v22, v1
	v_dot4c_i32_i8_e32 v144, v16, v1
	s_waitcnt lgkmcnt(2)
	v_dot4c_i32_i8_e32 v146, v12, v1
	v_dot4c_i32_i8_e32 v135, v33, v5
	v_dot4c_i32_i8_e32 v142, v23, v5
	v_dot4c_i32_i8_e32 v144, v17, v5
	v_dot4c_i32_i8_e32 v146, v13, v5
	v_dot4c_i32_i8_e32 v135, v36, v2
	v_dot4c_i32_i8_e32 v142, v30, v2
	v_dot4c_i32_i8_e32 v144, v20, v2
	s_waitcnt lgkmcnt(1)
	v_dot4c_i32_i8_e32 v146, v18, v2
	v_dot4c_i32_i8_e32 v135, v37, v6
	v_dot4c_i32_i8_e32 v142, v31, v6
	v_dot4c_i32_i8_e32 v144, v21, v6
	v_dot4c_i32_i8_e32 v146, v19, v6
	;; [unrolled: 9-line block ×3, first 2 shown]
	ds_read_b128 v[0:3], v43 offset:1024
	ds_read_b128 v[4:7], v43 offset:1040
	v_mov_b32_e32 v140, 0
	v_pk_mul_f16 v138, v40, v134
	v_pk_mul_f16 v139, v134, v41
	s_waitcnt lgkmcnt(1)
	v_dot4c_i32_i8_e32 v140, v26, v0
	s_waitcnt lgkmcnt(0)
	v_dot4c_i32_i8_e32 v140, v27, v4
	v_dot4c_i32_i8_e32 v140, v32, v1
	;; [unrolled: 1-line block ×7, first 2 shown]
	v_cvt_f32_f16_e32 v137, v139
	v_cvt_f32_f16_e32 v136, v138
	v_cvt_f32_f16_sdwa v139, v139 dst_sel:DWORD dst_unused:UNUSED_PAD src0_sel:WORD_1
	v_cvt_f32_i32_e32 v141, v140
	v_cvt_f32_i32_e32 v140, v135
	v_mov_b32_e32 v135, 0
	v_dot4c_i32_i8_e32 v135, v14, v0
	v_dot4c_i32_i8_e32 v135, v15, v4
	v_dot4c_i32_i8_e32 v135, v22, v1
	v_dot4c_i32_i8_e32 v135, v23, v5
	v_cvt_f32_f16_sdwa v138, v138 dst_sel:DWORD dst_unused:UNUSED_PAD src0_sel:WORD_1
	v_dot4c_i32_i8_e32 v135, v30, v2
	v_dot4c_i32_i8_e32 v135, v31, v6
	;; [unrolled: 1-line block ×4, first 2 shown]
	v_pk_fma_f32 v[136:137], v[136:137], v[140:141], v[138:139]
	v_pk_mul_f16 v143, v40, v51
	v_pk_mul_f16 v138, v51, v41
	v_cvt_f32_i32_e32 v141, v135
	v_mov_b32_e32 v135, 0
	v_dot4c_i32_i8_e32 v135, v10, v0
	v_dot4c_i32_i8_e32 v135, v11, v4
	;; [unrolled: 1-line block ×4, first 2 shown]
	v_pk_add_f32 v[92:93], v[92:93], v[136:137]
	v_cvt_f32_f16_e32 v137, v138
	v_cvt_f32_f16_e32 v136, v143
	v_cvt_f32_f16_sdwa v139, v138 dst_sel:DWORD dst_unused:UNUSED_PAD src0_sel:WORD_1
	v_cvt_f32_f16_sdwa v138, v143 dst_sel:DWORD dst_unused:UNUSED_PAD src0_sel:WORD_1
	v_cvt_f32_i32_e32 v140, v142
	v_dot4c_i32_i8_e32 v135, v20, v2
	v_dot4c_i32_i8_e32 v135, v21, v6
	;; [unrolled: 1-line block ×4, first 2 shown]
	v_pk_fma_f32 v[136:137], v[136:137], v[140:141], v[138:139]
	v_pk_mul_f16 v145, v40, v50
	v_pk_mul_f16 v40, v40, v49
	v_cvt_f32_i32_e32 v141, v135
	v_mov_b32_e32 v135, 0
	v_dot4c_i32_i8_e32 v135, v8, v0
	v_dot4c_i32_i8_e32 v135, v9, v4
	;; [unrolled: 1-line block ×8, first 2 shown]
	v_pk_mul_f16 v2, v49, v41
	v_cvt_f32_f16_e32 v0, v40
	v_cvt_f32_f16_e32 v1, v2
	v_cvt_f32_f16_sdwa v3, v2 dst_sel:DWORD dst_unused:UNUSED_PAD src0_sel:WORD_1
	v_cvt_f32_f16_sdwa v2, v40 dst_sel:DWORD dst_unused:UNUSED_PAD src0_sel:WORD_1
	v_cvt_f32_i32_e32 v5, v135
	v_cvt_f32_i32_e32 v4, v146
	v_pk_mul_f16 v138, v50, v41
	v_cvt_f32_i32_e32 v140, v144
	v_mov_b32_e32 v135, 0
	v_pk_fma_f32 v[0:1], v[0:1], v[4:5], v[2:3]
	v_mov_b32_e32 v142, 0
	v_pk_add_f32 v[76:77], v[76:77], v[0:1]
	ds_read_b128 v[0:3], v43 offset:2048
	ds_read_b128 v[4:7], v43 offset:2064
	ds_read2_b32 v[40:41], v42 offset0:64 offset1:96
	v_mov_b32_e32 v144, 0
	v_mov_b32_e32 v146, 0
	s_waitcnt lgkmcnt(2)
	v_dot4c_i32_i8_e32 v135, v26, v0
	v_dot4c_i32_i8_e32 v142, v14, v0
	;; [unrolled: 1-line block ×4, first 2 shown]
	s_waitcnt lgkmcnt(1)
	v_dot4c_i32_i8_e32 v135, v27, v4
	v_dot4c_i32_i8_e32 v142, v15, v4
	;; [unrolled: 1-line block ×20, first 2 shown]
	v_pk_add_f32 v[86:87], v[86:87], v[136:137]
	v_cvt_f32_f16_e32 v137, v138
	v_cvt_f32_f16_e32 v136, v145
	v_cvt_f32_f16_sdwa v139, v138 dst_sel:DWORD dst_unused:UNUSED_PAD src0_sel:WORD_1
	v_cvt_f32_f16_sdwa v138, v145 dst_sel:DWORD dst_unused:UNUSED_PAD src0_sel:WORD_1
	v_dot4c_i32_i8_e32 v135, v38, v3
	v_dot4c_i32_i8_e32 v142, v34, v3
	;; [unrolled: 1-line block ×8, first 2 shown]
	ds_read_b128 v[0:3], v43 offset:3072
	ds_read_b128 v[4:7], v43 offset:3088
	v_pk_fma_f32 v[136:137], v[136:137], v[140:141], v[138:139]
	v_mov_b32_e32 v140, 0
	s_waitcnt lgkmcnt(2)
	v_pk_mul_f16 v138, v134, v40
	s_waitcnt lgkmcnt(1)
	v_dot4c_i32_i8_e32 v140, v26, v0
	s_waitcnt lgkmcnt(0)
	v_dot4c_i32_i8_e32 v140, v27, v4
	v_dot4c_i32_i8_e32 v140, v32, v1
	;; [unrolled: 1-line block ×7, first 2 shown]
	v_pk_mul_f16 v139, v134, v41
	v_pk_add_f32 v[78:79], v[78:79], v[136:137]
	v_cvt_f32_f16_e32 v137, v139
	v_cvt_f32_i32_e32 v141, v140
	v_cvt_f32_i32_e32 v140, v135
	v_mov_b32_e32 v135, 0
	v_dot4c_i32_i8_e32 v135, v14, v0
	v_dot4c_i32_i8_e32 v135, v15, v4
	;; [unrolled: 1-line block ×4, first 2 shown]
	v_cvt_f32_f16_e32 v136, v138
	v_cvt_f32_f16_sdwa v139, v139 dst_sel:DWORD dst_unused:UNUSED_PAD src0_sel:WORD_1
	v_cvt_f32_f16_sdwa v138, v138 dst_sel:DWORD dst_unused:UNUSED_PAD src0_sel:WORD_1
	v_dot4c_i32_i8_e32 v135, v30, v2
	v_dot4c_i32_i8_e32 v135, v31, v6
	;; [unrolled: 1-line block ×4, first 2 shown]
	v_pk_fma_f32 v[136:137], v[140:141], v[136:137], v[138:139]
	v_pk_mul_f16 v143, v51, v40
	v_pk_mul_f16 v138, v51, v41
	v_cvt_f32_i32_e32 v141, v135
	v_mov_b32_e32 v135, 0
	v_dot4c_i32_i8_e32 v135, v10, v0
	v_dot4c_i32_i8_e32 v135, v11, v4
	;; [unrolled: 1-line block ×4, first 2 shown]
	v_pk_add_f32 v[74:75], v[74:75], v[136:137]
	v_cvt_f32_f16_e32 v137, v138
	v_cvt_f32_f16_e32 v136, v143
	v_cvt_f32_f16_sdwa v139, v138 dst_sel:DWORD dst_unused:UNUSED_PAD src0_sel:WORD_1
	v_cvt_f32_f16_sdwa v138, v143 dst_sel:DWORD dst_unused:UNUSED_PAD src0_sel:WORD_1
	v_cvt_f32_i32_e32 v140, v142
	v_dot4c_i32_i8_e32 v135, v20, v2
	v_dot4c_i32_i8_e32 v135, v21, v6
	;; [unrolled: 1-line block ×4, first 2 shown]
	v_pk_fma_f32 v[136:137], v[140:141], v[136:137], v[138:139]
	v_pk_mul_f16 v145, v50, v40
	v_pk_mul_f16 v40, v49, v40
	v_cvt_f32_i32_e32 v141, v135
	v_mov_b32_e32 v135, 0
	v_dot4c_i32_i8_e32 v135, v8, v0
	v_dot4c_i32_i8_e32 v135, v9, v4
	;; [unrolled: 1-line block ×8, first 2 shown]
	v_pk_mul_f16 v2, v49, v41
	v_cvt_f32_f16_e32 v0, v40
	v_cvt_f32_f16_e32 v1, v2
	v_cvt_f32_f16_sdwa v3, v2 dst_sel:DWORD dst_unused:UNUSED_PAD src0_sel:WORD_1
	v_cvt_f32_f16_sdwa v2, v40 dst_sel:DWORD dst_unused:UNUSED_PAD src0_sel:WORD_1
	v_cvt_f32_i32_e32 v5, v135
	v_cvt_f32_i32_e32 v4, v146
	v_pk_mul_f16 v138, v50, v41
	v_cvt_f32_i32_e32 v140, v144
	v_mov_b32_e32 v135, 0
	v_pk_fma_f32 v[0:1], v[4:5], v[0:1], v[2:3]
	v_mov_b32_e32 v142, 0
	v_pk_add_f32 v[68:69], v[68:69], v[0:1]
	ds_read_b128 v[0:3], v43 offset:4096
	ds_read_b128 v[4:7], v43 offset:4112
	ds_read2_b32 v[40:41], v42 offset0:128 offset1:160
	v_mov_b32_e32 v144, 0
	v_mov_b32_e32 v146, 0
	s_waitcnt lgkmcnt(2)
	v_dot4c_i32_i8_e32 v135, v26, v0
	v_dot4c_i32_i8_e32 v142, v14, v0
	;; [unrolled: 1-line block ×4, first 2 shown]
	s_waitcnt lgkmcnt(1)
	v_dot4c_i32_i8_e32 v135, v27, v4
	v_dot4c_i32_i8_e32 v142, v15, v4
	;; [unrolled: 1-line block ×20, first 2 shown]
	v_pk_add_f32 v[72:73], v[72:73], v[136:137]
	v_cvt_f32_f16_e32 v137, v138
	v_cvt_f32_f16_e32 v136, v145
	v_cvt_f32_f16_sdwa v139, v138 dst_sel:DWORD dst_unused:UNUSED_PAD src0_sel:WORD_1
	v_cvt_f32_f16_sdwa v138, v145 dst_sel:DWORD dst_unused:UNUSED_PAD src0_sel:WORD_1
	v_dot4c_i32_i8_e32 v135, v38, v3
	v_dot4c_i32_i8_e32 v142, v34, v3
	v_dot4c_i32_i8_e32 v144, v28, v3
	v_dot4c_i32_i8_e32 v146, v24, v3
	v_dot4c_i32_i8_e32 v135, v39, v7
	v_dot4c_i32_i8_e32 v142, v35, v7
	v_dot4c_i32_i8_e32 v144, v29, v7
	v_dot4c_i32_i8_e32 v146, v25, v7
	ds_read_b128 v[0:3], v43 offset:5120
	ds_read_b128 v[4:7], v43 offset:5136
	v_pk_fma_f32 v[136:137], v[140:141], v[136:137], v[138:139]
	v_mov_b32_e32 v140, 0
	s_waitcnt lgkmcnt(2)
	v_pk_mul_f16 v138, v134, v40
	s_waitcnt lgkmcnt(1)
	v_dot4c_i32_i8_e32 v140, v26, v0
	s_waitcnt lgkmcnt(0)
	v_dot4c_i32_i8_e32 v140, v27, v4
	v_dot4c_i32_i8_e32 v140, v32, v1
	;; [unrolled: 1-line block ×7, first 2 shown]
	v_pk_mul_f16 v139, v134, v41
	v_pk_add_f32 v[70:71], v[70:71], v[136:137]
	v_cvt_f32_f16_e32 v137, v139
	v_cvt_f32_i32_e32 v141, v140
	v_cvt_f32_i32_e32 v140, v135
	v_mov_b32_e32 v135, 0
	v_dot4c_i32_i8_e32 v135, v14, v0
	v_dot4c_i32_i8_e32 v135, v15, v4
	;; [unrolled: 1-line block ×4, first 2 shown]
	v_cvt_f32_f16_e32 v136, v138
	v_cvt_f32_f16_sdwa v139, v139 dst_sel:DWORD dst_unused:UNUSED_PAD src0_sel:WORD_1
	v_cvt_f32_f16_sdwa v138, v138 dst_sel:DWORD dst_unused:UNUSED_PAD src0_sel:WORD_1
	v_dot4c_i32_i8_e32 v135, v30, v2
	v_dot4c_i32_i8_e32 v135, v31, v6
	;; [unrolled: 1-line block ×4, first 2 shown]
	v_pk_fma_f32 v[136:137], v[140:141], v[136:137], v[138:139]
	v_pk_mul_f16 v143, v51, v40
	v_pk_mul_f16 v138, v51, v41
	v_cvt_f32_i32_e32 v141, v135
	v_mov_b32_e32 v135, 0
	v_dot4c_i32_i8_e32 v135, v10, v0
	v_dot4c_i32_i8_e32 v135, v11, v4
	v_dot4c_i32_i8_e32 v135, v16, v1
	v_dot4c_i32_i8_e32 v135, v17, v5
	v_pk_add_f32 v[66:67], v[66:67], v[136:137]
	v_cvt_f32_f16_e32 v137, v138
	v_cvt_f32_f16_e32 v136, v143
	v_cvt_f32_f16_sdwa v139, v138 dst_sel:DWORD dst_unused:UNUSED_PAD src0_sel:WORD_1
	v_cvt_f32_f16_sdwa v138, v143 dst_sel:DWORD dst_unused:UNUSED_PAD src0_sel:WORD_1
	v_cvt_f32_i32_e32 v140, v142
	v_dot4c_i32_i8_e32 v135, v20, v2
	v_dot4c_i32_i8_e32 v135, v21, v6
	;; [unrolled: 1-line block ×4, first 2 shown]
	v_pk_fma_f32 v[136:137], v[140:141], v[136:137], v[138:139]
	v_pk_mul_f16 v145, v50, v40
	v_pk_mul_f16 v40, v49, v40
	v_cvt_f32_i32_e32 v141, v135
	v_mov_b32_e32 v135, 0
	v_dot4c_i32_i8_e32 v135, v8, v0
	v_dot4c_i32_i8_e32 v135, v9, v4
	;; [unrolled: 1-line block ×8, first 2 shown]
	v_pk_mul_f16 v2, v49, v41
	v_cvt_f32_f16_e32 v0, v40
	v_cvt_f32_f16_e32 v1, v2
	v_cvt_f32_f16_sdwa v3, v2 dst_sel:DWORD dst_unused:UNUSED_PAD src0_sel:WORD_1
	v_cvt_f32_f16_sdwa v2, v40 dst_sel:DWORD dst_unused:UNUSED_PAD src0_sel:WORD_1
	v_cvt_f32_i32_e32 v5, v135
	v_cvt_f32_i32_e32 v4, v146
	v_pk_mul_f16 v138, v50, v41
	v_pk_add_f32 v[64:65], v[64:65], v[136:137]
	v_cvt_f32_f16_e32 v137, v138
	v_cvt_f32_f16_e32 v136, v145
	v_cvt_f32_f16_sdwa v139, v138 dst_sel:DWORD dst_unused:UNUSED_PAD src0_sel:WORD_1
	v_cvt_f32_f16_sdwa v138, v145 dst_sel:DWORD dst_unused:UNUSED_PAD src0_sel:WORD_1
	v_cvt_f32_i32_e32 v140, v144
	v_pk_fma_f32 v[0:1], v[4:5], v[0:1], v[2:3]
	v_mov_b32_e32 v135, 0
	v_pk_add_f32 v[60:61], v[60:61], v[0:1]
	ds_read_b128 v[0:3], v43 offset:6144
	ds_read_b128 v[4:7], v43 offset:6160
	ds_read2_b32 v[40:41], v42 offset0:192 offset1:224
	v_pk_fma_f32 v[136:137], v[140:141], v[136:137], v[138:139]
	v_mov_b32_e32 v139, 0
	v_pk_add_f32 v[62:63], v[62:63], v[136:137]
	v_mov_b32_e32 v137, 0
	v_mov_b32_e32 v141, 0
	s_waitcnt lgkmcnt(2)
	v_dot4c_i32_i8_e32 v135, v26, v0
	v_dot4c_i32_i8_e32 v137, v14, v0
	;; [unrolled: 1-line block ×4, first 2 shown]
	s_waitcnt lgkmcnt(1)
	v_dot4c_i32_i8_e32 v135, v27, v4
	v_dot4c_i32_i8_e32 v137, v15, v4
	;; [unrolled: 1-line block ×28, first 2 shown]
	ds_read_b128 v[0:3], v43 offset:7168
	ds_read_b128 v[4:7], v43 offset:7184
	v_mov_b32_e32 v142, 0
	s_waitcnt lgkmcnt(2)
	v_pk_mul_f16 v136, v134, v40
	v_pk_mul_f16 v138, v51, v40
	s_waitcnt lgkmcnt(1)
	v_dot4c_i32_i8_e32 v142, v26, v0
	s_waitcnt lgkmcnt(0)
	v_dot4c_i32_i8_e32 v142, v27, v4
	v_dot4c_i32_i8_e32 v142, v32, v1
	;; [unrolled: 1-line block ×7, first 2 shown]
	v_pk_mul_f16 v32, v134, v41
	v_cvt_f32_f16_e32 v26, v136
	v_cvt_f32_f16_e32 v27, v32
	v_cvt_f32_f16_sdwa v33, v32 dst_sel:DWORD dst_unused:UNUSED_PAD src0_sel:WORD_1
	v_cvt_f32_f16_sdwa v32, v136 dst_sel:DWORD dst_unused:UNUSED_PAD src0_sel:WORD_1
	v_cvt_f32_i32_e32 v37, v142
	v_cvt_f32_i32_e32 v36, v135
	v_pk_mul_f16 v140, v50, v40
	v_pk_mul_f16 v40, v49, v40
	s_add_i32 s0, s0, 4
	v_pk_fma_f32 v[26:27], v[36:37], v[26:27], v[32:33]
	v_add_u32_e32 v48, 4, v48
	v_pk_add_f32 v[58:59], v[58:59], v[26:27]
	v_mov_b32_e32 v26, 0
	v_dot4c_i32_i8_e32 v26, v14, v0
	v_dot4c_i32_i8_e32 v26, v15, v4
	;; [unrolled: 1-line block ×8, first 2 shown]
	v_pk_mul_f16 v22, v51, v41
	v_cvt_f32_f16_e32 v14, v138
	v_cvt_f32_f16_e32 v15, v22
	v_cvt_f32_f16_sdwa v23, v22 dst_sel:DWORD dst_unused:UNUSED_PAD src0_sel:WORD_1
	v_cvt_f32_f16_sdwa v22, v138 dst_sel:DWORD dst_unused:UNUSED_PAD src0_sel:WORD_1
	v_cvt_f32_i32_e32 v27, v26
	v_cvt_f32_i32_e32 v26, v137
	v_add_u32_e32 v47, 4, v47
	v_add_u32_e32 v46, 4, v46
	;; [unrolled: 1-line block ×3, first 2 shown]
	v_pk_fma_f32 v[14:15], v[26:27], v[14:15], v[22:23]
	v_mov_b32_e32 v22, 0
	v_dot4c_i32_i8_e32 v22, v10, v0
	v_dot4c_i32_i8_e32 v22, v11, v4
	;; [unrolled: 1-line block ×7, first 2 shown]
	v_pk_add_f32 v[56:57], v[56:57], v[14:15]
	v_dot4c_i32_i8_e32 v22, v29, v7
	v_pk_mul_f16 v14, v50, v41
	v_cvt_f32_f16_e32 v10, v140
	v_cvt_f32_f16_e32 v11, v14
	v_cvt_f32_f16_sdwa v15, v14 dst_sel:DWORD dst_unused:UNUSED_PAD src0_sel:WORD_1
	v_cvt_f32_f16_sdwa v14, v140 dst_sel:DWORD dst_unused:UNUSED_PAD src0_sel:WORD_1
	v_cvt_f32_i32_e32 v17, v22
	v_cvt_f32_i32_e32 v16, v139
	v_add_u32_e32 v44, 32, v44
	v_add_u32_e32 v43, 32, v43
	;; [unrolled: 1-line block ×3, first 2 shown]
	v_pk_fma_f32 v[10:11], v[16:17], v[10:11], v[14:15]
	s_cmp_lt_u32 s0, 28
	v_pk_add_f32 v[54:55], v[54:55], v[10:11]
	v_mov_b32_e32 v10, 0
	v_dot4c_i32_i8_e32 v10, v8, v0
	v_dot4c_i32_i8_e32 v10, v9, v4
	;; [unrolled: 1-line block ×8, first 2 shown]
	v_pk_mul_f16 v2, v49, v41
	v_cvt_f32_f16_e32 v0, v40
	v_cvt_f32_f16_e32 v1, v2
	v_cvt_f32_f16_sdwa v3, v2 dst_sel:DWORD dst_unused:UNUSED_PAD src0_sel:WORD_1
	v_cvt_f32_f16_sdwa v2, v40 dst_sel:DWORD dst_unused:UNUSED_PAD src0_sel:WORD_1
	v_cvt_f32_i32_e32 v5, v10
	v_cvt_f32_i32_e32 v4, v141
	v_pk_fma_f32 v[0:1], v[4:5], v[0:1], v[2:3]
	s_nop 0
	v_pk_add_f32 v[52:53], v[52:53], v[0:1]
	s_cbranch_scc1 .LBB163_12
; %bb.13:                               ;   in Loop: Header=BB163_7 Depth=1
	s_barrier
	s_branch .LBB163_6
.LBB163_14:
	v_mov_b32_e32 v1, v85
	v_cmp_gt_u32_e32 vcc, s8, v89
	s_and_saveexec_b64 s[0:1], vcc
	s_cbranch_execz .LBB163_3
.LBB163_15:
	v_add_u32_e32 v0, s4, v81
	v_mul_lo_u32 v5, v89, s10
	v_cmp_gt_u32_e64 s[0:1], s10, v0
	s_and_saveexec_b64 s[2:3], s[0:1]
	s_cbranch_execz .LBB163_17
; %bb.16:
	v_bfe_u32 v2, v92, 16, 1
	s_movk_i32 s4, 0x7fff
	v_add3_u32 v2, v92, v2, s4
	v_cmp_o_f32_e32 vcc, v92, v92
	v_mov_b32_e32 v3, 0x7fc0
	s_nop 0
	v_cndmask_b32_sdwa v4, v3, v2, vcc dst_sel:DWORD dst_unused:UNUSED_PAD src0_sel:DWORD src1_sel:WORD_1
	v_add_u32_e32 v2, v0, v5
	v_mov_b32_e32 v3, 0
	s_waitcnt lgkmcnt(0)
	v_lshl_add_u64 v[2:3], v[2:3], 1, s[12:13]
	global_store_short v[2:3], v4, off
.LBB163_17:
	s_or_b64 exec, exec, s[2:3]
	v_add_u32_e32 v2, 32, v0
	v_cmp_gt_u32_e64 s[2:3], s10, v2
	s_and_saveexec_b64 s[4:5], s[2:3]
	s_cbranch_execz .LBB163_19
; %bb.18:
	v_bfe_u32 v3, v86, 16, 1
	s_movk_i32 s6, 0x7fff
	v_add3_u32 v3, v86, v3, s6
	v_cmp_o_f32_e32 vcc, v86, v86
	v_mov_b32_e32 v4, 0x7fc0
	v_add_u32_e32 v6, v2, v5
	v_mov_b32_e32 v7, 0
	v_cndmask_b32_sdwa v3, v4, v3, vcc dst_sel:DWORD dst_unused:UNUSED_PAD src0_sel:DWORD src1_sel:WORD_1
	s_waitcnt lgkmcnt(0)
	v_lshl_add_u64 v[6:7], v[6:7], 1, s[12:13]
	global_store_short v[6:7], v3, off
.LBB163_19:
	s_or_b64 exec, exec, s[4:5]
	v_add_u32_e32 v3, 64, v0
	v_cmp_gt_u32_e64 s[4:5], s10, v3
	s_and_saveexec_b64 s[6:7], s[4:5]
	s_cbranch_execz .LBB163_21
; %bb.20:
	v_bfe_u32 v4, v78, 16, 1
	s_movk_i32 s9, 0x7fff
	v_add3_u32 v4, v78, v4, s9
	v_cmp_o_f32_e32 vcc, v78, v78
	v_mov_b32_e32 v6, 0x7fc0
	v_mov_b32_e32 v7, 0
	v_cndmask_b32_sdwa v4, v6, v4, vcc dst_sel:DWORD dst_unused:UNUSED_PAD src0_sel:DWORD src1_sel:WORD_1
	v_add_u32_e32 v6, v3, v5
	s_waitcnt lgkmcnt(0)
	v_lshl_add_u64 v[6:7], v[6:7], 1, s[12:13]
	global_store_short v[6:7], v4, off
.LBB163_21:
	s_or_b64 exec, exec, s[6:7]
	v_add_u32_e32 v4, 0x60, v0
	v_cmp_gt_u32_e64 s[6:7], s10, v4
	s_and_saveexec_b64 s[14:15], s[6:7]
	s_cbranch_execz .LBB163_23
; %bb.22:
	v_bfe_u32 v6, v76, 16, 1
	s_movk_i32 s9, 0x7fff
	v_add3_u32 v6, v76, v6, s9
	v_cmp_o_f32_e32 vcc, v76, v76
	v_mov_b32_e32 v7, 0x7fc0
	s_nop 0
	v_cndmask_b32_sdwa v8, v7, v6, vcc dst_sel:DWORD dst_unused:UNUSED_PAD src0_sel:DWORD src1_sel:WORD_1
	v_add_u32_e32 v6, v4, v5
	v_mov_b32_e32 v7, 0
	s_waitcnt lgkmcnt(0)
	v_lshl_add_u64 v[6:7], v[6:7], 1, s[12:13]
	global_store_short v[6:7], v8, off
.LBB163_23:
	s_or_b64 exec, exec, s[14:15]
	v_add3_u32 v5, v1, s11, 8
	v_cmp_gt_u32_e32 vcc, s8, v5
	s_and_b64 exec, exec, vcc
	s_cbranch_execz .LBB163_3
; %bb.24:
	v_mul_lo_u32 v5, v5, s10
	s_and_saveexec_b64 s[14:15], s[0:1]
	s_cbranch_execnz .LBB163_64
; %bb.25:
	s_or_b64 exec, exec, s[14:15]
	s_and_saveexec_b64 s[14:15], s[2:3]
	s_cbranch_execnz .LBB163_65
.LBB163_26:
	s_or_b64 exec, exec, s[14:15]
	s_and_saveexec_b64 s[14:15], s[4:5]
	s_cbranch_execnz .LBB163_66
.LBB163_27:
	s_or_b64 exec, exec, s[14:15]
	s_and_saveexec_b64 s[14:15], s[6:7]
	s_cbranch_execz .LBB163_29
.LBB163_28:
	v_bfe_u32 v6, v77, 16, 1
	s_movk_i32 s9, 0x7fff
	v_add3_u32 v6, v77, v6, s9
	v_cmp_o_f32_e32 vcc, v77, v77
	v_mov_b32_e32 v7, 0x7fc0
	s_nop 0
	v_cndmask_b32_sdwa v8, v7, v6, vcc dst_sel:DWORD dst_unused:UNUSED_PAD src0_sel:DWORD src1_sel:WORD_1
	v_add_u32_e32 v6, v5, v4
	v_mov_b32_e32 v7, 0
	s_waitcnt lgkmcnt(0)
	v_lshl_add_u64 v[6:7], v[6:7], 1, s[12:13]
	global_store_short v[6:7], v8, off
.LBB163_29:
	s_or_b64 exec, exec, s[14:15]
	v_add3_u32 v5, v1, s11, 16
	v_cmp_gt_u32_e32 vcc, s8, v5
	s_and_b64 exec, exec, vcc
	s_cbranch_execz .LBB163_3
; %bb.30:
	v_mul_lo_u32 v5, v5, s10
	s_and_saveexec_b64 s[14:15], s[0:1]
	s_cbranch_execnz .LBB163_67
; %bb.31:
	s_or_b64 exec, exec, s[14:15]
	s_and_saveexec_b64 s[14:15], s[2:3]
	s_cbranch_execnz .LBB163_68
.LBB163_32:
	s_or_b64 exec, exec, s[14:15]
	s_and_saveexec_b64 s[14:15], s[4:5]
	s_cbranch_execnz .LBB163_69
.LBB163_33:
	s_or_b64 exec, exec, s[14:15]
	s_and_saveexec_b64 s[14:15], s[6:7]
	s_cbranch_execz .LBB163_35
.LBB163_34:
	v_bfe_u32 v6, v68, 16, 1
	s_movk_i32 s9, 0x7fff
	v_add3_u32 v6, v68, v6, s9
	v_cmp_o_f32_e32 vcc, v68, v68
	v_mov_b32_e32 v7, 0x7fc0
	s_nop 0
	v_cndmask_b32_sdwa v8, v7, v6, vcc dst_sel:DWORD dst_unused:UNUSED_PAD src0_sel:DWORD src1_sel:WORD_1
	v_add_u32_e32 v6, v5, v4
	v_mov_b32_e32 v7, 0
	s_waitcnt lgkmcnt(0)
	v_lshl_add_u64 v[6:7], v[6:7], 1, s[12:13]
	global_store_short v[6:7], v8, off
.LBB163_35:
	s_or_b64 exec, exec, s[14:15]
	v_add3_u32 v5, v1, s11, 24
	v_cmp_gt_u32_e32 vcc, s8, v5
	s_and_b64 exec, exec, vcc
	s_cbranch_execz .LBB163_3
; %bb.36:
	v_mul_lo_u32 v5, v5, s10
	s_and_saveexec_b64 s[14:15], s[0:1]
	s_cbranch_execnz .LBB163_70
; %bb.37:
	s_or_b64 exec, exec, s[14:15]
	s_and_saveexec_b64 s[14:15], s[2:3]
	s_cbranch_execnz .LBB163_71
.LBB163_38:
	s_or_b64 exec, exec, s[14:15]
	s_and_saveexec_b64 s[14:15], s[4:5]
	s_cbranch_execnz .LBB163_72
.LBB163_39:
	s_or_b64 exec, exec, s[14:15]
	s_and_saveexec_b64 s[14:15], s[6:7]
	s_cbranch_execz .LBB163_41
.LBB163_40:
	v_bfe_u32 v6, v69, 16, 1
	s_movk_i32 s9, 0x7fff
	v_add3_u32 v6, v69, v6, s9
	v_cmp_o_f32_e32 vcc, v69, v69
	v_mov_b32_e32 v7, 0x7fc0
	s_nop 0
	v_cndmask_b32_sdwa v8, v7, v6, vcc dst_sel:DWORD dst_unused:UNUSED_PAD src0_sel:DWORD src1_sel:WORD_1
	v_add_u32_e32 v6, v5, v4
	v_mov_b32_e32 v7, 0
	s_waitcnt lgkmcnt(0)
	v_lshl_add_u64 v[6:7], v[6:7], 1, s[12:13]
	global_store_short v[6:7], v8, off
.LBB163_41:
	s_or_b64 exec, exec, s[14:15]
	v_add3_u32 v5, v1, s11, 32
	v_cmp_gt_u32_e32 vcc, s8, v5
	s_and_b64 exec, exec, vcc
	s_cbranch_execz .LBB163_3
; %bb.42:
	v_mul_lo_u32 v5, v5, s10
	s_and_saveexec_b64 s[14:15], s[0:1]
	s_cbranch_execnz .LBB163_73
; %bb.43:
	s_or_b64 exec, exec, s[14:15]
	s_and_saveexec_b64 s[14:15], s[2:3]
	s_cbranch_execnz .LBB163_74
.LBB163_44:
	s_or_b64 exec, exec, s[14:15]
	s_and_saveexec_b64 s[14:15], s[4:5]
	s_cbranch_execnz .LBB163_75
.LBB163_45:
	s_or_b64 exec, exec, s[14:15]
	s_and_saveexec_b64 s[14:15], s[6:7]
	s_cbranch_execz .LBB163_47
.LBB163_46:
	v_bfe_u32 v6, v60, 16, 1
	s_movk_i32 s9, 0x7fff
	v_add3_u32 v6, v60, v6, s9
	v_cmp_o_f32_e32 vcc, v60, v60
	v_mov_b32_e32 v7, 0x7fc0
	s_nop 0
	v_cndmask_b32_sdwa v8, v7, v6, vcc dst_sel:DWORD dst_unused:UNUSED_PAD src0_sel:DWORD src1_sel:WORD_1
	v_add_u32_e32 v6, v5, v4
	v_mov_b32_e32 v7, 0
	s_waitcnt lgkmcnt(0)
	v_lshl_add_u64 v[6:7], v[6:7], 1, s[12:13]
	global_store_short v[6:7], v8, off
.LBB163_47:
	s_or_b64 exec, exec, s[14:15]
	v_add3_u32 v5, v1, s11, 40
	v_cmp_gt_u32_e32 vcc, s8, v5
	s_and_b64 exec, exec, vcc
	s_cbranch_execz .LBB163_3
; %bb.48:
	v_mul_lo_u32 v5, v5, s10
	s_and_saveexec_b64 s[14:15], s[0:1]
	s_cbranch_execnz .LBB163_76
; %bb.49:
	s_or_b64 exec, exec, s[14:15]
	s_and_saveexec_b64 s[14:15], s[2:3]
	s_cbranch_execnz .LBB163_77
.LBB163_50:
	s_or_b64 exec, exec, s[14:15]
	s_and_saveexec_b64 s[14:15], s[4:5]
	s_cbranch_execnz .LBB163_78
.LBB163_51:
	s_or_b64 exec, exec, s[14:15]
	s_and_saveexec_b64 s[14:15], s[6:7]
	s_cbranch_execz .LBB163_53
.LBB163_52:
	v_bfe_u32 v6, v61, 16, 1
	s_movk_i32 s9, 0x7fff
	v_add3_u32 v6, v61, v6, s9
	v_cmp_o_f32_e32 vcc, v61, v61
	v_mov_b32_e32 v7, 0x7fc0
	s_nop 0
	v_cndmask_b32_sdwa v8, v7, v6, vcc dst_sel:DWORD dst_unused:UNUSED_PAD src0_sel:DWORD src1_sel:WORD_1
	v_add_u32_e32 v6, v5, v4
	v_mov_b32_e32 v7, 0
	s_waitcnt lgkmcnt(0)
	v_lshl_add_u64 v[6:7], v[6:7], 1, s[12:13]
	global_store_short v[6:7], v8, off
.LBB163_53:
	s_or_b64 exec, exec, s[14:15]
	v_add3_u32 v5, v1, s11, 48
	v_cmp_gt_u32_e32 vcc, s8, v5
	s_and_b64 exec, exec, vcc
	s_cbranch_execz .LBB163_3
; %bb.54:
	v_mul_lo_u32 v5, v5, s10
	s_and_saveexec_b64 s[14:15], s[0:1]
	s_cbranch_execnz .LBB163_79
; %bb.55:
	s_or_b64 exec, exec, s[14:15]
	s_and_saveexec_b64 s[14:15], s[2:3]
	s_cbranch_execnz .LBB163_80
.LBB163_56:
	s_or_b64 exec, exec, s[14:15]
	s_and_saveexec_b64 s[14:15], s[4:5]
	s_cbranch_execnz .LBB163_81
.LBB163_57:
	s_or_b64 exec, exec, s[14:15]
	s_and_saveexec_b64 s[14:15], s[6:7]
	s_cbranch_execz .LBB163_59
.LBB163_58:
	v_bfe_u32 v6, v52, 16, 1
	s_movk_i32 s9, 0x7fff
	v_add3_u32 v6, v52, v6, s9
	v_cmp_o_f32_e32 vcc, v52, v52
	v_mov_b32_e32 v7, 0x7fc0
	s_nop 0
	v_cndmask_b32_sdwa v8, v7, v6, vcc dst_sel:DWORD dst_unused:UNUSED_PAD src0_sel:DWORD src1_sel:WORD_1
	v_add_u32_e32 v6, v5, v4
	v_mov_b32_e32 v7, 0
	s_waitcnt lgkmcnt(0)
	v_lshl_add_u64 v[6:7], v[6:7], 1, s[12:13]
	global_store_short v[6:7], v8, off
.LBB163_59:
	s_or_b64 exec, exec, s[14:15]
	v_add3_u32 v1, v1, s11, 56
	v_cmp_gt_u32_e32 vcc, s8, v1
	s_and_b64 exec, exec, vcc
	s_cbranch_execz .LBB163_3
; %bb.60:
	v_mul_lo_u32 v1, v1, s10
	s_and_saveexec_b64 s[8:9], s[0:1]
	s_cbranch_execnz .LBB163_82
; %bb.61:
	s_or_b64 exec, exec, s[8:9]
	s_and_saveexec_b64 s[0:1], s[2:3]
	s_cbranch_execnz .LBB163_83
.LBB163_62:
	s_or_b64 exec, exec, s[0:1]
	s_and_saveexec_b64 s[0:1], s[4:5]
	s_cbranch_execnz .LBB163_84
.LBB163_63:
	s_or_b64 exec, exec, s[0:1]
	s_and_b64 exec, exec, s[6:7]
	s_cbranch_execz .LBB163_3
	s_branch .LBB163_85
.LBB163_64:
	v_bfe_u32 v6, v93, 16, 1
	s_movk_i32 s9, 0x7fff
	v_add3_u32 v6, v93, v6, s9
	v_cmp_o_f32_e32 vcc, v93, v93
	v_mov_b32_e32 v7, 0x7fc0
	s_nop 0
	v_cndmask_b32_sdwa v8, v7, v6, vcc dst_sel:DWORD dst_unused:UNUSED_PAD src0_sel:DWORD src1_sel:WORD_1
	v_add_u32_e32 v6, v5, v0
	v_mov_b32_e32 v7, 0
	s_waitcnt lgkmcnt(0)
	v_lshl_add_u64 v[6:7], v[6:7], 1, s[12:13]
	global_store_short v[6:7], v8, off
	s_or_b64 exec, exec, s[14:15]
	s_and_saveexec_b64 s[14:15], s[2:3]
	s_cbranch_execz .LBB163_26
.LBB163_65:
	v_bfe_u32 v6, v87, 16, 1
	s_movk_i32 s9, 0x7fff
	v_add3_u32 v6, v87, v6, s9
	v_cmp_o_f32_e32 vcc, v87, v87
	v_mov_b32_e32 v7, 0x7fc0
	s_nop 0
	v_cndmask_b32_sdwa v8, v7, v6, vcc dst_sel:DWORD dst_unused:UNUSED_PAD src0_sel:DWORD src1_sel:WORD_1
	v_add_u32_e32 v6, v5, v2
	v_mov_b32_e32 v7, 0
	s_waitcnt lgkmcnt(0)
	v_lshl_add_u64 v[6:7], v[6:7], 1, s[12:13]
	global_store_short v[6:7], v8, off
	s_or_b64 exec, exec, s[14:15]
	s_and_saveexec_b64 s[14:15], s[4:5]
	s_cbranch_execz .LBB163_27
.LBB163_66:
	v_bfe_u32 v6, v79, 16, 1
	s_movk_i32 s9, 0x7fff
	v_add3_u32 v6, v79, v6, s9
	v_cmp_o_f32_e32 vcc, v79, v79
	v_mov_b32_e32 v7, 0x7fc0
	s_nop 0
	v_cndmask_b32_sdwa v8, v7, v6, vcc dst_sel:DWORD dst_unused:UNUSED_PAD src0_sel:DWORD src1_sel:WORD_1
	v_add_u32_e32 v6, v5, v3
	v_mov_b32_e32 v7, 0
	s_waitcnt lgkmcnt(0)
	v_lshl_add_u64 v[6:7], v[6:7], 1, s[12:13]
	global_store_short v[6:7], v8, off
	s_or_b64 exec, exec, s[14:15]
	s_and_saveexec_b64 s[14:15], s[6:7]
	s_cbranch_execnz .LBB163_28
	s_branch .LBB163_29
.LBB163_67:
	v_bfe_u32 v6, v74, 16, 1
	s_movk_i32 s9, 0x7fff
	v_add3_u32 v6, v74, v6, s9
	v_cmp_o_f32_e32 vcc, v74, v74
	v_mov_b32_e32 v7, 0x7fc0
	s_nop 0
	v_cndmask_b32_sdwa v8, v7, v6, vcc dst_sel:DWORD dst_unused:UNUSED_PAD src0_sel:DWORD src1_sel:WORD_1
	v_add_u32_e32 v6, v5, v0
	v_mov_b32_e32 v7, 0
	s_waitcnt lgkmcnt(0)
	v_lshl_add_u64 v[6:7], v[6:7], 1, s[12:13]
	global_store_short v[6:7], v8, off
	s_or_b64 exec, exec, s[14:15]
	s_and_saveexec_b64 s[14:15], s[2:3]
	s_cbranch_execz .LBB163_32
.LBB163_68:
	v_bfe_u32 v6, v72, 16, 1
	s_movk_i32 s9, 0x7fff
	v_add3_u32 v6, v72, v6, s9
	v_cmp_o_f32_e32 vcc, v72, v72
	v_mov_b32_e32 v7, 0x7fc0
	s_nop 0
	v_cndmask_b32_sdwa v8, v7, v6, vcc dst_sel:DWORD dst_unused:UNUSED_PAD src0_sel:DWORD src1_sel:WORD_1
	v_add_u32_e32 v6, v5, v2
	v_mov_b32_e32 v7, 0
	s_waitcnt lgkmcnt(0)
	v_lshl_add_u64 v[6:7], v[6:7], 1, s[12:13]
	global_store_short v[6:7], v8, off
	s_or_b64 exec, exec, s[14:15]
	s_and_saveexec_b64 s[14:15], s[4:5]
	s_cbranch_execz .LBB163_33
.LBB163_69:
	v_bfe_u32 v6, v70, 16, 1
	s_movk_i32 s9, 0x7fff
	v_add3_u32 v6, v70, v6, s9
	v_cmp_o_f32_e32 vcc, v70, v70
	v_mov_b32_e32 v7, 0x7fc0
	s_nop 0
	v_cndmask_b32_sdwa v8, v7, v6, vcc dst_sel:DWORD dst_unused:UNUSED_PAD src0_sel:DWORD src1_sel:WORD_1
	v_add_u32_e32 v6, v5, v3
	v_mov_b32_e32 v7, 0
	s_waitcnt lgkmcnt(0)
	v_lshl_add_u64 v[6:7], v[6:7], 1, s[12:13]
	global_store_short v[6:7], v8, off
	s_or_b64 exec, exec, s[14:15]
	s_and_saveexec_b64 s[14:15], s[6:7]
	s_cbranch_execnz .LBB163_34
	s_branch .LBB163_35
.LBB163_70:
	v_bfe_u32 v6, v75, 16, 1
	s_movk_i32 s9, 0x7fff
	v_add3_u32 v6, v75, v6, s9
	v_cmp_o_f32_e32 vcc, v75, v75
	v_mov_b32_e32 v7, 0x7fc0
	s_nop 0
	v_cndmask_b32_sdwa v8, v7, v6, vcc dst_sel:DWORD dst_unused:UNUSED_PAD src0_sel:DWORD src1_sel:WORD_1
	v_add_u32_e32 v6, v5, v0
	v_mov_b32_e32 v7, 0
	s_waitcnt lgkmcnt(0)
	v_lshl_add_u64 v[6:7], v[6:7], 1, s[12:13]
	global_store_short v[6:7], v8, off
	s_or_b64 exec, exec, s[14:15]
	s_and_saveexec_b64 s[14:15], s[2:3]
	s_cbranch_execz .LBB163_38
.LBB163_71:
	v_bfe_u32 v6, v73, 16, 1
	s_movk_i32 s9, 0x7fff
	v_add3_u32 v6, v73, v6, s9
	v_cmp_o_f32_e32 vcc, v73, v73
	v_mov_b32_e32 v7, 0x7fc0
	s_nop 0
	v_cndmask_b32_sdwa v8, v7, v6, vcc dst_sel:DWORD dst_unused:UNUSED_PAD src0_sel:DWORD src1_sel:WORD_1
	v_add_u32_e32 v6, v5, v2
	v_mov_b32_e32 v7, 0
	s_waitcnt lgkmcnt(0)
	v_lshl_add_u64 v[6:7], v[6:7], 1, s[12:13]
	global_store_short v[6:7], v8, off
	s_or_b64 exec, exec, s[14:15]
	s_and_saveexec_b64 s[14:15], s[4:5]
	s_cbranch_execz .LBB163_39
.LBB163_72:
	v_bfe_u32 v6, v71, 16, 1
	s_movk_i32 s9, 0x7fff
	v_add3_u32 v6, v71, v6, s9
	v_cmp_o_f32_e32 vcc, v71, v71
	v_mov_b32_e32 v7, 0x7fc0
	s_nop 0
	v_cndmask_b32_sdwa v8, v7, v6, vcc dst_sel:DWORD dst_unused:UNUSED_PAD src0_sel:DWORD src1_sel:WORD_1
	v_add_u32_e32 v6, v5, v3
	v_mov_b32_e32 v7, 0
	s_waitcnt lgkmcnt(0)
	v_lshl_add_u64 v[6:7], v[6:7], 1, s[12:13]
	global_store_short v[6:7], v8, off
	s_or_b64 exec, exec, s[14:15]
	s_and_saveexec_b64 s[14:15], s[6:7]
	s_cbranch_execnz .LBB163_40
	s_branch .LBB163_41
.LBB163_73:
	v_bfe_u32 v6, v66, 16, 1
	s_movk_i32 s9, 0x7fff
	v_add3_u32 v6, v66, v6, s9
	v_cmp_o_f32_e32 vcc, v66, v66
	v_mov_b32_e32 v7, 0x7fc0
	s_nop 0
	v_cndmask_b32_sdwa v8, v7, v6, vcc dst_sel:DWORD dst_unused:UNUSED_PAD src0_sel:DWORD src1_sel:WORD_1
	v_add_u32_e32 v6, v5, v0
	v_mov_b32_e32 v7, 0
	s_waitcnt lgkmcnt(0)
	v_lshl_add_u64 v[6:7], v[6:7], 1, s[12:13]
	global_store_short v[6:7], v8, off
	s_or_b64 exec, exec, s[14:15]
	s_and_saveexec_b64 s[14:15], s[2:3]
	s_cbranch_execz .LBB163_44
.LBB163_74:
	v_bfe_u32 v6, v64, 16, 1
	s_movk_i32 s9, 0x7fff
	v_add3_u32 v6, v64, v6, s9
	v_cmp_o_f32_e32 vcc, v64, v64
	v_mov_b32_e32 v7, 0x7fc0
	s_nop 0
	v_cndmask_b32_sdwa v8, v7, v6, vcc dst_sel:DWORD dst_unused:UNUSED_PAD src0_sel:DWORD src1_sel:WORD_1
	v_add_u32_e32 v6, v5, v2
	v_mov_b32_e32 v7, 0
	s_waitcnt lgkmcnt(0)
	v_lshl_add_u64 v[6:7], v[6:7], 1, s[12:13]
	global_store_short v[6:7], v8, off
	s_or_b64 exec, exec, s[14:15]
	s_and_saveexec_b64 s[14:15], s[4:5]
	s_cbranch_execz .LBB163_45
.LBB163_75:
	v_bfe_u32 v6, v62, 16, 1
	s_movk_i32 s9, 0x7fff
	v_add3_u32 v6, v62, v6, s9
	v_cmp_o_f32_e32 vcc, v62, v62
	v_mov_b32_e32 v7, 0x7fc0
	s_nop 0
	v_cndmask_b32_sdwa v8, v7, v6, vcc dst_sel:DWORD dst_unused:UNUSED_PAD src0_sel:DWORD src1_sel:WORD_1
	v_add_u32_e32 v6, v5, v3
	v_mov_b32_e32 v7, 0
	s_waitcnt lgkmcnt(0)
	v_lshl_add_u64 v[6:7], v[6:7], 1, s[12:13]
	global_store_short v[6:7], v8, off
	s_or_b64 exec, exec, s[14:15]
	s_and_saveexec_b64 s[14:15], s[6:7]
	s_cbranch_execnz .LBB163_46
	s_branch .LBB163_47
.LBB163_76:
	v_bfe_u32 v6, v67, 16, 1
	s_movk_i32 s9, 0x7fff
	v_add3_u32 v6, v67, v6, s9
	v_cmp_o_f32_e32 vcc, v67, v67
	v_mov_b32_e32 v7, 0x7fc0
	s_nop 0
	v_cndmask_b32_sdwa v8, v7, v6, vcc dst_sel:DWORD dst_unused:UNUSED_PAD src0_sel:DWORD src1_sel:WORD_1
	v_add_u32_e32 v6, v5, v0
	v_mov_b32_e32 v7, 0
	s_waitcnt lgkmcnt(0)
	v_lshl_add_u64 v[6:7], v[6:7], 1, s[12:13]
	global_store_short v[6:7], v8, off
	s_or_b64 exec, exec, s[14:15]
	s_and_saveexec_b64 s[14:15], s[2:3]
	s_cbranch_execz .LBB163_50
.LBB163_77:
	v_bfe_u32 v6, v65, 16, 1
	s_movk_i32 s9, 0x7fff
	v_add3_u32 v6, v65, v6, s9
	v_cmp_o_f32_e32 vcc, v65, v65
	v_mov_b32_e32 v7, 0x7fc0
	s_nop 0
	v_cndmask_b32_sdwa v8, v7, v6, vcc dst_sel:DWORD dst_unused:UNUSED_PAD src0_sel:DWORD src1_sel:WORD_1
	v_add_u32_e32 v6, v5, v2
	v_mov_b32_e32 v7, 0
	s_waitcnt lgkmcnt(0)
	v_lshl_add_u64 v[6:7], v[6:7], 1, s[12:13]
	global_store_short v[6:7], v8, off
	s_or_b64 exec, exec, s[14:15]
	s_and_saveexec_b64 s[14:15], s[4:5]
	s_cbranch_execz .LBB163_51
.LBB163_78:
	v_bfe_u32 v6, v63, 16, 1
	s_movk_i32 s9, 0x7fff
	v_add3_u32 v6, v63, v6, s9
	v_cmp_o_f32_e32 vcc, v63, v63
	v_mov_b32_e32 v7, 0x7fc0
	s_nop 0
	v_cndmask_b32_sdwa v8, v7, v6, vcc dst_sel:DWORD dst_unused:UNUSED_PAD src0_sel:DWORD src1_sel:WORD_1
	v_add_u32_e32 v6, v5, v3
	v_mov_b32_e32 v7, 0
	s_waitcnt lgkmcnt(0)
	v_lshl_add_u64 v[6:7], v[6:7], 1, s[12:13]
	global_store_short v[6:7], v8, off
	s_or_b64 exec, exec, s[14:15]
	s_and_saveexec_b64 s[14:15], s[6:7]
	s_cbranch_execnz .LBB163_52
	s_branch .LBB163_53
.LBB163_79:
	v_bfe_u32 v6, v58, 16, 1
	s_movk_i32 s9, 0x7fff
	v_add3_u32 v6, v58, v6, s9
	v_cmp_o_f32_e32 vcc, v58, v58
	v_mov_b32_e32 v7, 0x7fc0
	s_nop 0
	v_cndmask_b32_sdwa v8, v7, v6, vcc dst_sel:DWORD dst_unused:UNUSED_PAD src0_sel:DWORD src1_sel:WORD_1
	v_add_u32_e32 v6, v5, v0
	v_mov_b32_e32 v7, 0
	s_waitcnt lgkmcnt(0)
	v_lshl_add_u64 v[6:7], v[6:7], 1, s[12:13]
	global_store_short v[6:7], v8, off
	s_or_b64 exec, exec, s[14:15]
	s_and_saveexec_b64 s[14:15], s[2:3]
	s_cbranch_execz .LBB163_56
.LBB163_80:
	v_bfe_u32 v6, v56, 16, 1
	s_movk_i32 s9, 0x7fff
	v_add3_u32 v6, v56, v6, s9
	v_cmp_o_f32_e32 vcc, v56, v56
	v_mov_b32_e32 v7, 0x7fc0
	s_nop 0
	v_cndmask_b32_sdwa v8, v7, v6, vcc dst_sel:DWORD dst_unused:UNUSED_PAD src0_sel:DWORD src1_sel:WORD_1
	v_add_u32_e32 v6, v5, v2
	v_mov_b32_e32 v7, 0
	s_waitcnt lgkmcnt(0)
	v_lshl_add_u64 v[6:7], v[6:7], 1, s[12:13]
	global_store_short v[6:7], v8, off
	s_or_b64 exec, exec, s[14:15]
	s_and_saveexec_b64 s[14:15], s[4:5]
	s_cbranch_execz .LBB163_57
.LBB163_81:
	v_bfe_u32 v6, v54, 16, 1
	s_movk_i32 s9, 0x7fff
	v_add3_u32 v6, v54, v6, s9
	v_cmp_o_f32_e32 vcc, v54, v54
	v_mov_b32_e32 v7, 0x7fc0
	s_nop 0
	v_cndmask_b32_sdwa v8, v7, v6, vcc dst_sel:DWORD dst_unused:UNUSED_PAD src0_sel:DWORD src1_sel:WORD_1
	v_add_u32_e32 v6, v5, v3
	v_mov_b32_e32 v7, 0
	s_waitcnt lgkmcnt(0)
	v_lshl_add_u64 v[6:7], v[6:7], 1, s[12:13]
	global_store_short v[6:7], v8, off
	s_or_b64 exec, exec, s[14:15]
	s_and_saveexec_b64 s[14:15], s[6:7]
	s_cbranch_execnz .LBB163_58
	s_branch .LBB163_59
.LBB163_82:
	v_bfe_u32 v5, v59, 16, 1
	s_movk_i32 s0, 0x7fff
	v_add3_u32 v5, v59, v5, s0
	v_cmp_o_f32_e32 vcc, v59, v59
	v_mov_b32_e32 v6, 0x7fc0
	v_mov_b32_e32 v7, 0
	v_cndmask_b32_sdwa v5, v6, v5, vcc dst_sel:DWORD dst_unused:UNUSED_PAD src0_sel:DWORD src1_sel:WORD_1
	v_add_u32_e32 v6, v1, v0
	s_waitcnt lgkmcnt(0)
	v_lshl_add_u64 v[6:7], v[6:7], 1, s[12:13]
	global_store_short v[6:7], v5, off
	s_or_b64 exec, exec, s[8:9]
	s_and_saveexec_b64 s[0:1], s[2:3]
	s_cbranch_execz .LBB163_62
.LBB163_83:
	v_bfe_u32 v0, v57, 16, 1
	s_movk_i32 s2, 0x7fff
	v_add3_u32 v0, v57, v0, s2
	v_cmp_o_f32_e32 vcc, v57, v57
	v_mov_b32_e32 v5, 0x7fc0
	v_add_u32_e32 v6, v1, v2
	v_mov_b32_e32 v7, 0
	v_cndmask_b32_sdwa v0, v5, v0, vcc dst_sel:DWORD dst_unused:UNUSED_PAD src0_sel:DWORD src1_sel:WORD_1
	s_waitcnt lgkmcnt(0)
	v_lshl_add_u64 v[6:7], v[6:7], 1, s[12:13]
	global_store_short v[6:7], v0, off
	s_or_b64 exec, exec, s[0:1]
	s_and_saveexec_b64 s[0:1], s[4:5]
	s_cbranch_execz .LBB163_63
.LBB163_84:
	v_bfe_u32 v0, v55, 16, 1
	s_movk_i32 s2, 0x7fff
	v_add3_u32 v0, v55, v0, s2
	v_cmp_o_f32_e32 vcc, v55, v55
	v_mov_b32_e32 v2, 0x7fc0
	s_nop 0
	v_cndmask_b32_sdwa v0, v2, v0, vcc dst_sel:DWORD dst_unused:UNUSED_PAD src0_sel:DWORD src1_sel:WORD_1
	v_add_u32_e32 v2, v1, v3
	v_mov_b32_e32 v3, 0
	s_waitcnt lgkmcnt(0)
	v_lshl_add_u64 v[2:3], v[2:3], 1, s[12:13]
	global_store_short v[2:3], v0, off
	s_or_b64 exec, exec, s[0:1]
	s_and_b64 exec, exec, s[6:7]
	s_cbranch_execz .LBB163_3
.LBB163_85:
	v_bfe_u32 v0, v53, 16, 1
	s_movk_i32 s0, 0x7fff
	v_add3_u32 v0, v53, v0, s0
	v_cmp_o_f32_e32 vcc, v53, v53
	v_mov_b32_e32 v2, 0x7fc0
	s_nop 0
	v_cndmask_b32_sdwa v2, v2, v0, vcc dst_sel:DWORD dst_unused:UNUSED_PAD src0_sel:DWORD src1_sel:WORD_1
	v_add_u32_e32 v0, v1, v4
	v_mov_b32_e32 v1, 0
	s_waitcnt lgkmcnt(0)
	v_lshl_add_u64 v[0:1], v[0:1], 1, s[12:13]
	global_store_short v[0:1], v2, off
	s_endpgm
	.section	.rodata,"a",@progbits
	.p2align	6, 0x0
	.amdhsa_kernel _ZL12mul_mat_q5_1IN3c108BFloat16ELb0EEvPKvS3_PT_iiiii
		.amdhsa_group_segment_fixed_size 46720
		.amdhsa_private_segment_fixed_size 0
		.amdhsa_kernarg_size 44
		.amdhsa_user_sgpr_count 2
		.amdhsa_user_sgpr_dispatch_ptr 0
		.amdhsa_user_sgpr_queue_ptr 0
		.amdhsa_user_sgpr_kernarg_segment_ptr 1
		.amdhsa_user_sgpr_dispatch_id 0
		.amdhsa_user_sgpr_kernarg_preload_length 0
		.amdhsa_user_sgpr_kernarg_preload_offset 0
		.amdhsa_user_sgpr_private_segment_size 0
		.amdhsa_uses_dynamic_stack 0
		.amdhsa_enable_private_segment 0
		.amdhsa_system_sgpr_workgroup_id_x 1
		.amdhsa_system_sgpr_workgroup_id_y 1
		.amdhsa_system_sgpr_workgroup_id_z 0
		.amdhsa_system_sgpr_workgroup_info 0
		.amdhsa_system_vgpr_workitem_id 1
		.amdhsa_next_free_vgpr 246
		.amdhsa_next_free_sgpr 96
		.amdhsa_accum_offset 248
		.amdhsa_reserve_vcc 1
		.amdhsa_float_round_mode_32 0
		.amdhsa_float_round_mode_16_64 0
		.amdhsa_float_denorm_mode_32 3
		.amdhsa_float_denorm_mode_16_64 3
		.amdhsa_dx10_clamp 1
		.amdhsa_ieee_mode 1
		.amdhsa_fp16_overflow 0
		.amdhsa_tg_split 0
		.amdhsa_exception_fp_ieee_invalid_op 0
		.amdhsa_exception_fp_denorm_src 0
		.amdhsa_exception_fp_ieee_div_zero 0
		.amdhsa_exception_fp_ieee_overflow 0
		.amdhsa_exception_fp_ieee_underflow 0
		.amdhsa_exception_fp_ieee_inexact 0
		.amdhsa_exception_int_div_zero 0
	.end_amdhsa_kernel
	.section	.text._ZL12mul_mat_q5_1IN3c108BFloat16ELb0EEvPKvS3_PT_iiiii,"axG",@progbits,_ZL12mul_mat_q5_1IN3c108BFloat16ELb0EEvPKvS3_PT_iiiii,comdat
.Lfunc_end163:
	.size	_ZL12mul_mat_q5_1IN3c108BFloat16ELb0EEvPKvS3_PT_iiiii, .Lfunc_end163-_ZL12mul_mat_q5_1IN3c108BFloat16ELb0EEvPKvS3_PT_iiiii
                                        ; -- End function
	.set _ZL12mul_mat_q5_1IN3c108BFloat16ELb0EEvPKvS3_PT_iiiii.num_vgpr, 246
	.set _ZL12mul_mat_q5_1IN3c108BFloat16ELb0EEvPKvS3_PT_iiiii.num_agpr, 0
	.set _ZL12mul_mat_q5_1IN3c108BFloat16ELb0EEvPKvS3_PT_iiiii.numbered_sgpr, 18
	.set _ZL12mul_mat_q5_1IN3c108BFloat16ELb0EEvPKvS3_PT_iiiii.num_named_barrier, 0
	.set _ZL12mul_mat_q5_1IN3c108BFloat16ELb0EEvPKvS3_PT_iiiii.private_seg_size, 0
	.set _ZL12mul_mat_q5_1IN3c108BFloat16ELb0EEvPKvS3_PT_iiiii.uses_vcc, 1
	.set _ZL12mul_mat_q5_1IN3c108BFloat16ELb0EEvPKvS3_PT_iiiii.uses_flat_scratch, 0
	.set _ZL12mul_mat_q5_1IN3c108BFloat16ELb0EEvPKvS3_PT_iiiii.has_dyn_sized_stack, 0
	.set _ZL12mul_mat_q5_1IN3c108BFloat16ELb0EEvPKvS3_PT_iiiii.has_recursion, 0
	.set _ZL12mul_mat_q5_1IN3c108BFloat16ELb0EEvPKvS3_PT_iiiii.has_indirect_call, 0
	.section	.AMDGPU.csdata,"",@progbits
; Kernel info:
; codeLenInByte = 13872
; TotalNumSgprs: 24
; NumVgprs: 246
; NumAgprs: 0
; TotalNumVgprs: 246
; ScratchSize: 0
; MemoryBound: 0
; FloatMode: 240
; IeeeMode: 1
; LDSByteSize: 46720 bytes/workgroup (compile time only)
; SGPRBlocks: 12
; VGPRBlocks: 30
; NumSGPRsForWavesPerEU: 102
; NumVGPRsForWavesPerEU: 246
; AccumOffset: 248
; Occupancy: 2
; WaveLimiterHint : 0
; COMPUTE_PGM_RSRC2:SCRATCH_EN: 0
; COMPUTE_PGM_RSRC2:USER_SGPR: 2
; COMPUTE_PGM_RSRC2:TRAP_HANDLER: 0
; COMPUTE_PGM_RSRC2:TGID_X_EN: 1
; COMPUTE_PGM_RSRC2:TGID_Y_EN: 1
; COMPUTE_PGM_RSRC2:TGID_Z_EN: 0
; COMPUTE_PGM_RSRC2:TIDIG_COMP_CNT: 1
; COMPUTE_PGM_RSRC3_GFX90A:ACCUM_OFFSET: 61
; COMPUTE_PGM_RSRC3_GFX90A:TG_SPLIT: 0
	.section	.text._ZL12mul_mat_q5_1IN3c108BFloat16ELb1EEvPKvS3_PT_iiiii,"axG",@progbits,_ZL12mul_mat_q5_1IN3c108BFloat16ELb1EEvPKvS3_PT_iiiii,comdat
	.globl	_ZL12mul_mat_q5_1IN3c108BFloat16ELb1EEvPKvS3_PT_iiiii ; -- Begin function _ZL12mul_mat_q5_1IN3c108BFloat16ELb1EEvPKvS3_PT_iiiii
	.p2align	8
	.type	_ZL12mul_mat_q5_1IN3c108BFloat16ELb1EEvPKvS3_PT_iiiii,@function
_ZL12mul_mat_q5_1IN3c108BFloat16ELb1EEvPKvS3_PT_iiiii: ; @_ZL12mul_mat_q5_1IN3c108BFloat16ELb1EEvPKvS3_PT_iiiii
; %bb.0:
	s_load_dwordx4 s[8:11], s[0:1], 0x18
	s_load_dword s14, s[0:1], 0x28
	s_lshl_b32 s15, s3, 6
	v_bfe_u32 v81, v0, 10, 10
	s_waitcnt lgkmcnt(0)
	s_cmp_gt_i32 s8, 31
	s_cbranch_scc1 .LBB164_4
; %bb.1:
	v_bfe_u32 v1, v0, 10, 10
	v_and_b32_e32 v77, 0x3ff, v0
	v_add_u32_e32 v83, s15, v1
	s_load_dwordx2 s[12:13], s[0:1], 0x10
	s_lshl_b32 s4, s2, 7
	s_cbranch_execz .LBB164_5
; %bb.2:
	v_mov_b32_e32 v52, 0
	v_mov_b32_e32 v53, v52
	v_mov_b64_e32 v[60:61], v[52:53]
	v_mov_b64_e32 v[68:69], v[52:53]
	;; [unrolled: 1-line block ×15, first 2 shown]
	v_cmp_gt_u32_e32 vcc, s10, v83
	s_and_saveexec_b64 s[0:1], vcc
	s_cbranch_execnz .LBB164_15
.LBB164_3:
	s_endpgm
.LBB164_4:
                                        ; implicit-def: $vgpr1
                                        ; implicit-def: $vgpr77
                                        ; implicit-def: $vgpr83
	s_load_dwordx2 s[12:13], s[0:1], 0x10
	s_lshl_b32 s4, s2, 7
.LBB164_5:
	s_ashr_i32 s5, s8, 31
	s_load_dwordx4 s[0:3], s[0:1], 0x0
	s_lshr_b32 s5, s5, 27
	s_ashr_i32 s6, s11, 31
	s_add_i32 s5, s8, s5
	s_lshr_b32 s6, s6, 27
	s_ashr_i32 s5, s5, 5
	s_add_i32 s6, s11, s6
	s_ashr_i32 s11, s6, 5
	s_mul_i32 s6, s5, s4
	s_mul_hi_i32 s7, s6, 24
	s_mul_i32 s6, s6, 24
	s_waitcnt lgkmcnt(0)
	s_add_u32 s6, s0, s6
	s_addc_u32 s7, s1, s7
	s_not_b32 s0, s4
	s_add_i32 s1, s9, s0
	v_and_b32_e32 v77, 0x3ff, v0
	v_min_i32_e32 v1, s1, v81
	v_lshlrev_b32_e32 v4, 3, v77
	s_movk_i32 s0, 0x104
	v_mul_lo_u32 v80, v1, s5
	v_mad_u64_u32 v[82:83], s[8:9], v1, s0, v[4:5]
	v_add_u32_e32 v1, 8, v81
	v_min_i32_e32 v3, s1, v1
	v_add_u32_e32 v8, 16, v81
	v_mul_lo_u32 v86, v3, s5
	v_mad_u64_u32 v[88:89], s[8:9], v3, s0, v[4:5]
	v_min_i32_e32 v3, s1, v8
	v_add_u32_e32 v9, 24, v81
	v_mul_lo_u32 v90, v3, s5
	v_mad_u64_u32 v[92:93], s[8:9], v3, s0, v[4:5]
	;; [unrolled: 4-line block ×6, first 2 shown]
	v_min_i32_e32 v3, s1, v13
	v_mul_lo_u32 v112, v3, s5
	v_mad_u64_u32 v[114:115], s[8:9], v3, s0, v[4:5]
	v_add_u32_e32 v3, 64, v81
	v_min_i32_e32 v3, s1, v3
	v_mul_lo_u32 v116, v3, s5
	v_mad_u64_u32 v[118:119], s[8:9], v3, s0, v[4:5]
	v_add_u32_e32 v3, 0x48, v81
	;; [unrolled: 4-line block ×8, first 2 shown]
	v_min_i32_e32 v3, s1, v3
	v_bfe_u32 v87, v0, 3, 7
	v_mul_lo_u32 v148, v3, s5
	v_mad_u64_u32 v[150:151], s[8:9], v3, s0, v[4:5]
	v_lshl_add_u32 v3, v81, 2, v87
	v_min_i32_e32 v4, s1, v3
	v_ashrrev_i32_e32 v5, 31, v4
	v_lshrrev_b32_e32 v5, 30, v5
	v_and_b32_e32 v152, 7, v0
	v_mul_lo_u32 v154, v4, s5
	v_add_u32_e32 v5, v4, v5
	v_lshlrev_b32_e32 v15, 5, v4
	v_add_u32_e32 v4, 32, v3
	v_and_b32_e32 v5, -4, v5
	v_lshlrev_b32_e32 v6, 2, v152
	s_mov_b32 s8, 0xa200
	v_min_i32_e32 v4, s1, v4
	v_add3_u32 v14, v5, v6, s8
	v_ashrrev_i32_e32 v5, 31, v4
	v_lshrrev_b32_e32 v5, 30, v5
	v_mul_lo_u32 v156, v4, s5
	v_add_u32_e32 v5, v4, v5
	v_lshlrev_b32_e32 v17, 5, v4
	v_add_u32_e32 v4, 64, v3
	v_and_b32_e32 v5, -4, v5
	v_min_i32_e32 v4, s1, v4
	v_add3_u32 v16, v5, v6, s8
	v_ashrrev_i32_e32 v5, 31, v4
	v_add_u32_e32 v3, 0x60, v3
	v_lshrrev_b32_e32 v5, 30, v5
	v_min_i32_e32 v3, s1, v3
	v_mul_lo_u32 v158, v4, s5
	v_add_u32_e32 v5, v4, v5
	v_lshlrev_b32_e32 v19, 5, v4
	v_ashrrev_i32_e32 v4, 31, v3
	v_lshrrev_b32_e32 v4, 30, v4
	v_bfe_u32 v76, v0, 2, 8
	v_mul_lo_u32 v160, v3, s5
	v_add_u32_e32 v4, v3, v4
	v_lshlrev_b32_e32 v21, 5, v3
	v_and_b32_e32 v3, 31, v0
	v_mov_b32_e32 v22, 0x8200
	v_lshl_or_b32 v22, v3, 2, v22
	v_lshl_add_u32 v3, v81, 3, v76
	v_and_b32_e32 v3, 63, v3
	v_and_b32_e32 v2, 3, v0
	s_add_i32 s1, s10, -1
	v_or_b32_e32 v23, s15, v3
	v_lshlrev_b32_e32 v78, 2, v2
	v_and_b32_e32 v5, -4, v5
	v_and_b32_e32 v4, -4, v4
	v_min_i32_e32 v23, s1, v23
	v_add3_u32 v18, v5, v6, s8
	v_add3_u32 v20, v4, v6, s8
	v_add_u32_e32 v83, s15, v81
	v_mad_u64_u32 v[162:163], s[8:9], v23, s11, v[2:3]
	v_lshl_or_b32 v2, v3, 4, v78
	v_cvt_f64_i32_e32 v[4:5], s1
	v_add_u32_e32 v89, 0xb280, v2
	v_cvt_f64_u32_e32 v[2:3], v83
	v_min_f64 v[2:3], v[2:3], v[4:5]
	v_cvt_i32_f64_e32 v2, v[2:3]
	v_mul_lo_u32 v91, s11, v2
	v_add_u32_e32 v2, 8, v83
	v_cvt_f64_u32_e32 v[2:3], v2
	v_min_f64 v[2:3], v[2:3], v[4:5]
	v_cvt_i32_f64_e32 v2, v[2:3]
	v_mul_lo_u32 v93, s11, v2
	;; [unrolled: 5-line block ×7, first 2 shown]
	v_add_u32_e32 v2, 56, v83
	v_mov_b32_e32 v79, 0
	v_lshlrev_b32_e32 v6, 2, v77
	v_cvt_f64_u32_e32 v[2:3], v2
	v_and_b32_e32 v6, 28, v6
	v_mov_b32_e32 v7, v79
	v_min_f64 v[2:3], v[2:3], v[4:5]
	v_cvt_i32_f64_e32 v2, v[2:3]
	v_add_u32_e32 v3, 32, v77
	v_add_u32_e32 v4, 64, v77
	;; [unrolled: 1-line block ×3, first 2 shown]
	v_lshl_add_u64 v[164:165], s[2:3], 0, v[6:7]
	v_lshlrev_b32_e32 v6, 5, v77
	v_and_b32_e32 v0, 0xfc, v0
	v_lshrrev_b32_e32 v111, 3, v3
	v_and_b32_e32 v5, 0x1fc, v5
	v_and_b32_e32 v4, 0x1fc, v4
	;; [unrolled: 1-line block ×3, first 2 shown]
	v_add_u32_e32 v0, v6, v0
	v_lshlrev_b32_e32 v23, 7, v81
	v_lshlrev_b32_e32 v1, 7, v1
	;; [unrolled: 1-line block ×7, first 2 shown]
	v_mul_lo_u32 v107, s11, v2
	v_lshlrev_b32_e32 v2, 7, v13
	v_add_u32_e32 v5, v6, v5
	v_add_u32_e32 v4, v6, v4
	v_add_u32_e32 v3, v6, v3
	v_add_u32_e32 v119, 0xa200, v0
	v_mov_b32_e32 v6, 0xb280
	v_add_u32_e32 v135, 0xa210, v0
	v_mov_b32_e32 v0, 0x80
	v_mov_b32_e32 v128, v79
	;; [unrolled: 1-line block ×3, first 2 shown]
	s_add_i32 s8, s5, 3
	v_mul_u32_u24_e32 v109, 0x104, v77
	v_add_u32_e32 v113, 0xae00, v5
	v_add_u32_e32 v115, 0xaa00, v4
	v_add_u32_e32 v117, 0xa600, v3
	v_lshl_add_u32 v121, v81, 4, v6
	v_add_u32_e32 v125, 0x8200, v23
	v_add_u32_e32 v127, 0xae10, v5
	;; [unrolled: 1-line block ×4, first 2 shown]
	v_mad_u32_u24 v137, v77, s0, v0
	s_mov_b32 s9, 0
	v_add_u32_e32 v139, v14, v15
	v_add_u32_e32 v141, v16, v17
	;; [unrolled: 1-line block ×12, first 2 shown]
	v_mov_b64_e32 v[74:75], v[128:129]
	v_mov_b64_e32 v[66:67], v[128:129]
	;; [unrolled: 1-line block ×15, first 2 shown]
	s_branch .LBB164_7
.LBB164_6:                              ;   in Loop: Header=BB164_7 Depth=1
	s_add_i32 s9, s9, 8
	s_add_i32 s8, s8, -8
	s_cmp_ge_i32 s9, s5
	s_cbranch_scc1 .LBB164_14
.LBB164_7:                              ; =>This Loop Header: Depth=1
                                        ;     Child Loop BB164_9 Depth 2
                                        ;     Child Loop BB164_12 Depth 2
	s_mul_i32 s0, s9, 24
	s_mul_hi_u32 s1, s9, 24
	s_add_u32 s0, s6, s0
	s_addc_u32 s1, s7, s1
	v_mad_u64_u32 v[0:1], s[16:17], v76, 24, s[0:1]
	v_mad_i64_i32 v[2:3], s[16:17], v80, 24, v[0:1]
	v_mad_i64_i32 v[10:11], s[16:17], v94, 24, v[0:1]
	v_lshl_add_u64 v[4:5], v[2:3], 0, v[78:79]
	v_mad_i64_i32 v[6:7], s[16:17], v86, 24, v[0:1]
	v_mad_i64_i32 v[8:9], s[16:17], v90, 24, v[0:1]
	global_load_dword v18, v[10:11], off offset:4
	global_load_dword v19, v[8:9], off offset:4
	;; [unrolled: 1-line block ×5, first 2 shown]
	v_lshl_add_u64 v[2:3], v[6:7], 0, v[78:79]
	global_load_dword v23, v[2:3], off offset:8
	v_lshl_add_u64 v[2:3], v[8:9], 0, v[78:79]
	v_lshl_add_u64 v[4:5], v[10:11], 0, v[78:79]
	global_load_dword v24, v[2:3], off offset:8
	global_load_dword v25, v[4:5], off offset:8
	v_mad_i64_i32 v[2:3], s[16:17], v98, 24, v[0:1]
	v_mad_i64_i32 v[4:5], s[16:17], v104, 24, v[0:1]
	;; [unrolled: 1-line block ×4, first 2 shown]
	v_lshl_add_u64 v[10:11], v[2:3], 0, v[78:79]
	v_lshl_add_u64 v[12:13], v[4:5], 0, v[78:79]
	;; [unrolled: 1-line block ×4, first 2 shown]
	global_load_dword v10, v[10:11], off offset:8
	s_nop 0
	global_load_dword v11, v[12:13], off offset:8
	global_load_dword v26, v[14:15], off offset:8
	;; [unrolled: 1-line block ×5, first 2 shown]
	s_nop 0
	global_load_dword v4, v[4:5], off offset:4
	s_nop 0
	global_load_dword v2, v[2:3], off offset:4
	s_cmp_gt_u32 s8, 3
	s_waitcnt vmcnt(13)
	v_ashrrev_i32_e32 v7, v78, v20
	s_waitcnt vmcnt(12)
	v_ashrrev_i32_e32 v3, v78, v21
	s_waitcnt vmcnt(11)
	v_lshrrev_b32_e32 v5, 4, v22
	v_lshlrev_b32_e32 v12, 4, v3
	v_lshrrev_b32_e32 v14, 12, v3
	v_and_b32_e32 v6, 0xf0f0f0f, v22
	v_lshlrev_b32_e32 v13, 11, v3
	v_lshrrev_b32_e32 v15, 5, v3
	v_and_b32_e32 v5, 0xf0f0f0f, v5
	v_and_b32_e32 v14, 16, v14
	v_and_b32_e32 v12, 16, v12
	v_lshlrev_b32_e32 v16, 2, v3
	v_lshlrev_b32_e32 v17, 18, v3
	v_and_b32_e32 v15, 0x1000, v15
	v_and_b32_e32 v13, 0x1000, v13
	v_or_b32_e32 v5, v14, v5
	v_or_b32_e32 v6, v12, v6
	s_waitcnt vmcnt(10)
	v_lshrrev_b32_e32 v8, 4, v23
	v_and_b32_e32 v9, 0xf0f0f0f, v23
	v_lshlrev_b32_e32 v20, 9, v3
	v_lshlrev_b32_e32 v3, 25, v3
	;; [unrolled: 1-line block ×3, first 2 shown]
	v_lshrrev_b32_e32 v23, 12, v7
	v_and_b32_e32 v16, 0x100000, v16
	v_and_b32_e32 v17, 0x100000, v17
	v_or_b32_e32 v5, v5, v15
	v_or_b32_e32 v6, v6, v13
	v_lshlrev_b32_e32 v22, 11, v7
	v_lshrrev_b32_e32 v30, 5, v7
	v_and_b32_e32 v8, 0xf0f0f0f, v8
	v_and_b32_e32 v20, 0x10000000, v20
	;; [unrolled: 1-line block ×5, first 2 shown]
	v_or_b32_e32 v5, v5, v16
	v_or_b32_e32 v6, v6, v17
	v_lshlrev_b32_e32 v31, 2, v7
	v_lshlrev_b32_e32 v32, 18, v7
	v_and_b32_e32 v30, 0x1000, v30
	v_and_b32_e32 v22, 0x1000, v22
	v_or_b32_e32 v8, v23, v8
	v_or_b32_e32 v9, v21, v9
	;; [unrolled: 1-line block ×4, first 2 shown]
	v_and_b32_e32 v31, 0x100000, v31
	v_or_b32_e32 v8, v8, v30
	v_or_b32_e32 v9, v9, v22
	ds_write2_b32 v82, v3, v5 offset1:1
	v_and_b32_e32 v3, 0x100000, v32
	v_lshlrev_b32_e32 v6, 9, v7
	v_lshlrev_b32_e32 v7, 25, v7
	v_or_b32_e32 v5, v8, v31
	v_or_b32_e32 v3, v9, v3
	v_and_b32_e32 v6, 0x10000000, v6
	v_and_b32_e32 v7, 0x10000000, v7
	v_or_b32_e32 v5, v5, v6
	v_or_b32_e32 v3, v3, v7
	ds_write2_b32 v88, v3, v5 offset1:1
	v_ashrrev_i32_e32 v3, v78, v19
	v_lshlrev_b32_e32 v5, 4, v3
	v_lshlrev_b32_e32 v6, 11, v3
	s_waitcnt vmcnt(9)
	v_lshrrev_b32_e32 v7, 4, v24
	v_lshrrev_b32_e32 v8, 12, v3
	v_and_b32_e32 v12, 0xf0f0f0f, v24
	v_and_b32_e32 v5, 16, v5
	v_lshrrev_b32_e32 v9, 5, v3
	v_and_b32_e32 v7, 0xf0f0f0f, v7
	v_and_b32_e32 v8, 16, v8
	v_or_b32_e32 v5, v5, v12
	v_and_b32_e32 v6, 0x1000, v6
	v_or_b32_e32 v7, v8, v7
	;; [unrolled: 2-line block ×3, first 2 shown]
	v_lshlrev_b32_e32 v6, 2, v3
	v_or_b32_e32 v7, v7, v8
	v_lshlrev_b32_e32 v8, 18, v3
	v_and_b32_e32 v6, 0x100000, v6
	v_and_b32_e32 v8, 0x100000, v8
	v_or_b32_e32 v6, v7, v6
	v_lshlrev_b32_e32 v7, 9, v3
	v_lshlrev_b32_e32 v3, 25, v3
	v_or_b32_e32 v5, v5, v8
	v_and_b32_e32 v7, 0x10000000, v7
	v_and_b32_e32 v3, 0x10000000, v3
	v_or_b32_e32 v6, v6, v7
	v_or_b32_e32 v3, v5, v3
	ds_write2_b32 v92, v3, v6 offset1:1
	v_ashrrev_i32_e32 v3, v78, v18
	v_lshlrev_b32_e32 v5, 4, v3
	v_lshlrev_b32_e32 v6, 11, v3
	s_waitcnt vmcnt(8)
	v_lshrrev_b32_e32 v7, 4, v25
	v_lshrrev_b32_e32 v8, 12, v3
	v_and_b32_e32 v12, 0xf0f0f0f, v25
	v_and_b32_e32 v5, 16, v5
	v_lshrrev_b32_e32 v9, 5, v3
	v_and_b32_e32 v7, 0xf0f0f0f, v7
	v_and_b32_e32 v8, 16, v8
	v_or_b32_e32 v5, v5, v12
	v_and_b32_e32 v6, 0x1000, v6
	v_or_b32_e32 v7, v8, v7
	;; [unrolled: 2-line block ×3, first 2 shown]
	v_lshlrev_b32_e32 v6, 2, v3
	v_or_b32_e32 v7, v7, v8
	v_lshlrev_b32_e32 v8, 18, v3
	v_and_b32_e32 v6, 0x100000, v6
	v_and_b32_e32 v8, 0x100000, v8
	v_or_b32_e32 v6, v7, v6
	v_lshlrev_b32_e32 v7, 9, v3
	v_lshlrev_b32_e32 v3, 25, v3
	v_or_b32_e32 v5, v5, v8
	v_and_b32_e32 v7, 0x10000000, v7
	v_and_b32_e32 v3, 0x10000000, v3
	v_or_b32_e32 v6, v6, v7
	v_or_b32_e32 v3, v5, v3
	s_waitcnt vmcnt(0)
	v_ashrrev_i32_e32 v2, v78, v2
	ds_write2_b32 v96, v3, v6 offset1:1
	v_lshlrev_b32_e32 v3, 4, v2
	v_lshlrev_b32_e32 v5, 11, v2
	v_lshrrev_b32_e32 v6, 4, v10
	v_lshrrev_b32_e32 v7, 12, v2
	v_and_b32_e32 v9, 0xf0f0f0f, v10
	v_and_b32_e32 v3, 16, v3
	v_lshrrev_b32_e32 v8, 5, v2
	v_and_b32_e32 v6, 0xf0f0f0f, v6
	v_and_b32_e32 v7, 16, v7
	v_or_b32_e32 v3, v3, v9
	v_and_b32_e32 v5, 0x1000, v5
	v_or_b32_e32 v6, v7, v6
	;; [unrolled: 2-line block ×3, first 2 shown]
	v_lshlrev_b32_e32 v5, 2, v2
	v_or_b32_e32 v6, v6, v7
	v_lshlrev_b32_e32 v7, 18, v2
	v_and_b32_e32 v5, 0x100000, v5
	v_and_b32_e32 v7, 0x100000, v7
	v_or_b32_e32 v5, v6, v5
	v_lshlrev_b32_e32 v6, 9, v2
	v_lshlrev_b32_e32 v2, 25, v2
	v_or_b32_e32 v3, v3, v7
	v_and_b32_e32 v6, 0x10000000, v6
	v_and_b32_e32 v2, 0x10000000, v2
	v_or_b32_e32 v5, v5, v6
	v_or_b32_e32 v2, v3, v2
	ds_write2_b32 v100, v2, v5 offset1:1
	v_lshrrev_b32_e32 v2, 4, v11
	v_and_b32_e32 v23, 0xf0f0f0f, v2
	v_mad_i64_i32 v[2:3], s[16:17], v116, 24, v[0:1]
	v_mad_i64_i32 v[14:15], s[16:17], v132, 24, v[0:1]
	v_ashrrev_i32_e32 v18, v78, v4
	v_and_b32_e32 v24, 0xf0f0f0f, v11
	v_lshl_add_u64 v[4:5], v[2:3], 0, v[78:79]
	v_mad_i64_i32 v[6:7], s[16:17], v120, 24, v[0:1]
	v_mad_i64_i32 v[10:11], s[16:17], v126, 24, v[0:1]
	v_lshl_add_u64 v[16:17], v[14:15], 0, v[78:79]
	v_lshl_add_u64 v[8:9], v[6:7], 0, v[78:79]
	;; [unrolled: 1-line block ×3, first 2 shown]
	global_load_dword v4, v[4:5], off offset:8
	s_nop 0
	global_load_dword v5, v[8:9], off offset:8
	global_load_dword v25, v[12:13], off offset:8
	s_nop 0
	global_load_dword v16, v[16:17], off offset:8
	s_nop 0
	global_load_dword v17, v[14:15], off offset:4
	global_load_dword v30, v[10:11], off offset:4
	s_nop 0
	global_load_dword v6, v[6:7], off offset:4
	s_nop 0
	global_load_dword v2, v[2:3], off offset:4
	v_lshlrev_b32_e32 v19, 4, v18
	v_lshrrev_b32_e32 v21, 12, v18
	v_lshlrev_b32_e32 v20, 11, v18
	v_lshrrev_b32_e32 v22, 5, v18
	v_and_b32_e32 v3, 16, v21
	v_and_b32_e32 v7, 16, v19
	v_or_b32_e32 v3, v3, v23
	v_or_b32_e32 v7, v7, v24
	v_and_b32_e32 v8, 0x1000, v22
	v_and_b32_e32 v9, 0x1000, v20
	v_or_b32_e32 v3, v3, v8
	v_or_b32_e32 v7, v7, v9
	v_lshlrev_b32_e32 v8, 2, v18
	v_lshlrev_b32_e32 v9, 18, v18
	v_and_b32_e32 v8, 0x100000, v8
	v_and_b32_e32 v9, 0x100000, v9
	v_or_b32_e32 v3, v3, v8
	v_or_b32_e32 v7, v7, v9
	v_lshlrev_b32_e32 v8, 9, v18
	v_lshlrev_b32_e32 v9, 25, v18
	v_and_b32_e32 v8, 0x10000000, v8
	v_and_b32_e32 v9, 0x10000000, v9
	v_or_b32_e32 v3, v3, v8
	v_or_b32_e32 v7, v7, v9
	ds_write2_b32 v106, v7, v3 offset1:1
	v_ashrrev_i32_e32 v3, v78, v29
	v_lshlrev_b32_e32 v7, 4, v3
	v_lshlrev_b32_e32 v8, 11, v3
	v_lshrrev_b32_e32 v9, 4, v26
	v_lshrrev_b32_e32 v10, 12, v3
	v_and_b32_e32 v12, 0xf0f0f0f, v26
	v_and_b32_e32 v7, 16, v7
	v_lshrrev_b32_e32 v11, 5, v3
	v_and_b32_e32 v9, 0xf0f0f0f, v9
	v_and_b32_e32 v10, 16, v10
	v_or_b32_e32 v7, v7, v12
	v_and_b32_e32 v8, 0x1000, v8
	v_or_b32_e32 v9, v10, v9
	;; [unrolled: 2-line block ×3, first 2 shown]
	v_lshlrev_b32_e32 v8, 2, v3
	v_or_b32_e32 v9, v9, v10
	v_lshlrev_b32_e32 v10, 18, v3
	v_and_b32_e32 v8, 0x100000, v8
	v_and_b32_e32 v10, 0x100000, v10
	v_or_b32_e32 v8, v9, v8
	v_lshlrev_b32_e32 v9, 9, v3
	v_lshlrev_b32_e32 v3, 25, v3
	v_or_b32_e32 v7, v7, v10
	v_and_b32_e32 v9, 0x10000000, v9
	v_and_b32_e32 v3, 0x10000000, v3
	v_or_b32_e32 v8, v8, v9
	v_or_b32_e32 v3, v7, v3
	ds_write2_b32 v110, v3, v8 offset1:1
	v_ashrrev_i32_e32 v3, v78, v28
	v_lshlrev_b32_e32 v7, 4, v3
	v_lshlrev_b32_e32 v8, 11, v3
	v_lshrrev_b32_e32 v9, 4, v27
	v_lshrrev_b32_e32 v10, 12, v3
	v_and_b32_e32 v12, 0xf0f0f0f, v27
	v_and_b32_e32 v7, 16, v7
	v_lshrrev_b32_e32 v11, 5, v3
	v_and_b32_e32 v9, 0xf0f0f0f, v9
	v_and_b32_e32 v10, 16, v10
	v_or_b32_e32 v7, v7, v12
	v_and_b32_e32 v8, 0x1000, v8
	v_or_b32_e32 v9, v10, v9
	;; [unrolled: 2-line block ×3, first 2 shown]
	v_lshlrev_b32_e32 v8, 2, v3
	v_or_b32_e32 v9, v9, v10
	v_lshlrev_b32_e32 v10, 18, v3
	v_and_b32_e32 v8, 0x100000, v8
	v_and_b32_e32 v10, 0x100000, v10
	v_or_b32_e32 v8, v9, v8
	v_lshlrev_b32_e32 v9, 9, v3
	v_lshlrev_b32_e32 v3, 25, v3
	v_or_b32_e32 v7, v7, v10
	v_and_b32_e32 v9, 0x10000000, v9
	v_and_b32_e32 v3, 0x10000000, v3
	v_or_b32_e32 v8, v8, v9
	v_or_b32_e32 v3, v7, v3
	s_waitcnt vmcnt(0)
	v_ashrrev_i32_e32 v2, v78, v2
	ds_write2_b32 v114, v3, v8 offset1:1
	v_lshlrev_b32_e32 v3, 4, v2
	v_lshlrev_b32_e32 v7, 11, v2
	v_lshrrev_b32_e32 v8, 4, v4
	v_lshrrev_b32_e32 v9, 12, v2
	v_and_b32_e32 v4, 0xf0f0f0f, v4
	v_and_b32_e32 v3, 16, v3
	v_lshrrev_b32_e32 v10, 5, v2
	v_and_b32_e32 v8, 0xf0f0f0f, v8
	v_and_b32_e32 v9, 16, v9
	v_or_b32_e32 v3, v3, v4
	v_and_b32_e32 v7, 0x1000, v7
	v_or_b32_e32 v8, v9, v8
	v_and_b32_e32 v4, 0x1000, v10
	v_or_b32_e32 v3, v3, v7
	v_lshlrev_b32_e32 v7, 2, v2
	v_or_b32_e32 v4, v8, v4
	v_lshlrev_b32_e32 v8, 18, v2
	v_and_b32_e32 v7, 0x100000, v7
	v_and_b32_e32 v8, 0x100000, v8
	v_or_b32_e32 v4, v4, v7
	v_lshlrev_b32_e32 v7, 9, v2
	v_lshlrev_b32_e32 v2, 25, v2
	v_or_b32_e32 v3, v3, v8
	v_and_b32_e32 v7, 0x10000000, v7
	v_and_b32_e32 v2, 0x10000000, v2
	v_or_b32_e32 v4, v4, v7
	v_or_b32_e32 v2, v3, v2
	ds_write2_b32 v118, v2, v4 offset1:1
	v_lshrrev_b32_e32 v2, 4, v5
	v_ashrrev_i32_e32 v18, v78, v6
	v_and_b32_e32 v23, 0xf0f0f0f, v2
	v_mad_i64_i32 v[2:3], s[16:17], v136, 24, v[0:1]
	v_mad_i64_i32 v[6:7], s[16:17], v140, 24, v[0:1]
	;; [unrolled: 1-line block ×3, first 2 shown]
	v_and_b32_e32 v24, 0xf0f0f0f, v5
	v_lshl_add_u64 v[4:5], v[2:3], 0, v[78:79]
	v_lshl_add_u64 v[8:9], v[6:7], 0, v[78:79]
	;; [unrolled: 1-line block ×3, first 2 shown]
	v_mad_i64_i32 v[0:1], s[16:17], v148, 24, v[0:1]
	v_lshl_add_u64 v[14:15], v[0:1], 0, v[78:79]
	global_load_dword v4, v[4:5], off offset:8
	s_nop 0
	global_load_dword v5, v[8:9], off offset:8
	s_nop 0
	global_load_dword v8, v[12:13], off offset:8
	global_load_dword v9, v[14:15], off offset:8
	s_nop 0
	global_load_dword v12, v[0:1], off offset:4
	s_nop 0
	;; [unrolled: 2-line block ×3, first 2 shown]
	global_load_dword v0, v[6:7], off offset:4
	global_load_dword v1, v[2:3], off offset:4
	v_lshlrev_b32_e32 v19, 4, v18
	v_lshrrev_b32_e32 v21, 12, v18
	v_lshlrev_b32_e32 v20, 11, v18
	v_lshrrev_b32_e32 v22, 5, v18
	v_and_b32_e32 v2, 16, v21
	v_and_b32_e32 v3, 16, v19
	v_or_b32_e32 v2, v2, v23
	v_or_b32_e32 v3, v3, v24
	v_and_b32_e32 v6, 0x1000, v22
	v_and_b32_e32 v7, 0x1000, v20
	v_or_b32_e32 v2, v2, v6
	v_or_b32_e32 v3, v3, v7
	v_lshlrev_b32_e32 v6, 2, v18
	v_lshlrev_b32_e32 v7, 18, v18
	v_and_b32_e32 v6, 0x100000, v6
	v_and_b32_e32 v7, 0x100000, v7
	v_or_b32_e32 v2, v2, v6
	v_or_b32_e32 v3, v3, v7
	v_lshlrev_b32_e32 v6, 9, v18
	v_lshlrev_b32_e32 v7, 25, v18
	v_and_b32_e32 v6, 0x10000000, v6
	v_and_b32_e32 v7, 0x10000000, v7
	v_or_b32_e32 v2, v2, v6
	v_or_b32_e32 v3, v3, v7
	ds_write2_b32 v124, v3, v2 offset1:1
	v_ashrrev_i32_e32 v2, v78, v30
	v_lshlrev_b32_e32 v3, 4, v2
	v_lshlrev_b32_e32 v6, 11, v2
	v_lshrrev_b32_e32 v7, 4, v25
	v_lshrrev_b32_e32 v11, 12, v2
	v_and_b32_e32 v14, 0xf0f0f0f, v25
	v_and_b32_e32 v3, 16, v3
	v_lshrrev_b32_e32 v13, 5, v2
	v_and_b32_e32 v7, 0xf0f0f0f, v7
	v_and_b32_e32 v11, 16, v11
	v_or_b32_e32 v3, v3, v14
	v_and_b32_e32 v6, 0x1000, v6
	v_or_b32_e32 v7, v11, v7
	;; [unrolled: 2-line block ×3, first 2 shown]
	v_lshlrev_b32_e32 v6, 2, v2
	v_or_b32_e32 v7, v7, v11
	v_lshlrev_b32_e32 v11, 18, v2
	v_and_b32_e32 v6, 0x100000, v6
	v_and_b32_e32 v11, 0x100000, v11
	v_or_b32_e32 v6, v7, v6
	v_lshlrev_b32_e32 v7, 9, v2
	v_lshlrev_b32_e32 v2, 25, v2
	v_or_b32_e32 v3, v3, v11
	v_and_b32_e32 v7, 0x10000000, v7
	v_and_b32_e32 v2, 0x10000000, v2
	v_or_b32_e32 v6, v6, v7
	v_or_b32_e32 v2, v3, v2
	ds_write2_b32 v130, v2, v6 offset1:1
	v_ashrrev_i32_e32 v2, v78, v17
	v_lshlrev_b32_e32 v3, 4, v2
	v_lshlrev_b32_e32 v6, 11, v2
	v_lshrrev_b32_e32 v7, 4, v16
	v_lshrrev_b32_e32 v11, 12, v2
	v_and_b32_e32 v14, 0xf0f0f0f, v16
	v_and_b32_e32 v3, 16, v3
	v_lshrrev_b32_e32 v13, 5, v2
	v_and_b32_e32 v7, 0xf0f0f0f, v7
	v_and_b32_e32 v11, 16, v11
	v_or_b32_e32 v3, v3, v14
	v_and_b32_e32 v6, 0x1000, v6
	v_or_b32_e32 v7, v11, v7
	;; [unrolled: 2-line block ×3, first 2 shown]
	v_lshlrev_b32_e32 v6, 2, v2
	v_or_b32_e32 v7, v7, v11
	v_lshlrev_b32_e32 v11, 18, v2
	v_and_b32_e32 v6, 0x100000, v6
	v_and_b32_e32 v11, 0x100000, v11
	v_or_b32_e32 v6, v7, v6
	v_lshlrev_b32_e32 v7, 9, v2
	v_lshlrev_b32_e32 v2, 25, v2
	v_or_b32_e32 v3, v3, v11
	v_and_b32_e32 v7, 0x10000000, v7
	v_and_b32_e32 v2, 0x10000000, v2
	v_or_b32_e32 v6, v6, v7
	v_or_b32_e32 v2, v3, v2
	s_waitcnt vmcnt(0)
	v_ashrrev_i32_e32 v1, v78, v1
	ds_write2_b32 v134, v2, v6 offset1:1
	v_lshlrev_b32_e32 v2, 4, v1
	v_lshlrev_b32_e32 v3, 11, v1
	v_lshrrev_b32_e32 v6, 4, v4
	v_lshrrev_b32_e32 v7, 12, v1
	v_and_b32_e32 v4, 0xf0f0f0f, v4
	v_and_b32_e32 v2, 16, v2
	v_lshrrev_b32_e32 v11, 5, v1
	v_and_b32_e32 v6, 0xf0f0f0f, v6
	v_and_b32_e32 v7, 16, v7
	v_or_b32_e32 v2, v2, v4
	v_and_b32_e32 v3, 0x1000, v3
	v_or_b32_e32 v6, v7, v6
	;; [unrolled: 2-line block ×3, first 2 shown]
	v_lshlrev_b32_e32 v3, 2, v1
	v_or_b32_e32 v4, v6, v4
	v_lshlrev_b32_e32 v6, 18, v1
	v_and_b32_e32 v3, 0x100000, v3
	v_and_b32_e32 v6, 0x100000, v6
	v_or_b32_e32 v3, v4, v3
	v_lshlrev_b32_e32 v4, 9, v1
	v_lshlrev_b32_e32 v1, 25, v1
	v_or_b32_e32 v2, v2, v6
	v_and_b32_e32 v4, 0x10000000, v4
	v_and_b32_e32 v1, 0x10000000, v1
	v_or_b32_e32 v3, v3, v4
	v_or_b32_e32 v1, v2, v1
	v_ashrrev_i32_e32 v11, v78, v0
	ds_write2_b32 v138, v1, v3 offset1:1
	v_lshlrev_b32_e32 v0, 4, v11
	v_lshrrev_b32_e32 v1, 4, v5
	v_lshrrev_b32_e32 v2, 12, v11
	v_and_b32_e32 v1, 0xf0f0f0f, v1
	v_and_b32_e32 v3, 0xf0f0f0f, v5
	;; [unrolled: 1-line block ×4, first 2 shown]
	v_or_b32_e32 v15, v2, v1
	v_or_b32_e32 v16, v0, v3
	v_mad_u64_u32 v[0:1], s[0:1], v152, 24, s[0:1]
	v_mad_i64_i32 v[2:3], s[0:1], v154, 24, v[0:1]
	v_mad_i64_i32 v[4:5], s[0:1], v156, 24, v[0:1]
	;; [unrolled: 1-line block ×4, first 2 shown]
	global_load_dword v2, v[2:3], off
	s_nop 0
	global_load_dword v3, v[4:5], off
	s_nop 0
	global_load_dword v4, v[6:7], off
	v_lshlrev_b32_e32 v13, 11, v11
	global_load_dword v0, v[0:1], off
	v_lshrrev_b32_e32 v14, 5, v11
	v_and_b32_e32 v1, 0x1000, v14
	v_and_b32_e32 v5, 0x1000, v13
	v_lshlrev_b32_e32 v6, 2, v11
	v_lshlrev_b32_e32 v7, 18, v11
	v_or_b32_e32 v1, v15, v1
	v_or_b32_e32 v5, v16, v5
	v_and_b32_e32 v6, 0x100000, v6
	v_and_b32_e32 v7, 0x100000, v7
	v_or_b32_e32 v1, v1, v6
	v_or_b32_e32 v5, v5, v7
	v_lshlrev_b32_e32 v6, 9, v11
	v_lshlrev_b32_e32 v7, 25, v11
	v_and_b32_e32 v6, 0x10000000, v6
	v_and_b32_e32 v7, 0x10000000, v7
	v_or_b32_e32 v1, v1, v6
	v_or_b32_e32 v5, v5, v7
	ds_write2_b32 v142, v5, v1 offset1:1
	v_ashrrev_i32_e32 v1, v78, v10
	v_lshlrev_b32_e32 v5, 4, v1
	v_lshlrev_b32_e32 v6, 11, v1
	v_lshrrev_b32_e32 v7, 4, v8
	v_lshrrev_b32_e32 v10, 12, v1
	v_and_b32_e32 v8, 0xf0f0f0f, v8
	v_and_b32_e32 v5, 16, v5
	v_lshrrev_b32_e32 v11, 5, v1
	v_and_b32_e32 v7, 0xf0f0f0f, v7
	v_and_b32_e32 v10, 16, v10
	v_or_b32_e32 v5, v5, v8
	v_and_b32_e32 v6, 0x1000, v6
	v_or_b32_e32 v7, v10, v7
	;; [unrolled: 2-line block ×3, first 2 shown]
	v_lshlrev_b32_e32 v6, 2, v1
	v_or_b32_e32 v7, v7, v8
	v_lshlrev_b32_e32 v8, 18, v1
	v_and_b32_e32 v6, 0x100000, v6
	v_and_b32_e32 v8, 0x100000, v8
	v_or_b32_e32 v6, v7, v6
	v_lshlrev_b32_e32 v7, 9, v1
	v_lshlrev_b32_e32 v1, 25, v1
	v_or_b32_e32 v5, v5, v8
	v_and_b32_e32 v7, 0x10000000, v7
	v_and_b32_e32 v1, 0x10000000, v1
	v_or_b32_e32 v6, v6, v7
	v_or_b32_e32 v1, v5, v1
	ds_write2_b32 v146, v1, v6 offset1:1
	v_ashrrev_i32_e32 v1, v78, v12
	v_lshlrev_b32_e32 v5, 4, v1
	v_lshlrev_b32_e32 v6, 11, v1
	v_lshrrev_b32_e32 v7, 4, v9
	v_lshrrev_b32_e32 v8, 12, v1
	v_and_b32_e32 v9, 0xf0f0f0f, v9
	v_and_b32_e32 v5, 16, v5
	v_lshrrev_b32_e32 v10, 5, v1
	v_and_b32_e32 v7, 0xf0f0f0f, v7
	v_and_b32_e32 v8, 16, v8
	v_or_b32_e32 v5, v5, v9
	v_and_b32_e32 v6, 0x1000, v6
	v_or_b32_e32 v7, v8, v7
	;; [unrolled: 2-line block ×3, first 2 shown]
	v_lshlrev_b32_e32 v6, 2, v1
	v_or_b32_e32 v7, v7, v8
	v_lshlrev_b32_e32 v8, 18, v1
	v_and_b32_e32 v6, 0x100000, v6
	v_and_b32_e32 v8, 0x100000, v8
	v_or_b32_e32 v6, v7, v6
	v_lshlrev_b32_e32 v7, 9, v1
	v_lshlrev_b32_e32 v1, 25, v1
	v_or_b32_e32 v5, v5, v8
	v_and_b32_e32 v7, 0x10000000, v7
	v_and_b32_e32 v1, 0x10000000, v1
	v_or_b32_e32 v6, v6, v7
	v_or_b32_e32 v1, v5, v1
	ds_write2_b32 v150, v1, v6 offset1:1
	s_waitcnt vmcnt(3)
	ds_write_b32 v139, v2
	s_waitcnt vmcnt(2)
	ds_write_b32 v141, v3
	;; [unrolled: 2-line block ×4, first 2 shown]
	s_cbranch_scc0 .LBB164_6
; %bb.8:                                ;   in Loop: Header=BB164_7 Depth=1
	v_add_u32_e32 v14, s9, v87
	v_add_u32_e32 v163, s9, v162
	;; [unrolled: 1-line block ×6, first 2 shown]
	v_mad_i64_i32 v[0:1], s[0:1], v0, 36, v[164:165]
	v_mad_i64_i32 v[2:3], s[0:1], v2, 36, v[164:165]
	;; [unrolled: 1-line block ×4, first 2 shown]
	v_add_u32_e32 v8, v14, v99
	v_add_u32_e32 v10, v14, v101
	;; [unrolled: 1-line block ×4, first 2 shown]
	v_mad_u64_u32 v[16:17], s[0:1], v163, 36, s[2:3]
	v_mad_i64_i32 v[8:9], s[0:1], v8, 36, v[164:165]
	v_mad_i64_i32 v[10:11], s[0:1], v10, 36, v[164:165]
	;; [unrolled: 1-line block ×4, first 2 shown]
	global_load_dword v16, v[16:17], off
	s_nop 0
	global_load_dword v0, v[0:1], off offset:4
	s_nop 0
	global_load_dword v1, v[2:3], off offset:4
	;; [unrolled: 2-line block ×3, first 2 shown]
	global_load_dword v3, v[6:7], off offset:4
	s_nop 0
	global_load_dword v4, v[8:9], off offset:4
	global_load_dword v5, v[10:11], off offset:4
	;; [unrolled: 1-line block ×3, first 2 shown]
                                        ; kill: killed $vgpr10_vgpr11
                                        ; kill: killed $vgpr12_vgpr13
	global_load_dword v7, v[14:15], off offset:4
	s_mov_b32 s0, -4
	v_mov_b32_e32 v204, v125
	v_mov_b32_e32 v205, v109
	;; [unrolled: 1-line block ×7, first 2 shown]
	s_waitcnt vmcnt(8)
	ds_write_b32 v89, v16
	s_waitcnt vmcnt(7)
	ds_write_b32 v147, v0
	;; [unrolled: 2-line block ×9, first 2 shown]
	s_waitcnt lgkmcnt(0)
	s_barrier
.LBB164_9:                              ;   Parent Loop BB164_7 Depth=1
                                        ; =>  This Inner Loop Header: Depth=2
	ds_read_b128 v[12:15], v204
	ds_read_b128 v[8:11], v204 offset:16
	ds_read2_b32 v[180:181], v206 offset1:32
	v_add_u32_e32 v168, 0x2080, v205
	v_add_u32_e32 v169, 0x2088, v205
	;; [unrolled: 1-line block ×10, first 2 shown]
	ds_read2_b32 v[178:179], v205 offset1:1
	ds_read2_b32 v[176:177], v205 offset0:2 offset1:3
	ds_read2_b32 v[174:175], v205 offset0:4 offset1:5
	;; [unrolled: 1-line block ×3, first 2 shown]
	ds_read_b32 v238, v207
	ds_read_b32 v237, v208
	;; [unrolled: 1-line block ×4, first 2 shown]
	v_add_u32_e32 v233, 0x6190, v205
	v_add_u32_e32 v234, 0x6198, v205
	ds_read_b128 v[44:47], v204 offset:1024
	ds_read_b128 v[16:19], v204 offset:1040
	;; [unrolled: 1-line block ×4, first 2 shown]
	ds_read2_b32 v[202:203], v206 offset0:64 offset1:96
	ds_read_b128 v[40:43], v204 offset:3072
	ds_read_b128 v[24:27], v204 offset:3088
	;; [unrolled: 1-line block ×4, first 2 shown]
	ds_read2_b32 v[182:183], v206 offset0:128 offset1:160
	ds_read_b128 v[28:31], v204 offset:5120
	ds_read_b128 v[4:7], v204 offset:5136
	;; [unrolled: 1-line block ×3, first 2 shown]
	ds_read2_b32 v[200:201], v168 offset1:1
	ds_read2_b32 v[190:191], v169 offset1:1
	;; [unrolled: 1-line block ×12, first 2 shown]
	v_mov_b32_e32 v231, 0
	v_mov_b32_e32 v211, 0
	;; [unrolled: 1-line block ×4, first 2 shown]
	s_waitcnt lgkmcnt(14)
	v_dot4c_i32_i8_e32 v231, v178, v12
	s_waitcnt lgkmcnt(11)
	v_dot4c_i32_i8_e32 v211, v200, v12
	;; [unrolled: 2-line block ×4, first 2 shown]
	v_dot4c_i32_i8_e32 v231, v179, v8
	v_dot4c_i32_i8_e32 v211, v201, v8
	;; [unrolled: 1-line block ×7, first 2 shown]
	s_waitcnt lgkmcnt(2)
	v_dot4c_i32_i8_e32 v213, v194, v13
	v_mov_b32_e32 v224, 0
	v_mov_b32_e32 v223, 0
	;; [unrolled: 1-line block ×4, first 2 shown]
	v_dot4c_i32_i8_e32 v231, v177, v9
	v_dot4c_i32_i8_e32 v211, v191, v9
	;; [unrolled: 1-line block ×4, first 2 shown]
	v_mov_b32_e32 v239, 0
	v_mov_b32_e32 v217, 0
	;; [unrolled: 1-line block ×4, first 2 shown]
	v_dot4c_i32_i8_e32 v231, v174, v14
	v_dot4c_i32_i8_e32 v211, v188, v14
	;; [unrolled: 1-line block ×3, first 2 shown]
	s_waitcnt lgkmcnt(1)
	v_dot4c_i32_i8_e32 v213, v184, v14
	v_dot4c_i32_i8_e32 v224, v178, v48
	v_dot4c_i32_i8_e32 v223, v200, v48
	v_dot4c_i32_i8_e32 v225, v198, v48
	v_dot4c_i32_i8_e32 v226, v196, v48
	v_dot4c_i32_i8_e32 v231, v175, v10
	v_dot4c_i32_i8_e32 v211, v189, v10
	v_dot4c_i32_i8_e32 v212, v187, v10
	v_dot4c_i32_i8_e32 v213, v185, v10
	v_dot4c_i32_i8_e32 v239, v178, v36
	v_dot4c_i32_i8_e32 v217, v200, v36
	v_dot4c_i32_i8_e32 v218, v198, v36
	v_dot4c_i32_i8_e32 v219, v196, v36
	v_dot4c_i32_i8_e32 v224, v179, v0
	v_dot4c_i32_i8_e32 v223, v201, v0
	v_dot4c_i32_i8_e32 v225, v199, v0
	v_dot4c_i32_i8_e32 v226, v197, v0
	v_mov_b32_e32 v227, 0
	v_mov_b32_e32 v228, 0
	;; [unrolled: 1-line block ×4, first 2 shown]
	v_dot4c_i32_i8_e32 v231, v166, v15
	v_dot4c_i32_i8_e32 v211, v168, v15
	;; [unrolled: 1-line block ×3, first 2 shown]
	s_waitcnt lgkmcnt(0)
	v_dot4c_i32_i8_e32 v213, v172, v15
	ds_read_b128 v[12:15], v204 offset:6160
	v_dot4c_i32_i8_e32 v239, v179, v20
	v_dot4c_i32_i8_e32 v217, v201, v20
	;; [unrolled: 1-line block ×20, first 2 shown]
	v_mov_b32_e32 v241, 0
	v_mov_b32_e32 v220, 0
	;; [unrolled: 1-line block ×4, first 2 shown]
	v_dot4c_i32_i8_e32 v239, v177, v21
	v_dot4c_i32_i8_e32 v217, v191, v21
	;; [unrolled: 1-line block ×12, first 2 shown]
	v_mov_b32_e32 v234, 0
	v_mov_b32_e32 v233, 0
	;; [unrolled: 1-line block ×3, first 2 shown]
	v_dot4c_i32_i8_e32 v239, v174, v38
	v_dot4c_i32_i8_e32 v217, v188, v38
	;; [unrolled: 1-line block ×12, first 2 shown]
	v_mov_b32_e32 v2, 0
	v_dot4c_i32_i8_e32 v227, v176, v29
	v_dot4c_i32_i8_e32 v228, v190, v29
	;; [unrolled: 1-line block ×32, first 2 shown]
	ds_read_b128 v[38:41], v204 offset:7168
	s_waitcnt lgkmcnt(1)
	v_dot4c_i32_i8_e32 v234, v179, v12
	v_dot4c_i32_i8_e32 v233, v201, v12
	;; [unrolled: 1-line block ×20, first 2 shown]
	ds_read_b128 v[28:31], v204 offset:7184
	v_dot4c_i32_i8_e32 v241, v177, v25
	v_dot4c_i32_i8_e32 v220, v191, v25
	;; [unrolled: 1-line block ×8, first 2 shown]
	v_mov_b32_e32 v232, 0
	v_mov_b32_e32 v214, 0
	;; [unrolled: 1-line block ×4, first 2 shown]
	v_dot4c_i32_i8_e32 v241, v174, v42
	v_dot4c_i32_i8_e32 v220, v188, v42
	;; [unrolled: 1-line block ×8, first 2 shown]
	v_mov_b32_e32 v14, 0
	v_dot4c_i32_i8_e32 v232, v178, v44
	v_dot4c_i32_i8_e32 v214, v200, v44
	;; [unrolled: 1-line block ×8, first 2 shown]
	v_pk_mul_f16 v36, v238, v202
	v_pk_mul_f16 v26, v237, v202
	;; [unrolled: 1-line block ×4, first 2 shown]
	v_mov_b32_e32 v202, 0
	v_mov_b32_e32 v6, 0
	s_waitcnt lgkmcnt(1)
	v_dot4c_i32_i8_e32 v14, v198, v38
	v_mov_b32_e32 v198, 0
	v_dot4c_i32_i8_e32 v232, v179, v16
	v_dot4c_i32_i8_e32 v202, v178, v38
	v_dot4c_i32_i8_e32 v6, v200, v38
	v_dot4c_i32_i8_e32 v198, v196, v38
	v_dot4c_i32_i8_e32 v232, v176, v45
	v_dot4c_i32_i8_e32 v214, v201, v16
	v_dot4c_i32_i8_e32 v215, v199, v16
	v_dot4c_i32_i8_e32 v216, v197, v16
	s_waitcnt lgkmcnt(0)
	v_dot4c_i32_i8_e32 v202, v179, v28
	v_dot4c_i32_i8_e32 v6, v201, v28
	v_dot4c_i32_i8_e32 v14, v199, v28
	v_dot4c_i32_i8_e32 v198, v197, v28
	v_dot4c_i32_i8_e32 v232, v177, v17
	v_dot4c_i32_i8_e32 v214, v190, v45
	v_dot4c_i32_i8_e32 v215, v192, v45
	v_dot4c_i32_i8_e32 v216, v194, v45
	ds_read2_b32 v[0:1], v206 offset0:192 offset1:224
	v_dot4c_i32_i8_e32 v202, v176, v39
	v_dot4c_i32_i8_e32 v6, v190, v39
	;; [unrolled: 1-line block ×32, first 2 shown]
	v_pk_mul_f16 v8, v180, v238
	v_pk_mul_f16 v9, v238, v181
	v_dot4c_i32_i8_e32 v220, v168, v43
	v_dot4c_i32_i8_e32 v221, v170, v43
	;; [unrolled: 1-line block ×7, first 2 shown]
	v_pk_mul_f16 v42, v238, v203
	v_dot4c_i32_i8_e32 v234, v166, v35
	v_dot4c_i32_i8_e32 v233, v168, v35
	;; [unrolled: 1-line block ×12, first 2 shown]
	v_pk_mul_f16 v16, v180, v237
	v_pk_mul_f16 v18, v180, v236
	;; [unrolled: 1-line block ×17, first 2 shown]
	s_waitcnt lgkmcnt(0)
	v_pk_mul_f16 v242, v238, v0
	v_pk_mul_f16 v238, v238, v1
	;; [unrolled: 1-line block ×8, first 2 shown]
	v_cvt_f32_f16_e32 v1, v9
	v_cvt_f32_f16_e32 v0, v8
	v_cvt_f32_f16_sdwa v9, v9 dst_sel:DWORD dst_unused:UNUSED_PAD src0_sel:WORD_1
	v_cvt_f32_f16_sdwa v8, v8 dst_sel:DWORD dst_unused:UNUSED_PAD src0_sel:WORD_1
	v_cvt_f32_f16_e32 v35, v42
	v_cvt_f32_f16_e32 v34, v36
	v_cvt_f32_f16_sdwa v39, v42 dst_sel:DWORD dst_unused:UNUSED_PAD src0_sel:WORD_1
	v_cvt_f32_f16_sdwa v38, v36 dst_sel:DWORD dst_unused:UNUSED_PAD src0_sel:WORD_1
	v_dot4c_i32_i8_e32 v211, v169, v11
	v_dot4c_i32_i8_e32 v212, v171, v11
	;; [unrolled: 1-line block ×16, first 2 shown]
	v_cvt_f32_i32_e32 v193, v232
	v_cvt_f32_i32_e32 v192, v231
	;; [unrolled: 1-line block ×4, first 2 shown]
	v_dot4c_i32_i8_e32 v223, v169, v3
	v_dot4c_i32_i8_e32 v225, v171, v3
	;; [unrolled: 1-line block ×12, first 2 shown]
	v_cvt_f32_f16_e32 v5, v17
	v_cvt_f32_f16_e32 v4, v16
	v_cvt_f32_f16_sdwa v13, v17 dst_sel:DWORD dst_unused:UNUSED_PAD src0_sel:WORD_1
	v_cvt_f32_f16_sdwa v12, v16 dst_sel:DWORD dst_unused:UNUSED_PAD src0_sel:WORD_1
	v_cvt_f32_f16_e32 v17, v20
	v_cvt_f32_f16_e32 v16, v18
	v_cvt_f32_f16_sdwa v21, v20 dst_sel:DWORD dst_unused:UNUSED_PAD src0_sel:WORD_1
	v_cvt_f32_f16_sdwa v20, v18 dst_sel:DWORD dst_unused:UNUSED_PAD src0_sel:WORD_1
	;; [unrolled: 4-line block ×14, first 2 shown]
	v_cvt_f32_i32_e32 v197, v227
	v_cvt_f32_i32_e32 v196, v224
	;; [unrolled: 1-line block ×28, first 2 shown]
	v_pk_fma_f32 v[0:1], v[0:1], v[192:193], v[8:9]
	v_pk_fma_f32 v[8:9], v[194:195], v[34:35], v[38:39]
	s_add_i32 s0, s0, 4
	v_pk_fma_f32 v[34:35], v[196:197], v[50:51], v[176:177]
	v_pk_fma_f32 v[38:39], v[200:201], v[186:187], v[188:189]
	v_pk_add_f32 v[128:129], v[128:129], v[0:1]
	v_pk_fma_f32 v[0:1], v[4:5], v[30:31], v[12:13]
	v_pk_fma_f32 v[4:5], v[16:17], v[168:169], v[20:21]
	;; [unrolled: 1-line block ×3, first 2 shown]
	v_pk_add_f32 v[74:75], v[74:75], v[8:9]
	v_pk_fma_f32 v[8:9], v[172:173], v[32:33], v[36:37]
	v_pk_fma_f32 v[16:17], v[202:203], v[40:41], v[42:43]
	;; [unrolled: 1-line block ×9, first 2 shown]
	v_add_u32_e32 v210, 4, v210
	v_add_u32_e32 v209, 4, v209
	;; [unrolled: 1-line block ×7, first 2 shown]
	s_cmp_lt_u32 s0, 12
	v_pk_add_f32 v[66:67], v[66:67], v[34:35]
	v_pk_add_f32 v[58:59], v[58:59], v[38:39]
	;; [unrolled: 1-line block ×14, first 2 shown]
	s_cbranch_scc1 .LBB164_9
; %bb.10:                               ;   in Loop: Header=BB164_7 Depth=1
	s_and_b32 s0, s8, -4
	s_cmp_eq_u32 s0, 4
	s_barrier
	s_cbranch_scc1 .LBB164_6
; %bb.11:                               ;   in Loop: Header=BB164_7 Depth=1
	v_add_u32_e32 v14, s9, v111
	v_add_u32_e32 v0, v14, v91
	;; [unrolled: 1-line block ×6, first 2 shown]
	v_mad_i64_i32 v[0:1], s[0:1], v0, 36, v[164:165]
	v_mad_i64_i32 v[2:3], s[0:1], v2, 36, v[164:165]
	;; [unrolled: 1-line block ×4, first 2 shown]
	v_add_u32_e32 v8, v14, v99
	v_add_u32_e32 v10, v14, v101
	;; [unrolled: 1-line block ×4, first 2 shown]
	v_mad_u64_u32 v[16:17], s[0:1], v16, 36, s[2:3]
	v_mad_i64_i32 v[8:9], s[0:1], v8, 36, v[164:165]
	v_mad_i64_i32 v[10:11], s[0:1], v10, 36, v[164:165]
	;; [unrolled: 1-line block ×4, first 2 shown]
	global_load_dword v16, v[16:17], off
	s_nop 0
	global_load_dword v0, v[0:1], off offset:4
	s_nop 0
	global_load_dword v1, v[2:3], off offset:4
	;; [unrolled: 2-line block ×3, first 2 shown]
	global_load_dword v3, v[6:7], off offset:4
	s_nop 0
	global_load_dword v4, v[8:9], off offset:4
	global_load_dword v5, v[10:11], off offset:4
                                        ; kill: killed $vgpr8_vgpr9
                                        ; kill: killed $vgpr10_vgpr11
	global_load_dword v6, v[12:13], off offset:4
	global_load_dword v7, v[14:15], off offset:4
	s_mov_b32 s0, 12
	v_mov_b32_e32 v42, v121
	v_mov_b32_e32 v43, v125
	;; [unrolled: 1-line block ×7, first 2 shown]
	s_waitcnt vmcnt(8)
	ds_write_b32 v89, v16
	s_waitcnt vmcnt(7)
	ds_write_b32 v147, v0
	;; [unrolled: 2-line block ×9, first 2 shown]
	s_waitcnt lgkmcnt(0)
	s_barrier
.LBB164_12:                             ;   Parent Loop BB164_7 Depth=1
                                        ; =>  This Inner Loop Header: Depth=2
	v_add_u32_e32 v8, 0x2080, v44
	ds_read_b128 v[0:3], v43
	ds_read_b128 v[4:7], v43 offset:16
	ds_read2_b32 v[40:41], v42 offset1:32
	ds_read_b32 v163, v45
	ds_read2_b32 v[26:27], v44 offset1:1
	ds_read2_b32 v[32:33], v44 offset0:2 offset1:3
	ds_read2_b32 v[36:37], v44 offset0:4 offset1:5
	;; [unrolled: 1-line block ×3, first 2 shown]
	ds_read_b32 v51, v46
	ds_read2_b32 v[14:15], v8 offset1:1
	v_add_u32_e32 v8, 0x2088, v44
	ds_read2_b32 v[22:23], v8 offset1:1
	v_add_u32_e32 v8, 0x2090, v44
	;; [unrolled: 2-line block ×4, first 2 shown]
	ds_read_b32 v50, v47
	ds_read2_b32 v[10:11], v8 offset1:1
	v_add_u32_e32 v8, 0x4108, v44
	ds_read2_b32 v[16:17], v8 offset1:1
	v_add_u32_e32 v8, 0x4110, v44
	;; [unrolled: 2-line block ×4, first 2 shown]
	ds_read_b32 v49, v48
	ds_read2_b32 v[8:9], v8 offset1:1
	v_mov_b32_e32 v170, 0
	v_mov_b32_e32 v172, 0
	;; [unrolled: 1-line block ×4, first 2 shown]
	s_waitcnt lgkmcnt(14)
	v_dot4c_i32_i8_e32 v170, v26, v0
	s_waitcnt lgkmcnt(10)
	v_dot4c_i32_i8_e32 v172, v14, v0
	s_waitcnt lgkmcnt(5)
	v_dot4c_i32_i8_e32 v174, v10, v0
	s_waitcnt lgkmcnt(0)
	v_dot4c_i32_i8_e32 v176, v8, v0
	v_add_u32_e32 v0, 0x6188, v44
	ds_read2_b32 v[12:13], v0 offset1:1
	v_add_u32_e32 v0, 0x6190, v44
	ds_read2_b32 v[18:19], v0 offset1:1
	v_add_u32_e32 v0, 0x6198, v44
	v_dot4c_i32_i8_e32 v170, v27, v4
	v_dot4c_i32_i8_e32 v172, v15, v4
	;; [unrolled: 1-line block ×4, first 2 shown]
	ds_read2_b32 v[24:25], v0 offset1:1
	v_dot4c_i32_i8_e32 v170, v32, v1
	v_dot4c_i32_i8_e32 v172, v22, v1
	v_dot4c_i32_i8_e32 v174, v16, v1
	s_waitcnt lgkmcnt(2)
	v_dot4c_i32_i8_e32 v176, v12, v1
	v_dot4c_i32_i8_e32 v170, v33, v5
	v_dot4c_i32_i8_e32 v172, v23, v5
	v_dot4c_i32_i8_e32 v174, v17, v5
	v_dot4c_i32_i8_e32 v176, v13, v5
	v_dot4c_i32_i8_e32 v170, v36, v2
	v_dot4c_i32_i8_e32 v172, v30, v2
	v_dot4c_i32_i8_e32 v174, v20, v2
	s_waitcnt lgkmcnt(1)
	v_dot4c_i32_i8_e32 v176, v18, v2
	v_dot4c_i32_i8_e32 v170, v37, v6
	v_dot4c_i32_i8_e32 v172, v31, v6
	v_dot4c_i32_i8_e32 v174, v21, v6
	v_dot4c_i32_i8_e32 v176, v19, v6
	;; [unrolled: 9-line block ×3, first 2 shown]
	ds_read_b128 v[0:3], v43 offset:1024
	ds_read_b128 v[4:7], v43 offset:1040
	v_mov_b32_e32 v171, 0
	v_pk_mul_f16 v168, v40, v163
	v_pk_mul_f16 v169, v163, v41
	s_waitcnt lgkmcnt(1)
	v_dot4c_i32_i8_e32 v171, v26, v0
	s_waitcnt lgkmcnt(0)
	v_dot4c_i32_i8_e32 v171, v27, v4
	v_dot4c_i32_i8_e32 v171, v32, v1
	;; [unrolled: 1-line block ×7, first 2 shown]
	v_cvt_f32_f16_e32 v167, v169
	v_cvt_f32_f16_e32 v166, v168
	v_cvt_f32_f16_sdwa v169, v169 dst_sel:DWORD dst_unused:UNUSED_PAD src0_sel:WORD_1
	v_cvt_f32_f16_sdwa v168, v168 dst_sel:DWORD dst_unused:UNUSED_PAD src0_sel:WORD_1
	v_cvt_f32_i32_e32 v171, v171
	v_cvt_f32_i32_e32 v170, v170
	v_pk_mul_f16 v173, v40, v51
	v_pk_mul_f16 v175, v40, v50
	;; [unrolled: 1-line block ×3, first 2 shown]
	v_pk_fma_f32 v[166:167], v[166:167], v[170:171], v[168:169]
	v_mov_b32_e32 v170, 0
	v_dot4c_i32_i8_e32 v170, v14, v0
	v_dot4c_i32_i8_e32 v170, v15, v4
	;; [unrolled: 1-line block ×8, first 2 shown]
	v_pk_mul_f16 v168, v51, v41
	v_pk_add_f32 v[128:129], v[128:129], v[166:167]
	v_cvt_f32_f16_e32 v167, v168
	v_cvt_f32_f16_e32 v166, v173
	v_cvt_f32_f16_sdwa v169, v168 dst_sel:DWORD dst_unused:UNUSED_PAD src0_sel:WORD_1
	v_cvt_f32_f16_sdwa v168, v173 dst_sel:DWORD dst_unused:UNUSED_PAD src0_sel:WORD_1
	v_cvt_f32_i32_e32 v171, v170
	v_cvt_f32_i32_e32 v170, v172
	v_mov_b32_e32 v172, 0
	s_add_i32 s0, s0, 4
	v_add_u32_e32 v48, 4, v48
	v_pk_fma_f32 v[166:167], v[166:167], v[170:171], v[168:169]
	v_mov_b32_e32 v170, 0
	v_dot4c_i32_i8_e32 v170, v10, v0
	v_dot4c_i32_i8_e32 v170, v11, v4
	;; [unrolled: 1-line block ×8, first 2 shown]
	v_pk_mul_f16 v168, v50, v41
	v_pk_add_f32 v[122:123], v[122:123], v[166:167]
	v_cvt_f32_f16_e32 v167, v168
	v_cvt_f32_f16_e32 v166, v175
	v_cvt_f32_f16_sdwa v169, v168 dst_sel:DWORD dst_unused:UNUSED_PAD src0_sel:WORD_1
	v_cvt_f32_f16_sdwa v168, v175 dst_sel:DWORD dst_unused:UNUSED_PAD src0_sel:WORD_1
	v_cvt_f32_i32_e32 v171, v170
	v_cvt_f32_i32_e32 v170, v174
	v_mov_b32_e32 v174, 0
	v_add_u32_e32 v47, 4, v47
	v_add_u32_e32 v46, 4, v46
	v_pk_fma_f32 v[166:167], v[166:167], v[170:171], v[168:169]
	v_mov_b32_e32 v170, 0
	v_pk_add_f32 v[102:103], v[102:103], v[166:167]
	v_mov_b32_e32 v166, 0
	v_dot4c_i32_i8_e32 v166, v8, v0
	v_dot4c_i32_i8_e32 v166, v9, v4
	;; [unrolled: 1-line block ×8, first 2 shown]
	v_pk_mul_f16 v2, v49, v41
	v_cvt_f32_f16_e32 v0, v40
	v_cvt_f32_f16_e32 v1, v2
	v_cvt_f32_f16_sdwa v3, v2 dst_sel:DWORD dst_unused:UNUSED_PAD src0_sel:WORD_1
	v_cvt_f32_f16_sdwa v2, v40 dst_sel:DWORD dst_unused:UNUSED_PAD src0_sel:WORD_1
	v_cvt_f32_i32_e32 v5, v166
	v_cvt_f32_i32_e32 v4, v176
	v_mov_b32_e32 v176, 0
	v_mov_b32_e32 v171, 0
	v_add_u32_e32 v45, 4, v45
	v_pk_fma_f32 v[0:1], v[0:1], v[4:5], v[2:3]
	v_add_u32_e32 v44, 32, v44
	v_pk_add_f32 v[84:85], v[84:85], v[0:1]
	ds_read_b128 v[0:3], v43 offset:2048
	ds_read_b128 v[4:7], v43 offset:2064
	ds_read2_b32 v[40:41], v42 offset0:64 offset1:96
	s_cmp_lt_u32 s0, 28
	s_waitcnt lgkmcnt(2)
	v_dot4c_i32_i8_e32 v170, v26, v0
	v_dot4c_i32_i8_e32 v172, v14, v0
	;; [unrolled: 1-line block ×4, first 2 shown]
	s_waitcnt lgkmcnt(1)
	v_dot4c_i32_i8_e32 v170, v27, v4
	v_dot4c_i32_i8_e32 v172, v15, v4
	;; [unrolled: 1-line block ×28, first 2 shown]
	ds_read_b128 v[0:3], v43 offset:3072
	ds_read_b128 v[4:7], v43 offset:3088
	s_waitcnt lgkmcnt(2)
	v_pk_mul_f16 v168, v163, v40
	v_pk_mul_f16 v169, v163, v41
	v_cvt_f32_f16_e32 v166, v168
	s_waitcnt lgkmcnt(1)
	v_dot4c_i32_i8_e32 v171, v26, v0
	s_waitcnt lgkmcnt(0)
	v_dot4c_i32_i8_e32 v171, v27, v4
	v_dot4c_i32_i8_e32 v171, v32, v1
	;; [unrolled: 1-line block ×7, first 2 shown]
	v_cvt_f32_f16_e32 v167, v169
	v_cvt_f32_f16_sdwa v169, v169 dst_sel:DWORD dst_unused:UNUSED_PAD src0_sel:WORD_1
	v_cvt_f32_f16_sdwa v168, v168 dst_sel:DWORD dst_unused:UNUSED_PAD src0_sel:WORD_1
	v_cvt_f32_i32_e32 v171, v171
	v_cvt_f32_i32_e32 v170, v170
	v_pk_mul_f16 v173, v51, v40
	v_pk_mul_f16 v175, v50, v40
	;; [unrolled: 1-line block ×3, first 2 shown]
	v_pk_fma_f32 v[166:167], v[170:171], v[166:167], v[168:169]
	v_mov_b32_e32 v170, 0
	v_dot4c_i32_i8_e32 v170, v14, v0
	v_dot4c_i32_i8_e32 v170, v15, v4
	;; [unrolled: 1-line block ×8, first 2 shown]
	v_pk_mul_f16 v168, v51, v41
	v_pk_add_f32 v[74:75], v[74:75], v[166:167]
	v_cvt_f32_f16_e32 v167, v168
	v_cvt_f32_f16_e32 v166, v173
	v_cvt_f32_f16_sdwa v169, v168 dst_sel:DWORD dst_unused:UNUSED_PAD src0_sel:WORD_1
	v_cvt_f32_f16_sdwa v168, v173 dst_sel:DWORD dst_unused:UNUSED_PAD src0_sel:WORD_1
	v_cvt_f32_i32_e32 v171, v170
	v_cvt_f32_i32_e32 v170, v172
	v_mov_b32_e32 v172, 0
	v_pk_fma_f32 v[166:167], v[170:171], v[166:167], v[168:169]
	v_mov_b32_e32 v170, 0
	v_dot4c_i32_i8_e32 v170, v10, v0
	v_dot4c_i32_i8_e32 v170, v11, v4
	;; [unrolled: 1-line block ×8, first 2 shown]
	v_pk_mul_f16 v168, v50, v41
	v_pk_add_f32 v[72:73], v[72:73], v[166:167]
	v_cvt_f32_f16_e32 v167, v168
	v_cvt_f32_f16_e32 v166, v175
	v_cvt_f32_f16_sdwa v169, v168 dst_sel:DWORD dst_unused:UNUSED_PAD src0_sel:WORD_1
	v_cvt_f32_f16_sdwa v168, v175 dst_sel:DWORD dst_unused:UNUSED_PAD src0_sel:WORD_1
	v_cvt_f32_i32_e32 v171, v170
	v_cvt_f32_i32_e32 v170, v174
	v_mov_b32_e32 v174, 0
	v_pk_fma_f32 v[166:167], v[170:171], v[166:167], v[168:169]
	s_nop 0
	v_pk_add_f32 v[70:71], v[70:71], v[166:167]
	v_mov_b32_e32 v166, 0
	v_dot4c_i32_i8_e32 v166, v8, v0
	v_dot4c_i32_i8_e32 v166, v9, v4
	v_dot4c_i32_i8_e32 v166, v12, v1
	v_dot4c_i32_i8_e32 v166, v13, v5
	v_dot4c_i32_i8_e32 v166, v18, v2
	v_dot4c_i32_i8_e32 v166, v19, v6
	v_dot4c_i32_i8_e32 v166, v24, v3
	v_dot4c_i32_i8_e32 v166, v25, v7
	v_pk_mul_f16 v2, v49, v41
	v_cvt_f32_f16_e32 v0, v40
	v_cvt_f32_f16_e32 v1, v2
	v_cvt_f32_f16_sdwa v3, v2 dst_sel:DWORD dst_unused:UNUSED_PAD src0_sel:WORD_1
	v_cvt_f32_f16_sdwa v2, v40 dst_sel:DWORD dst_unused:UNUSED_PAD src0_sel:WORD_1
	v_cvt_f32_i32_e32 v5, v166
	v_cvt_f32_i32_e32 v4, v176
	v_mov_b32_e32 v170, 0
	v_mov_b32_e32 v176, 0
	;; [unrolled: 1-line block ×3, first 2 shown]
	v_pk_fma_f32 v[0:1], v[4:5], v[0:1], v[2:3]
	s_nop 0
	v_pk_add_f32 v[68:69], v[68:69], v[0:1]
	ds_read_b128 v[0:3], v43 offset:4096
	ds_read_b128 v[4:7], v43 offset:4112
	ds_read2_b32 v[40:41], v42 offset0:128 offset1:160
	s_waitcnt lgkmcnt(2)
	v_dot4c_i32_i8_e32 v170, v26, v0
	v_dot4c_i32_i8_e32 v172, v14, v0
	;; [unrolled: 1-line block ×4, first 2 shown]
	s_waitcnt lgkmcnt(1)
	v_dot4c_i32_i8_e32 v170, v27, v4
	v_dot4c_i32_i8_e32 v172, v15, v4
	;; [unrolled: 1-line block ×28, first 2 shown]
	ds_read_b128 v[0:3], v43 offset:5120
	ds_read_b128 v[4:7], v43 offset:5136
	s_waitcnt lgkmcnt(2)
	v_pk_mul_f16 v168, v163, v40
	v_pk_mul_f16 v169, v163, v41
	v_cvt_f32_f16_e32 v166, v168
	s_waitcnt lgkmcnt(1)
	v_dot4c_i32_i8_e32 v171, v26, v0
	s_waitcnt lgkmcnt(0)
	v_dot4c_i32_i8_e32 v171, v27, v4
	v_dot4c_i32_i8_e32 v171, v32, v1
	;; [unrolled: 1-line block ×7, first 2 shown]
	v_cvt_f32_f16_e32 v167, v169
	v_cvt_f32_f16_sdwa v169, v169 dst_sel:DWORD dst_unused:UNUSED_PAD src0_sel:WORD_1
	v_cvt_f32_f16_sdwa v168, v168 dst_sel:DWORD dst_unused:UNUSED_PAD src0_sel:WORD_1
	v_cvt_f32_i32_e32 v171, v171
	v_cvt_f32_i32_e32 v170, v170
	v_pk_mul_f16 v173, v51, v40
	v_pk_mul_f16 v175, v50, v40
	;; [unrolled: 1-line block ×3, first 2 shown]
	v_pk_fma_f32 v[166:167], v[170:171], v[166:167], v[168:169]
	v_mov_b32_e32 v170, 0
	v_dot4c_i32_i8_e32 v170, v14, v0
	v_dot4c_i32_i8_e32 v170, v15, v4
	;; [unrolled: 1-line block ×8, first 2 shown]
	v_pk_mul_f16 v168, v51, v41
	v_pk_add_f32 v[66:67], v[66:67], v[166:167]
	v_cvt_f32_f16_e32 v167, v168
	v_cvt_f32_f16_e32 v166, v173
	v_cvt_f32_f16_sdwa v169, v168 dst_sel:DWORD dst_unused:UNUSED_PAD src0_sel:WORD_1
	v_cvt_f32_f16_sdwa v168, v173 dst_sel:DWORD dst_unused:UNUSED_PAD src0_sel:WORD_1
	v_cvt_f32_i32_e32 v171, v170
	v_cvt_f32_i32_e32 v170, v172
	v_mov_b32_e32 v172, 0
	v_mov_b32_e32 v173, 0
	v_pk_fma_f32 v[166:167], v[170:171], v[166:167], v[168:169]
	v_mov_b32_e32 v170, 0
	v_dot4c_i32_i8_e32 v170, v10, v0
	v_dot4c_i32_i8_e32 v170, v11, v4
	;; [unrolled: 1-line block ×8, first 2 shown]
	v_pk_mul_f16 v168, v50, v41
	v_pk_add_f32 v[64:65], v[64:65], v[166:167]
	v_cvt_f32_f16_e32 v167, v168
	v_cvt_f32_f16_e32 v166, v175
	v_cvt_f32_f16_sdwa v169, v168 dst_sel:DWORD dst_unused:UNUSED_PAD src0_sel:WORD_1
	v_cvt_f32_f16_sdwa v168, v175 dst_sel:DWORD dst_unused:UNUSED_PAD src0_sel:WORD_1
	v_cvt_f32_i32_e32 v171, v170
	v_cvt_f32_i32_e32 v170, v174
	v_pk_fma_f32 v[166:167], v[170:171], v[166:167], v[168:169]
	s_nop 0
	v_pk_add_f32 v[62:63], v[62:63], v[166:167]
	v_mov_b32_e32 v166, 0
	v_dot4c_i32_i8_e32 v166, v8, v0
	v_dot4c_i32_i8_e32 v166, v9, v4
	;; [unrolled: 1-line block ×8, first 2 shown]
	v_pk_mul_f16 v2, v49, v41
	v_cvt_f32_f16_e32 v0, v40
	v_cvt_f32_f16_e32 v1, v2
	v_cvt_f32_f16_sdwa v3, v2 dst_sel:DWORD dst_unused:UNUSED_PAD src0_sel:WORD_1
	v_cvt_f32_f16_sdwa v2, v40 dst_sel:DWORD dst_unused:UNUSED_PAD src0_sel:WORD_1
	v_cvt_f32_i32_e32 v5, v166
	v_cvt_f32_i32_e32 v4, v176
	v_mov_b32_e32 v166, 0
	v_mov_b32_e32 v168, 0
	;; [unrolled: 1-line block ×3, first 2 shown]
	v_pk_fma_f32 v[0:1], v[4:5], v[0:1], v[2:3]
	s_nop 0
	v_pk_add_f32 v[60:61], v[60:61], v[0:1]
	ds_read_b128 v[0:3], v43 offset:6144
	ds_read_b128 v[4:7], v43 offset:6160
	ds_read2_b32 v[40:41], v42 offset0:192 offset1:224
	v_add_u32_e32 v42, 4, v42
	s_waitcnt lgkmcnt(2)
	v_dot4c_i32_i8_e32 v166, v26, v0
	v_dot4c_i32_i8_e32 v168, v14, v0
	;; [unrolled: 1-line block ×4, first 2 shown]
	s_waitcnt lgkmcnt(1)
	v_dot4c_i32_i8_e32 v166, v27, v4
	v_dot4c_i32_i8_e32 v168, v15, v4
	;; [unrolled: 1-line block ×28, first 2 shown]
	ds_read_b128 v[0:3], v43 offset:7168
	ds_read_b128 v[4:7], v43 offset:7184
	s_waitcnt lgkmcnt(2)
	v_pk_mul_f16 v167, v163, v40
	v_pk_mul_f16 v169, v51, v40
	;; [unrolled: 1-line block ×3, first 2 shown]
	s_waitcnt lgkmcnt(1)
	v_dot4c_i32_i8_e32 v173, v26, v0
	s_waitcnt lgkmcnt(0)
	v_dot4c_i32_i8_e32 v173, v27, v4
	v_dot4c_i32_i8_e32 v173, v32, v1
	;; [unrolled: 1-line block ×7, first 2 shown]
	v_pk_mul_f16 v32, v163, v41
	v_cvt_f32_f16_e32 v26, v167
	v_cvt_f32_f16_e32 v27, v32
	v_cvt_f32_f16_sdwa v33, v32 dst_sel:DWORD dst_unused:UNUSED_PAD src0_sel:WORD_1
	v_cvt_f32_f16_sdwa v32, v167 dst_sel:DWORD dst_unused:UNUSED_PAD src0_sel:WORD_1
	v_cvt_f32_i32_e32 v37, v173
	v_cvt_f32_i32_e32 v36, v166
	v_pk_mul_f16 v40, v49, v40
	v_add_u32_e32 v43, 32, v43
	v_pk_fma_f32 v[26:27], v[36:37], v[26:27], v[32:33]
	s_nop 0
	v_pk_add_f32 v[58:59], v[58:59], v[26:27]
	v_mov_b32_e32 v26, 0
	v_dot4c_i32_i8_e32 v26, v14, v0
	v_dot4c_i32_i8_e32 v26, v15, v4
	;; [unrolled: 1-line block ×8, first 2 shown]
	v_pk_mul_f16 v22, v51, v41
	v_cvt_f32_f16_e32 v14, v169
	v_cvt_f32_f16_e32 v15, v22
	v_cvt_f32_f16_sdwa v23, v22 dst_sel:DWORD dst_unused:UNUSED_PAD src0_sel:WORD_1
	v_cvt_f32_f16_sdwa v22, v169 dst_sel:DWORD dst_unused:UNUSED_PAD src0_sel:WORD_1
	v_cvt_f32_i32_e32 v27, v26
	v_cvt_f32_i32_e32 v26, v168
	v_pk_fma_f32 v[14:15], v[26:27], v[14:15], v[22:23]
	v_mov_b32_e32 v22, 0
	v_dot4c_i32_i8_e32 v22, v10, v0
	v_dot4c_i32_i8_e32 v22, v11, v4
	;; [unrolled: 1-line block ×7, first 2 shown]
	v_pk_add_f32 v[56:57], v[56:57], v[14:15]
	v_dot4c_i32_i8_e32 v22, v29, v7
	v_pk_mul_f16 v14, v50, v41
	v_cvt_f32_f16_e32 v10, v171
	v_cvt_f32_f16_e32 v11, v14
	v_cvt_f32_f16_sdwa v15, v14 dst_sel:DWORD dst_unused:UNUSED_PAD src0_sel:WORD_1
	v_cvt_f32_f16_sdwa v14, v171 dst_sel:DWORD dst_unused:UNUSED_PAD src0_sel:WORD_1
	v_cvt_f32_i32_e32 v17, v22
	v_cvt_f32_i32_e32 v16, v170
	v_pk_fma_f32 v[10:11], v[16:17], v[10:11], v[14:15]
	s_nop 0
	v_pk_add_f32 v[54:55], v[54:55], v[10:11]
	v_mov_b32_e32 v10, 0
	v_dot4c_i32_i8_e32 v10, v8, v0
	v_dot4c_i32_i8_e32 v10, v9, v4
	;; [unrolled: 1-line block ×8, first 2 shown]
	v_pk_mul_f16 v2, v49, v41
	v_cvt_f32_f16_e32 v0, v40
	v_cvt_f32_f16_e32 v1, v2
	v_cvt_f32_f16_sdwa v3, v2 dst_sel:DWORD dst_unused:UNUSED_PAD src0_sel:WORD_1
	v_cvt_f32_f16_sdwa v2, v40 dst_sel:DWORD dst_unused:UNUSED_PAD src0_sel:WORD_1
	v_cvt_f32_i32_e32 v5, v10
	v_cvt_f32_i32_e32 v4, v172
	v_pk_fma_f32 v[0:1], v[4:5], v[0:1], v[2:3]
	s_nop 0
	v_pk_add_f32 v[52:53], v[52:53], v[0:1]
	s_cbranch_scc1 .LBB164_12
; %bb.13:                               ;   in Loop: Header=BB164_7 Depth=1
	s_barrier
	s_branch .LBB164_6
.LBB164_14:
	v_mov_b32_e32 v1, v81
	v_cmp_gt_u32_e32 vcc, s10, v83
	s_and_saveexec_b64 s[0:1], vcc
	s_cbranch_execz .LBB164_3
.LBB164_15:
	v_add_u32_e32 v0, s4, v77
	v_mul_lo_u32 v5, v83, s14
	v_cmp_gt_u32_e64 s[0:1], s14, v0
	s_and_saveexec_b64 s[2:3], s[0:1]
	s_cbranch_execz .LBB164_17
; %bb.16:
	v_bfe_u32 v2, v128, 16, 1
	s_movk_i32 s4, 0x7fff
	v_add3_u32 v2, v128, v2, s4
	v_cmp_o_f32_e32 vcc, v128, v128
	v_mov_b32_e32 v3, 0x7fc0
	s_nop 0
	v_cndmask_b32_sdwa v4, v3, v2, vcc dst_sel:DWORD dst_unused:UNUSED_PAD src0_sel:DWORD src1_sel:WORD_1
	v_add_u32_e32 v2, v0, v5
	v_mov_b32_e32 v3, 0
	s_waitcnt lgkmcnt(0)
	v_lshl_add_u64 v[2:3], v[2:3], 1, s[12:13]
	global_store_short v[2:3], v4, off
.LBB164_17:
	s_or_b64 exec, exec, s[2:3]
	v_add_u32_e32 v2, 32, v0
	v_cmp_gt_u32_e64 s[2:3], s14, v2
	s_and_saveexec_b64 s[4:5], s[2:3]
	s_cbranch_execz .LBB164_19
; %bb.18:
	v_bfe_u32 v3, v122, 16, 1
	s_movk_i32 s6, 0x7fff
	v_add3_u32 v3, v122, v3, s6
	v_cmp_o_f32_e32 vcc, v122, v122
	v_mov_b32_e32 v4, 0x7fc0
	v_add_u32_e32 v6, v2, v5
	v_mov_b32_e32 v7, 0
	v_cndmask_b32_sdwa v3, v4, v3, vcc dst_sel:DWORD dst_unused:UNUSED_PAD src0_sel:DWORD src1_sel:WORD_1
	s_waitcnt lgkmcnt(0)
	v_lshl_add_u64 v[6:7], v[6:7], 1, s[12:13]
	global_store_short v[6:7], v3, off
.LBB164_19:
	s_or_b64 exec, exec, s[4:5]
	v_add_u32_e32 v3, 64, v0
	v_cmp_gt_u32_e64 s[4:5], s14, v3
	s_and_saveexec_b64 s[6:7], s[4:5]
	s_cbranch_execz .LBB164_21
; %bb.20:
	v_bfe_u32 v4, v102, 16, 1
	s_movk_i32 s8, 0x7fff
	v_add3_u32 v4, v102, v4, s8
	v_cmp_o_f32_e32 vcc, v102, v102
	v_mov_b32_e32 v6, 0x7fc0
	v_mov_b32_e32 v7, 0
	v_cndmask_b32_sdwa v4, v6, v4, vcc dst_sel:DWORD dst_unused:UNUSED_PAD src0_sel:DWORD src1_sel:WORD_1
	v_add_u32_e32 v6, v3, v5
	s_waitcnt lgkmcnt(0)
	v_lshl_add_u64 v[6:7], v[6:7], 1, s[12:13]
	global_store_short v[6:7], v4, off
.LBB164_21:
	s_or_b64 exec, exec, s[6:7]
	v_add_u32_e32 v4, 0x60, v0
	v_cmp_gt_u32_e64 s[6:7], s14, v4
	s_and_saveexec_b64 s[8:9], s[6:7]
	s_cbranch_execz .LBB164_23
; %bb.22:
	v_bfe_u32 v6, v84, 16, 1
	s_movk_i32 s11, 0x7fff
	v_add3_u32 v6, v84, v6, s11
	v_cmp_o_f32_e32 vcc, v84, v84
	v_mov_b32_e32 v7, 0x7fc0
	s_nop 0
	v_cndmask_b32_sdwa v8, v7, v6, vcc dst_sel:DWORD dst_unused:UNUSED_PAD src0_sel:DWORD src1_sel:WORD_1
	v_add_u32_e32 v6, v4, v5
	v_mov_b32_e32 v7, 0
	s_waitcnt lgkmcnt(0)
	v_lshl_add_u64 v[6:7], v[6:7], 1, s[12:13]
	global_store_short v[6:7], v8, off
.LBB164_23:
	s_or_b64 exec, exec, s[8:9]
	v_add3_u32 v5, v1, s15, 8
	v_cmp_gt_u32_e32 vcc, s10, v5
	s_and_b64 exec, exec, vcc
	s_cbranch_execz .LBB164_3
; %bb.24:
	v_mul_lo_u32 v5, v5, s14
	s_and_saveexec_b64 s[8:9], s[0:1]
	s_cbranch_execnz .LBB164_64
; %bb.25:
	s_or_b64 exec, exec, s[8:9]
	s_and_saveexec_b64 s[8:9], s[2:3]
	s_cbranch_execnz .LBB164_65
.LBB164_26:
	s_or_b64 exec, exec, s[8:9]
	s_and_saveexec_b64 s[8:9], s[4:5]
	s_cbranch_execnz .LBB164_66
.LBB164_27:
	s_or_b64 exec, exec, s[8:9]
	s_and_saveexec_b64 s[8:9], s[6:7]
	s_cbranch_execz .LBB164_29
.LBB164_28:
	v_bfe_u32 v6, v85, 16, 1
	s_movk_i32 s11, 0x7fff
	v_add3_u32 v6, v85, v6, s11
	v_cmp_o_f32_e32 vcc, v85, v85
	v_mov_b32_e32 v7, 0x7fc0
	s_nop 0
	v_cndmask_b32_sdwa v8, v7, v6, vcc dst_sel:DWORD dst_unused:UNUSED_PAD src0_sel:DWORD src1_sel:WORD_1
	v_add_u32_e32 v6, v5, v4
	v_mov_b32_e32 v7, 0
	s_waitcnt lgkmcnt(0)
	v_lshl_add_u64 v[6:7], v[6:7], 1, s[12:13]
	global_store_short v[6:7], v8, off
.LBB164_29:
	s_or_b64 exec, exec, s[8:9]
	v_add3_u32 v5, v1, s15, 16
	v_cmp_gt_u32_e32 vcc, s10, v5
	s_and_b64 exec, exec, vcc
	s_cbranch_execz .LBB164_3
; %bb.30:
	v_mul_lo_u32 v5, v5, s14
	s_and_saveexec_b64 s[8:9], s[0:1]
	s_cbranch_execnz .LBB164_67
; %bb.31:
	s_or_b64 exec, exec, s[8:9]
	s_and_saveexec_b64 s[8:9], s[2:3]
	s_cbranch_execnz .LBB164_68
.LBB164_32:
	s_or_b64 exec, exec, s[8:9]
	s_and_saveexec_b64 s[8:9], s[4:5]
	s_cbranch_execnz .LBB164_69
.LBB164_33:
	s_or_b64 exec, exec, s[8:9]
	s_and_saveexec_b64 s[8:9], s[6:7]
	s_cbranch_execz .LBB164_35
.LBB164_34:
	v_bfe_u32 v6, v68, 16, 1
	s_movk_i32 s11, 0x7fff
	v_add3_u32 v6, v68, v6, s11
	v_cmp_o_f32_e32 vcc, v68, v68
	v_mov_b32_e32 v7, 0x7fc0
	s_nop 0
	v_cndmask_b32_sdwa v8, v7, v6, vcc dst_sel:DWORD dst_unused:UNUSED_PAD src0_sel:DWORD src1_sel:WORD_1
	v_add_u32_e32 v6, v5, v4
	v_mov_b32_e32 v7, 0
	s_waitcnt lgkmcnt(0)
	v_lshl_add_u64 v[6:7], v[6:7], 1, s[12:13]
	global_store_short v[6:7], v8, off
.LBB164_35:
	s_or_b64 exec, exec, s[8:9]
	v_add3_u32 v5, v1, s15, 24
	v_cmp_gt_u32_e32 vcc, s10, v5
	s_and_b64 exec, exec, vcc
	s_cbranch_execz .LBB164_3
; %bb.36:
	v_mul_lo_u32 v5, v5, s14
	s_and_saveexec_b64 s[8:9], s[0:1]
	s_cbranch_execnz .LBB164_70
; %bb.37:
	s_or_b64 exec, exec, s[8:9]
	s_and_saveexec_b64 s[8:9], s[2:3]
	s_cbranch_execnz .LBB164_71
.LBB164_38:
	s_or_b64 exec, exec, s[8:9]
	s_and_saveexec_b64 s[8:9], s[4:5]
	s_cbranch_execnz .LBB164_72
.LBB164_39:
	s_or_b64 exec, exec, s[8:9]
	s_and_saveexec_b64 s[8:9], s[6:7]
	s_cbranch_execz .LBB164_41
.LBB164_40:
	v_bfe_u32 v6, v69, 16, 1
	s_movk_i32 s11, 0x7fff
	v_add3_u32 v6, v69, v6, s11
	v_cmp_o_f32_e32 vcc, v69, v69
	v_mov_b32_e32 v7, 0x7fc0
	s_nop 0
	v_cndmask_b32_sdwa v8, v7, v6, vcc dst_sel:DWORD dst_unused:UNUSED_PAD src0_sel:DWORD src1_sel:WORD_1
	v_add_u32_e32 v6, v5, v4
	v_mov_b32_e32 v7, 0
	s_waitcnt lgkmcnt(0)
	v_lshl_add_u64 v[6:7], v[6:7], 1, s[12:13]
	global_store_short v[6:7], v8, off
.LBB164_41:
	s_or_b64 exec, exec, s[8:9]
	v_add3_u32 v5, v1, s15, 32
	v_cmp_gt_u32_e32 vcc, s10, v5
	s_and_b64 exec, exec, vcc
	s_cbranch_execz .LBB164_3
; %bb.42:
	v_mul_lo_u32 v5, v5, s14
	s_and_saveexec_b64 s[8:9], s[0:1]
	s_cbranch_execnz .LBB164_73
; %bb.43:
	s_or_b64 exec, exec, s[8:9]
	s_and_saveexec_b64 s[8:9], s[2:3]
	s_cbranch_execnz .LBB164_74
.LBB164_44:
	s_or_b64 exec, exec, s[8:9]
	s_and_saveexec_b64 s[8:9], s[4:5]
	s_cbranch_execnz .LBB164_75
.LBB164_45:
	s_or_b64 exec, exec, s[8:9]
	s_and_saveexec_b64 s[8:9], s[6:7]
	s_cbranch_execz .LBB164_47
.LBB164_46:
	v_bfe_u32 v6, v60, 16, 1
	s_movk_i32 s11, 0x7fff
	v_add3_u32 v6, v60, v6, s11
	v_cmp_o_f32_e32 vcc, v60, v60
	v_mov_b32_e32 v7, 0x7fc0
	s_nop 0
	v_cndmask_b32_sdwa v8, v7, v6, vcc dst_sel:DWORD dst_unused:UNUSED_PAD src0_sel:DWORD src1_sel:WORD_1
	v_add_u32_e32 v6, v5, v4
	v_mov_b32_e32 v7, 0
	s_waitcnt lgkmcnt(0)
	v_lshl_add_u64 v[6:7], v[6:7], 1, s[12:13]
	global_store_short v[6:7], v8, off
.LBB164_47:
	s_or_b64 exec, exec, s[8:9]
	v_add3_u32 v5, v1, s15, 40
	v_cmp_gt_u32_e32 vcc, s10, v5
	s_and_b64 exec, exec, vcc
	s_cbranch_execz .LBB164_3
; %bb.48:
	v_mul_lo_u32 v5, v5, s14
	s_and_saveexec_b64 s[8:9], s[0:1]
	s_cbranch_execnz .LBB164_76
; %bb.49:
	s_or_b64 exec, exec, s[8:9]
	s_and_saveexec_b64 s[8:9], s[2:3]
	s_cbranch_execnz .LBB164_77
.LBB164_50:
	s_or_b64 exec, exec, s[8:9]
	s_and_saveexec_b64 s[8:9], s[4:5]
	s_cbranch_execnz .LBB164_78
.LBB164_51:
	s_or_b64 exec, exec, s[8:9]
	s_and_saveexec_b64 s[8:9], s[6:7]
	s_cbranch_execz .LBB164_53
.LBB164_52:
	v_bfe_u32 v6, v61, 16, 1
	s_movk_i32 s11, 0x7fff
	v_add3_u32 v6, v61, v6, s11
	v_cmp_o_f32_e32 vcc, v61, v61
	v_mov_b32_e32 v7, 0x7fc0
	s_nop 0
	v_cndmask_b32_sdwa v8, v7, v6, vcc dst_sel:DWORD dst_unused:UNUSED_PAD src0_sel:DWORD src1_sel:WORD_1
	v_add_u32_e32 v6, v5, v4
	v_mov_b32_e32 v7, 0
	s_waitcnt lgkmcnt(0)
	v_lshl_add_u64 v[6:7], v[6:7], 1, s[12:13]
	global_store_short v[6:7], v8, off
.LBB164_53:
	s_or_b64 exec, exec, s[8:9]
	v_add3_u32 v5, v1, s15, 48
	v_cmp_gt_u32_e32 vcc, s10, v5
	s_and_b64 exec, exec, vcc
	s_cbranch_execz .LBB164_3
; %bb.54:
	v_mul_lo_u32 v5, v5, s14
	s_and_saveexec_b64 s[8:9], s[0:1]
	s_cbranch_execnz .LBB164_79
; %bb.55:
	s_or_b64 exec, exec, s[8:9]
	s_and_saveexec_b64 s[8:9], s[2:3]
	s_cbranch_execnz .LBB164_80
.LBB164_56:
	s_or_b64 exec, exec, s[8:9]
	s_and_saveexec_b64 s[8:9], s[4:5]
	s_cbranch_execnz .LBB164_81
.LBB164_57:
	s_or_b64 exec, exec, s[8:9]
	s_and_saveexec_b64 s[8:9], s[6:7]
	s_cbranch_execz .LBB164_59
.LBB164_58:
	v_bfe_u32 v6, v52, 16, 1
	s_movk_i32 s11, 0x7fff
	v_add3_u32 v6, v52, v6, s11
	v_cmp_o_f32_e32 vcc, v52, v52
	v_mov_b32_e32 v7, 0x7fc0
	s_nop 0
	v_cndmask_b32_sdwa v8, v7, v6, vcc dst_sel:DWORD dst_unused:UNUSED_PAD src0_sel:DWORD src1_sel:WORD_1
	v_add_u32_e32 v6, v5, v4
	v_mov_b32_e32 v7, 0
	s_waitcnt lgkmcnt(0)
	v_lshl_add_u64 v[6:7], v[6:7], 1, s[12:13]
	global_store_short v[6:7], v8, off
.LBB164_59:
	s_or_b64 exec, exec, s[8:9]
	v_add3_u32 v1, v1, s15, 56
	v_cmp_gt_u32_e32 vcc, s10, v1
	s_and_b64 exec, exec, vcc
	s_cbranch_execz .LBB164_3
; %bb.60:
	v_mul_lo_u32 v1, v1, s14
	s_and_saveexec_b64 s[8:9], s[0:1]
	s_cbranch_execnz .LBB164_82
; %bb.61:
	s_or_b64 exec, exec, s[8:9]
	s_and_saveexec_b64 s[0:1], s[2:3]
	s_cbranch_execnz .LBB164_83
.LBB164_62:
	s_or_b64 exec, exec, s[0:1]
	s_and_saveexec_b64 s[0:1], s[4:5]
	s_cbranch_execnz .LBB164_84
.LBB164_63:
	s_or_b64 exec, exec, s[0:1]
	s_and_b64 exec, exec, s[6:7]
	s_cbranch_execz .LBB164_3
	s_branch .LBB164_85
.LBB164_64:
	v_bfe_u32 v6, v129, 16, 1
	s_movk_i32 s11, 0x7fff
	v_add3_u32 v6, v129, v6, s11
	v_cmp_o_f32_e32 vcc, v129, v129
	v_mov_b32_e32 v7, 0x7fc0
	s_nop 0
	v_cndmask_b32_sdwa v8, v7, v6, vcc dst_sel:DWORD dst_unused:UNUSED_PAD src0_sel:DWORD src1_sel:WORD_1
	v_add_u32_e32 v6, v5, v0
	v_mov_b32_e32 v7, 0
	s_waitcnt lgkmcnt(0)
	v_lshl_add_u64 v[6:7], v[6:7], 1, s[12:13]
	global_store_short v[6:7], v8, off
	s_or_b64 exec, exec, s[8:9]
	s_and_saveexec_b64 s[8:9], s[2:3]
	s_cbranch_execz .LBB164_26
.LBB164_65:
	v_bfe_u32 v6, v123, 16, 1
	s_movk_i32 s11, 0x7fff
	v_add3_u32 v6, v123, v6, s11
	v_cmp_o_f32_e32 vcc, v123, v123
	v_mov_b32_e32 v7, 0x7fc0
	s_nop 0
	v_cndmask_b32_sdwa v8, v7, v6, vcc dst_sel:DWORD dst_unused:UNUSED_PAD src0_sel:DWORD src1_sel:WORD_1
	v_add_u32_e32 v6, v5, v2
	v_mov_b32_e32 v7, 0
	s_waitcnt lgkmcnt(0)
	v_lshl_add_u64 v[6:7], v[6:7], 1, s[12:13]
	global_store_short v[6:7], v8, off
	s_or_b64 exec, exec, s[8:9]
	s_and_saveexec_b64 s[8:9], s[4:5]
	s_cbranch_execz .LBB164_27
.LBB164_66:
	v_bfe_u32 v6, v103, 16, 1
	s_movk_i32 s11, 0x7fff
	v_add3_u32 v6, v103, v6, s11
	v_cmp_o_f32_e32 vcc, v103, v103
	v_mov_b32_e32 v7, 0x7fc0
	s_nop 0
	v_cndmask_b32_sdwa v8, v7, v6, vcc dst_sel:DWORD dst_unused:UNUSED_PAD src0_sel:DWORD src1_sel:WORD_1
	v_add_u32_e32 v6, v5, v3
	v_mov_b32_e32 v7, 0
	s_waitcnt lgkmcnt(0)
	v_lshl_add_u64 v[6:7], v[6:7], 1, s[12:13]
	global_store_short v[6:7], v8, off
	s_or_b64 exec, exec, s[8:9]
	s_and_saveexec_b64 s[8:9], s[6:7]
	s_cbranch_execnz .LBB164_28
	s_branch .LBB164_29
.LBB164_67:
	v_bfe_u32 v6, v74, 16, 1
	s_movk_i32 s11, 0x7fff
	v_add3_u32 v6, v74, v6, s11
	v_cmp_o_f32_e32 vcc, v74, v74
	v_mov_b32_e32 v7, 0x7fc0
	s_nop 0
	v_cndmask_b32_sdwa v8, v7, v6, vcc dst_sel:DWORD dst_unused:UNUSED_PAD src0_sel:DWORD src1_sel:WORD_1
	v_add_u32_e32 v6, v5, v0
	v_mov_b32_e32 v7, 0
	s_waitcnt lgkmcnt(0)
	v_lshl_add_u64 v[6:7], v[6:7], 1, s[12:13]
	global_store_short v[6:7], v8, off
	s_or_b64 exec, exec, s[8:9]
	s_and_saveexec_b64 s[8:9], s[2:3]
	s_cbranch_execz .LBB164_32
.LBB164_68:
	v_bfe_u32 v6, v72, 16, 1
	s_movk_i32 s11, 0x7fff
	v_add3_u32 v6, v72, v6, s11
	v_cmp_o_f32_e32 vcc, v72, v72
	v_mov_b32_e32 v7, 0x7fc0
	s_nop 0
	v_cndmask_b32_sdwa v8, v7, v6, vcc dst_sel:DWORD dst_unused:UNUSED_PAD src0_sel:DWORD src1_sel:WORD_1
	v_add_u32_e32 v6, v5, v2
	v_mov_b32_e32 v7, 0
	s_waitcnt lgkmcnt(0)
	v_lshl_add_u64 v[6:7], v[6:7], 1, s[12:13]
	global_store_short v[6:7], v8, off
	s_or_b64 exec, exec, s[8:9]
	s_and_saveexec_b64 s[8:9], s[4:5]
	s_cbranch_execz .LBB164_33
.LBB164_69:
	v_bfe_u32 v6, v70, 16, 1
	s_movk_i32 s11, 0x7fff
	v_add3_u32 v6, v70, v6, s11
	v_cmp_o_f32_e32 vcc, v70, v70
	v_mov_b32_e32 v7, 0x7fc0
	s_nop 0
	v_cndmask_b32_sdwa v8, v7, v6, vcc dst_sel:DWORD dst_unused:UNUSED_PAD src0_sel:DWORD src1_sel:WORD_1
	v_add_u32_e32 v6, v5, v3
	v_mov_b32_e32 v7, 0
	s_waitcnt lgkmcnt(0)
	v_lshl_add_u64 v[6:7], v[6:7], 1, s[12:13]
	global_store_short v[6:7], v8, off
	s_or_b64 exec, exec, s[8:9]
	s_and_saveexec_b64 s[8:9], s[6:7]
	s_cbranch_execnz .LBB164_34
	s_branch .LBB164_35
.LBB164_70:
	v_bfe_u32 v6, v75, 16, 1
	s_movk_i32 s11, 0x7fff
	v_add3_u32 v6, v75, v6, s11
	v_cmp_o_f32_e32 vcc, v75, v75
	v_mov_b32_e32 v7, 0x7fc0
	s_nop 0
	v_cndmask_b32_sdwa v8, v7, v6, vcc dst_sel:DWORD dst_unused:UNUSED_PAD src0_sel:DWORD src1_sel:WORD_1
	v_add_u32_e32 v6, v5, v0
	v_mov_b32_e32 v7, 0
	s_waitcnt lgkmcnt(0)
	v_lshl_add_u64 v[6:7], v[6:7], 1, s[12:13]
	global_store_short v[6:7], v8, off
	s_or_b64 exec, exec, s[8:9]
	s_and_saveexec_b64 s[8:9], s[2:3]
	s_cbranch_execz .LBB164_38
.LBB164_71:
	v_bfe_u32 v6, v73, 16, 1
	s_movk_i32 s11, 0x7fff
	v_add3_u32 v6, v73, v6, s11
	v_cmp_o_f32_e32 vcc, v73, v73
	v_mov_b32_e32 v7, 0x7fc0
	s_nop 0
	v_cndmask_b32_sdwa v8, v7, v6, vcc dst_sel:DWORD dst_unused:UNUSED_PAD src0_sel:DWORD src1_sel:WORD_1
	v_add_u32_e32 v6, v5, v2
	v_mov_b32_e32 v7, 0
	s_waitcnt lgkmcnt(0)
	v_lshl_add_u64 v[6:7], v[6:7], 1, s[12:13]
	global_store_short v[6:7], v8, off
	s_or_b64 exec, exec, s[8:9]
	s_and_saveexec_b64 s[8:9], s[4:5]
	s_cbranch_execz .LBB164_39
.LBB164_72:
	v_bfe_u32 v6, v71, 16, 1
	s_movk_i32 s11, 0x7fff
	v_add3_u32 v6, v71, v6, s11
	v_cmp_o_f32_e32 vcc, v71, v71
	v_mov_b32_e32 v7, 0x7fc0
	s_nop 0
	v_cndmask_b32_sdwa v8, v7, v6, vcc dst_sel:DWORD dst_unused:UNUSED_PAD src0_sel:DWORD src1_sel:WORD_1
	v_add_u32_e32 v6, v5, v3
	v_mov_b32_e32 v7, 0
	s_waitcnt lgkmcnt(0)
	v_lshl_add_u64 v[6:7], v[6:7], 1, s[12:13]
	global_store_short v[6:7], v8, off
	s_or_b64 exec, exec, s[8:9]
	s_and_saveexec_b64 s[8:9], s[6:7]
	s_cbranch_execnz .LBB164_40
	s_branch .LBB164_41
.LBB164_73:
	v_bfe_u32 v6, v66, 16, 1
	s_movk_i32 s11, 0x7fff
	v_add3_u32 v6, v66, v6, s11
	v_cmp_o_f32_e32 vcc, v66, v66
	v_mov_b32_e32 v7, 0x7fc0
	s_nop 0
	v_cndmask_b32_sdwa v8, v7, v6, vcc dst_sel:DWORD dst_unused:UNUSED_PAD src0_sel:DWORD src1_sel:WORD_1
	v_add_u32_e32 v6, v5, v0
	v_mov_b32_e32 v7, 0
	s_waitcnt lgkmcnt(0)
	v_lshl_add_u64 v[6:7], v[6:7], 1, s[12:13]
	global_store_short v[6:7], v8, off
	s_or_b64 exec, exec, s[8:9]
	s_and_saveexec_b64 s[8:9], s[2:3]
	s_cbranch_execz .LBB164_44
.LBB164_74:
	v_bfe_u32 v6, v64, 16, 1
	s_movk_i32 s11, 0x7fff
	v_add3_u32 v6, v64, v6, s11
	v_cmp_o_f32_e32 vcc, v64, v64
	v_mov_b32_e32 v7, 0x7fc0
	s_nop 0
	v_cndmask_b32_sdwa v8, v7, v6, vcc dst_sel:DWORD dst_unused:UNUSED_PAD src0_sel:DWORD src1_sel:WORD_1
	v_add_u32_e32 v6, v5, v2
	v_mov_b32_e32 v7, 0
	s_waitcnt lgkmcnt(0)
	v_lshl_add_u64 v[6:7], v[6:7], 1, s[12:13]
	global_store_short v[6:7], v8, off
	s_or_b64 exec, exec, s[8:9]
	s_and_saveexec_b64 s[8:9], s[4:5]
	s_cbranch_execz .LBB164_45
.LBB164_75:
	v_bfe_u32 v6, v62, 16, 1
	s_movk_i32 s11, 0x7fff
	v_add3_u32 v6, v62, v6, s11
	v_cmp_o_f32_e32 vcc, v62, v62
	v_mov_b32_e32 v7, 0x7fc0
	s_nop 0
	v_cndmask_b32_sdwa v8, v7, v6, vcc dst_sel:DWORD dst_unused:UNUSED_PAD src0_sel:DWORD src1_sel:WORD_1
	v_add_u32_e32 v6, v5, v3
	v_mov_b32_e32 v7, 0
	s_waitcnt lgkmcnt(0)
	v_lshl_add_u64 v[6:7], v[6:7], 1, s[12:13]
	global_store_short v[6:7], v8, off
	s_or_b64 exec, exec, s[8:9]
	s_and_saveexec_b64 s[8:9], s[6:7]
	s_cbranch_execnz .LBB164_46
	s_branch .LBB164_47
.LBB164_76:
	v_bfe_u32 v6, v67, 16, 1
	s_movk_i32 s11, 0x7fff
	v_add3_u32 v6, v67, v6, s11
	v_cmp_o_f32_e32 vcc, v67, v67
	v_mov_b32_e32 v7, 0x7fc0
	s_nop 0
	v_cndmask_b32_sdwa v8, v7, v6, vcc dst_sel:DWORD dst_unused:UNUSED_PAD src0_sel:DWORD src1_sel:WORD_1
	v_add_u32_e32 v6, v5, v0
	v_mov_b32_e32 v7, 0
	s_waitcnt lgkmcnt(0)
	v_lshl_add_u64 v[6:7], v[6:7], 1, s[12:13]
	global_store_short v[6:7], v8, off
	s_or_b64 exec, exec, s[8:9]
	s_and_saveexec_b64 s[8:9], s[2:3]
	s_cbranch_execz .LBB164_50
.LBB164_77:
	v_bfe_u32 v6, v65, 16, 1
	s_movk_i32 s11, 0x7fff
	v_add3_u32 v6, v65, v6, s11
	v_cmp_o_f32_e32 vcc, v65, v65
	v_mov_b32_e32 v7, 0x7fc0
	s_nop 0
	v_cndmask_b32_sdwa v8, v7, v6, vcc dst_sel:DWORD dst_unused:UNUSED_PAD src0_sel:DWORD src1_sel:WORD_1
	v_add_u32_e32 v6, v5, v2
	v_mov_b32_e32 v7, 0
	s_waitcnt lgkmcnt(0)
	v_lshl_add_u64 v[6:7], v[6:7], 1, s[12:13]
	global_store_short v[6:7], v8, off
	s_or_b64 exec, exec, s[8:9]
	s_and_saveexec_b64 s[8:9], s[4:5]
	s_cbranch_execz .LBB164_51
.LBB164_78:
	v_bfe_u32 v6, v63, 16, 1
	s_movk_i32 s11, 0x7fff
	v_add3_u32 v6, v63, v6, s11
	v_cmp_o_f32_e32 vcc, v63, v63
	v_mov_b32_e32 v7, 0x7fc0
	s_nop 0
	v_cndmask_b32_sdwa v8, v7, v6, vcc dst_sel:DWORD dst_unused:UNUSED_PAD src0_sel:DWORD src1_sel:WORD_1
	v_add_u32_e32 v6, v5, v3
	v_mov_b32_e32 v7, 0
	s_waitcnt lgkmcnt(0)
	v_lshl_add_u64 v[6:7], v[6:7], 1, s[12:13]
	global_store_short v[6:7], v8, off
	s_or_b64 exec, exec, s[8:9]
	s_and_saveexec_b64 s[8:9], s[6:7]
	s_cbranch_execnz .LBB164_52
	s_branch .LBB164_53
.LBB164_79:
	v_bfe_u32 v6, v58, 16, 1
	s_movk_i32 s11, 0x7fff
	v_add3_u32 v6, v58, v6, s11
	v_cmp_o_f32_e32 vcc, v58, v58
	v_mov_b32_e32 v7, 0x7fc0
	s_nop 0
	v_cndmask_b32_sdwa v8, v7, v6, vcc dst_sel:DWORD dst_unused:UNUSED_PAD src0_sel:DWORD src1_sel:WORD_1
	v_add_u32_e32 v6, v5, v0
	v_mov_b32_e32 v7, 0
	s_waitcnt lgkmcnt(0)
	v_lshl_add_u64 v[6:7], v[6:7], 1, s[12:13]
	global_store_short v[6:7], v8, off
	s_or_b64 exec, exec, s[8:9]
	s_and_saveexec_b64 s[8:9], s[2:3]
	s_cbranch_execz .LBB164_56
.LBB164_80:
	v_bfe_u32 v6, v56, 16, 1
	s_movk_i32 s11, 0x7fff
	v_add3_u32 v6, v56, v6, s11
	v_cmp_o_f32_e32 vcc, v56, v56
	v_mov_b32_e32 v7, 0x7fc0
	s_nop 0
	v_cndmask_b32_sdwa v8, v7, v6, vcc dst_sel:DWORD dst_unused:UNUSED_PAD src0_sel:DWORD src1_sel:WORD_1
	v_add_u32_e32 v6, v5, v2
	v_mov_b32_e32 v7, 0
	s_waitcnt lgkmcnt(0)
	v_lshl_add_u64 v[6:7], v[6:7], 1, s[12:13]
	global_store_short v[6:7], v8, off
	s_or_b64 exec, exec, s[8:9]
	s_and_saveexec_b64 s[8:9], s[4:5]
	s_cbranch_execz .LBB164_57
.LBB164_81:
	v_bfe_u32 v6, v54, 16, 1
	s_movk_i32 s11, 0x7fff
	v_add3_u32 v6, v54, v6, s11
	v_cmp_o_f32_e32 vcc, v54, v54
	v_mov_b32_e32 v7, 0x7fc0
	s_nop 0
	v_cndmask_b32_sdwa v8, v7, v6, vcc dst_sel:DWORD dst_unused:UNUSED_PAD src0_sel:DWORD src1_sel:WORD_1
	v_add_u32_e32 v6, v5, v3
	v_mov_b32_e32 v7, 0
	s_waitcnt lgkmcnt(0)
	v_lshl_add_u64 v[6:7], v[6:7], 1, s[12:13]
	global_store_short v[6:7], v8, off
	s_or_b64 exec, exec, s[8:9]
	s_and_saveexec_b64 s[8:9], s[6:7]
	s_cbranch_execnz .LBB164_58
	s_branch .LBB164_59
.LBB164_82:
	v_bfe_u32 v5, v59, 16, 1
	s_movk_i32 s0, 0x7fff
	v_add3_u32 v5, v59, v5, s0
	v_cmp_o_f32_e32 vcc, v59, v59
	v_mov_b32_e32 v6, 0x7fc0
	v_mov_b32_e32 v7, 0
	v_cndmask_b32_sdwa v5, v6, v5, vcc dst_sel:DWORD dst_unused:UNUSED_PAD src0_sel:DWORD src1_sel:WORD_1
	v_add_u32_e32 v6, v1, v0
	s_waitcnt lgkmcnt(0)
	v_lshl_add_u64 v[6:7], v[6:7], 1, s[12:13]
	global_store_short v[6:7], v5, off
	s_or_b64 exec, exec, s[8:9]
	s_and_saveexec_b64 s[0:1], s[2:3]
	s_cbranch_execz .LBB164_62
.LBB164_83:
	v_bfe_u32 v0, v57, 16, 1
	s_movk_i32 s2, 0x7fff
	v_add3_u32 v0, v57, v0, s2
	v_cmp_o_f32_e32 vcc, v57, v57
	v_mov_b32_e32 v5, 0x7fc0
	v_add_u32_e32 v6, v1, v2
	v_mov_b32_e32 v7, 0
	v_cndmask_b32_sdwa v0, v5, v0, vcc dst_sel:DWORD dst_unused:UNUSED_PAD src0_sel:DWORD src1_sel:WORD_1
	s_waitcnt lgkmcnt(0)
	v_lshl_add_u64 v[6:7], v[6:7], 1, s[12:13]
	global_store_short v[6:7], v0, off
	s_or_b64 exec, exec, s[0:1]
	s_and_saveexec_b64 s[0:1], s[4:5]
	s_cbranch_execz .LBB164_63
.LBB164_84:
	v_bfe_u32 v0, v55, 16, 1
	s_movk_i32 s2, 0x7fff
	v_add3_u32 v0, v55, v0, s2
	v_cmp_o_f32_e32 vcc, v55, v55
	v_mov_b32_e32 v2, 0x7fc0
	s_nop 0
	v_cndmask_b32_sdwa v0, v2, v0, vcc dst_sel:DWORD dst_unused:UNUSED_PAD src0_sel:DWORD src1_sel:WORD_1
	v_add_u32_e32 v2, v1, v3
	v_mov_b32_e32 v3, 0
	s_waitcnt lgkmcnt(0)
	v_lshl_add_u64 v[2:3], v[2:3], 1, s[12:13]
	global_store_short v[2:3], v0, off
	s_or_b64 exec, exec, s[0:1]
	s_and_b64 exec, exec, s[6:7]
	s_cbranch_execz .LBB164_3
.LBB164_85:
	v_bfe_u32 v0, v53, 16, 1
	s_movk_i32 s0, 0x7fff
	v_add3_u32 v0, v53, v0, s0
	v_cmp_o_f32_e32 vcc, v53, v53
	v_mov_b32_e32 v2, 0x7fc0
	s_nop 0
	v_cndmask_b32_sdwa v2, v2, v0, vcc dst_sel:DWORD dst_unused:UNUSED_PAD src0_sel:DWORD src1_sel:WORD_1
	v_add_u32_e32 v0, v1, v4
	v_mov_b32_e32 v1, 0
	s_waitcnt lgkmcnt(0)
	v_lshl_add_u64 v[0:1], v[0:1], 1, s[12:13]
	global_store_short v[0:1], v2, off
	s_endpgm
	.section	.rodata,"a",@progbits
	.p2align	6, 0x0
	.amdhsa_kernel _ZL12mul_mat_q5_1IN3c108BFloat16ELb1EEvPKvS3_PT_iiiii
		.amdhsa_group_segment_fixed_size 46720
		.amdhsa_private_segment_fixed_size 0
		.amdhsa_kernarg_size 44
		.amdhsa_user_sgpr_count 2
		.amdhsa_user_sgpr_dispatch_ptr 0
		.amdhsa_user_sgpr_queue_ptr 0
		.amdhsa_user_sgpr_kernarg_segment_ptr 1
		.amdhsa_user_sgpr_dispatch_id 0
		.amdhsa_user_sgpr_kernarg_preload_length 0
		.amdhsa_user_sgpr_kernarg_preload_offset 0
		.amdhsa_user_sgpr_private_segment_size 0
		.amdhsa_uses_dynamic_stack 0
		.amdhsa_enable_private_segment 0
		.amdhsa_system_sgpr_workgroup_id_x 1
		.amdhsa_system_sgpr_workgroup_id_y 1
		.amdhsa_system_sgpr_workgroup_id_z 0
		.amdhsa_system_sgpr_workgroup_info 0
		.amdhsa_system_vgpr_workitem_id 1
		.amdhsa_next_free_vgpr 246
		.amdhsa_next_free_sgpr 96
		.amdhsa_accum_offset 248
		.amdhsa_reserve_vcc 1
		.amdhsa_float_round_mode_32 0
		.amdhsa_float_round_mode_16_64 0
		.amdhsa_float_denorm_mode_32 3
		.amdhsa_float_denorm_mode_16_64 3
		.amdhsa_dx10_clamp 1
		.amdhsa_ieee_mode 1
		.amdhsa_fp16_overflow 0
		.amdhsa_tg_split 0
		.amdhsa_exception_fp_ieee_invalid_op 0
		.amdhsa_exception_fp_denorm_src 0
		.amdhsa_exception_fp_ieee_div_zero 0
		.amdhsa_exception_fp_ieee_overflow 0
		.amdhsa_exception_fp_ieee_underflow 0
		.amdhsa_exception_fp_ieee_inexact 0
		.amdhsa_exception_int_div_zero 0
	.end_amdhsa_kernel
	.section	.text._ZL12mul_mat_q5_1IN3c108BFloat16ELb1EEvPKvS3_PT_iiiii,"axG",@progbits,_ZL12mul_mat_q5_1IN3c108BFloat16ELb1EEvPKvS3_PT_iiiii,comdat
.Lfunc_end164:
	.size	_ZL12mul_mat_q5_1IN3c108BFloat16ELb1EEvPKvS3_PT_iiiii, .Lfunc_end164-_ZL12mul_mat_q5_1IN3c108BFloat16ELb1EEvPKvS3_PT_iiiii
                                        ; -- End function
	.set _ZL12mul_mat_q5_1IN3c108BFloat16ELb1EEvPKvS3_PT_iiiii.num_vgpr, 246
	.set _ZL12mul_mat_q5_1IN3c108BFloat16ELb1EEvPKvS3_PT_iiiii.num_agpr, 0
	.set _ZL12mul_mat_q5_1IN3c108BFloat16ELb1EEvPKvS3_PT_iiiii.numbered_sgpr, 18
	.set _ZL12mul_mat_q5_1IN3c108BFloat16ELb1EEvPKvS3_PT_iiiii.num_named_barrier, 0
	.set _ZL12mul_mat_q5_1IN3c108BFloat16ELb1EEvPKvS3_PT_iiiii.private_seg_size, 0
	.set _ZL12mul_mat_q5_1IN3c108BFloat16ELb1EEvPKvS3_PT_iiiii.uses_vcc, 1
	.set _ZL12mul_mat_q5_1IN3c108BFloat16ELb1EEvPKvS3_PT_iiiii.uses_flat_scratch, 0
	.set _ZL12mul_mat_q5_1IN3c108BFloat16ELb1EEvPKvS3_PT_iiiii.has_dyn_sized_stack, 0
	.set _ZL12mul_mat_q5_1IN3c108BFloat16ELb1EEvPKvS3_PT_iiiii.has_recursion, 0
	.set _ZL12mul_mat_q5_1IN3c108BFloat16ELb1EEvPKvS3_PT_iiiii.has_indirect_call, 0
	.section	.AMDGPU.csdata,"",@progbits
; Kernel info:
; codeLenInByte = 14140
; TotalNumSgprs: 24
; NumVgprs: 246
; NumAgprs: 0
; TotalNumVgprs: 246
; ScratchSize: 0
; MemoryBound: 0
; FloatMode: 240
; IeeeMode: 1
; LDSByteSize: 46720 bytes/workgroup (compile time only)
; SGPRBlocks: 12
; VGPRBlocks: 30
; NumSGPRsForWavesPerEU: 102
; NumVGPRsForWavesPerEU: 246
; AccumOffset: 248
; Occupancy: 2
; WaveLimiterHint : 0
; COMPUTE_PGM_RSRC2:SCRATCH_EN: 0
; COMPUTE_PGM_RSRC2:USER_SGPR: 2
; COMPUTE_PGM_RSRC2:TRAP_HANDLER: 0
; COMPUTE_PGM_RSRC2:TGID_X_EN: 1
; COMPUTE_PGM_RSRC2:TGID_Y_EN: 1
; COMPUTE_PGM_RSRC2:TGID_Z_EN: 0
; COMPUTE_PGM_RSRC2:TIDIG_COMP_CNT: 1
; COMPUTE_PGM_RSRC3_GFX90A:ACCUM_OFFSET: 61
; COMPUTE_PGM_RSRC3_GFX90A:TG_SPLIT: 0
	.section	.text._ZL12mul_mat_q8_0IN3c108BFloat16ELb0EEvPKvS3_PT_iiiii,"axG",@progbits,_ZL12mul_mat_q8_0IN3c108BFloat16ELb0EEvPKvS3_PT_iiiii,comdat
	.globl	_ZL12mul_mat_q8_0IN3c108BFloat16ELb0EEvPKvS3_PT_iiiii ; -- Begin function _ZL12mul_mat_q8_0IN3c108BFloat16ELb0EEvPKvS3_PT_iiiii
	.p2align	8
	.type	_ZL12mul_mat_q8_0IN3c108BFloat16ELb0EEvPKvS3_PT_iiiii,@function
_ZL12mul_mat_q8_0IN3c108BFloat16ELb0EEvPKvS3_PT_iiiii: ; @_ZL12mul_mat_q8_0IN3c108BFloat16ELb0EEvPKvS3_PT_iiiii
; %bb.0:
	s_load_dword s7, s[0:1], 0x18
	s_load_dwordx4 s[8:11], s[0:1], 0x20
	s_waitcnt lgkmcnt(0)
	s_lshl_b32 s11, s3, 6
	v_bfe_u32 v45, v0, 10, 10
	s_cmp_gt_i32 s7, 31
	s_cbranch_scc1 .LBB165_2
; %bb.1:
	v_bfe_u32 v1, v0, 10, 10
	v_and_b32_e32 v41, 0x3ff, v0
	v_add_u32_e32 v47, s11, v1
	s_mov_b64 s[4:5], 0
	s_branch .LBB165_3
.LBB165_2:
	s_mov_b64 s[4:5], -1
                                        ; implicit-def: $vgpr1
                                        ; implicit-def: $vgpr41
                                        ; implicit-def: $vgpr47
.LBB165_3:
	s_load_dwordx2 s[12:13], s[0:1], 0x10
	s_lshl_b32 s6, s2, 7
	v_mov_b32_e32 v9, 0
	s_andn2_b64 vcc, exec, s[4:5]
	v_mov_b32_e32 v8, 0
	v_mov_b32_e32 v17, 0
	;; [unrolled: 1-line block ×31, first 2 shown]
	s_cbranch_vccnz .LBB165_9
; %bb.4:
	s_ashr_i32 s4, s7, 31
	s_load_dwordx4 s[0:3], s[0:1], 0x0
	s_lshr_b32 s4, s4, 27
	s_ashr_i32 s5, s9, 31
	s_add_i32 s7, s7, s4
	s_lshr_b32 s5, s5, 27
	s_ashr_i32 s4, s7, 5
	s_add_i32 s5, s9, s5
	s_ashr_i32 s9, s5, 5
	s_mul_i32 s5, s4, s6
	s_mul_hi_i32 s7, s5, 34
	s_mul_i32 s5, s5, 34
	v_and_b32_e32 v41, 0x3ff, v0
	s_waitcnt lgkmcnt(0)
	s_add_u32 s5, s0, s5
	v_lshlrev_b32_e32 v1, 2, v41
	s_movk_i32 s0, 0x84
	s_addc_u32 s7, s1, s7
	v_mul_lo_u32 v44, s4, v45
	v_mad_u32_u24 v49, v45, s0, v1
	s_lshl_b32 s0, s4, 3
	v_add_u32_e32 v46, s0, v44
	v_add_u32_e32 v48, s0, v46
	;; [unrolled: 1-line block ×7, first 2 shown]
	v_and_b32_e32 v42, 28, v1
	v_add_u32_e32 v60, s0, v58
	v_lshlrev_b32_e32 v1, 3, v45
	v_bfe_u32 v2, v0, 2, 8
	v_add_u32_e32 v62, s0, v60
	v_add_u32_e32 v4, v2, v1
	v_add_u16_e32 v1, v2, v1
	v_add_u32_e32 v64, s0, v62
	v_and_b32_e32 v76, 3, v0
	v_lshrrev_b16_e32 v1, 1, v1
	v_add_u32_e32 v66, s0, v64
	v_and_b32_e32 v1, 0x7fc, v1
	v_lshlrev_b32_e32 v5, 2, v76
	s_movk_i32 s14, 0x6200
	v_add_u32_e32 v68, s0, v66
	v_add3_u32 v6, v1, v5, s14
	v_add_u32_e32 v1, 64, v4
	v_bfe_u32 v40, v0, 3, 7
	v_add_u32_e32 v70, s0, v68
	v_lshrrev_b32_e32 v2, 1, v1
	v_lshlrev_b32_e32 v9, 4, v1
	v_and_b32_e32 v0, 31, v0
	v_mov_b32_e32 v1, 0x4200
	v_add_u32_e32 v72, s0, v70
	v_lshl_or_b32 v10, v0, 2, v1
	v_and_b32_e32 v0, 63, v4
	v_add_u32_e32 v74, s0, v72
	s_add_i32 s0, s8, -1
	v_or_b32_e32 v1, s11, v0
	v_add_u32_e32 v77, 0x39c0, v49
	v_and_b32_e32 v2, 0xffc, v2
	v_add_u32_e32 v47, s11, v45
	v_min_i32_e32 v1, s0, v1
	v_lshl_or_b32 v0, v0, 4, v5
	v_add3_u32 v8, v2, v5, s14
	v_cvt_f64_i32_e32 v[2:3], s0
	v_mad_u64_u32 v[82:83], s[0:1], v1, s9, v[76:77]
	v_add_u32_e32 v81, 0x6a40, v0
	v_cvt_f64_u32_e32 v[0:1], v47
	v_min_f64 v[0:1], v[0:1], v[2:3]
	v_cvt_i32_f64_e32 v0, v[0:1]
	v_mul_lo_u32 v83, s9, v0
	v_add_u32_e32 v0, 8, v47
	v_cvt_f64_u32_e32 v[0:1], v0
	v_min_f64 v[0:1], v[0:1], v[2:3]
	v_cvt_i32_f64_e32 v0, v[0:1]
	v_mul_lo_u32 v87, s9, v0
	;; [unrolled: 5-line block ×7, first 2 shown]
	v_add_u32_e32 v0, 56, v47
	v_cvt_f64_u32_e32 v[0:1], v0
	v_min_f64 v[0:1], v[0:1], v[2:3]
	v_add_u32_e32 v3, 0x60, v41
	v_add_u32_e32 v2, 64, v41
	v_lshrrev_b32_e32 v3, 1, v3
	v_cvt_i32_f64_e32 v0, v[0:1]
	v_add_u32_e32 v1, 32, v41
	v_lshlrev_b32_e32 v16, 4, v41
	v_and_b32_e32 v3, 0xfc, v3
	s_movk_i32 s0, 0x6800
	v_lshrrev_b32_e32 v2, 1, v2
	v_add3_u32 v132, v16, v3, s0
	v_and_b32_e32 v2, 0xfc, v2
	s_movk_i32 s0, 0x6600
	v_lshrrev_b32_e32 v1, 1, v1
	v_add3_u32 v133, v16, v2, s0
	v_and_b32_e32 v1, 0xfc, v1
	s_movk_i32 s0, 0x6400
	v_mov_b32_e32 v43, 0
	v_mul_lo_u32 v78, s4, v4
	v_lshlrev_b32_e32 v7, 4, v4
	v_lshlrev_b32_e32 v4, 7, v45
	v_add3_u32 v134, v16, v1, s0
	v_lshlrev_b32_e32 v1, 2, v40
	v_add_u32_e32 v5, 0x400, v4
	v_add_u32_e32 v11, 0x800, v4
	;; [unrolled: 1-line block ×6, first 2 shown]
	v_mul_lo_u32 v130, s9, v0
	v_add_u32_e32 v0, 0x1c00, v4
	v_add3_u32 v135, v16, v1, s14
	v_mov_b32_e32 v1, 0x6a40
	v_mov_b32_e32 v38, v43
	v_mov_b32_e32 v39, v43
	v_add_u32_e32 v51, 0x420, v49
	v_add_u32_e32 v53, 0x840, v49
	;; [unrolled: 1-line block ×14, first 2 shown]
	v_lshl_add_u32 v80, s4, 6, v78
	v_mul_u32_u24_e32 v131, 0x84, v41
	v_lshl_add_u32 v136, v45, 4, v1
	v_add_u32_e32 v137, 0x4200, v4
	s_mov_b32 s9, 0
	v_add_u32_e32 v138, v6, v7
	v_add_u32_e32 v139, v8, v9
	;; [unrolled: 1-line block ×10, first 2 shown]
	v_lshl_add_u64 v[84:85], s[2:3], 0, v[42:43]
	v_mov_b64_e32 v[30:31], v[38:39]
	v_mov_b64_e32 v[22:23], v[38:39]
	;; [unrolled: 1-line block ×15, first 2 shown]
.LBB165_5:                              ; =>This Loop Header: Depth=1
                                        ;     Child Loop BB165_6 Depth 2
	s_mul_i32 s0, s9, 34
	s_mul_hi_u32 s1, s9, 34
	s_add_u32 s0, s5, s0
	s_addc_u32 s1, s7, s1
	v_mad_u64_u32 v[0:1], s[14:15], v40, 34, s[0:1]
	v_mad_u64_u32 v[2:3], s[14:15], v44, 34, v[0:1]
	v_lshl_add_u64 v[2:3], v[2:3], 0, v[42:43]
	global_load_dword v2, v[2:3], off offset:2
	v_mov_b32_e32 v148, v137
	v_mov_b32_e32 v149, v136
	;; [unrolled: 1-line block ×7, first 2 shown]
	s_waitcnt vmcnt(0)
	ds_write_b32 v49, v2
	v_mad_u64_u32 v[2:3], s[14:15], v46, 34, v[0:1]
	v_lshl_add_u64 v[2:3], v[2:3], 0, v[42:43]
	global_load_dword v2, v[2:3], off offset:2
	s_waitcnt vmcnt(0)
	ds_write_b32 v51, v2
	v_mad_u64_u32 v[2:3], s[14:15], v48, 34, v[0:1]
	v_lshl_add_u64 v[2:3], v[2:3], 0, v[42:43]
	global_load_dword v2, v[2:3], off offset:2
	;; [unrolled: 5-line block ×13, first 2 shown]
	s_waitcnt vmcnt(0)
	ds_write_b32 v75, v2
	v_mad_u64_u32 v[2:3], s[14:15], v72, 34, v[0:1]
	v_mad_u64_u32 v[0:1], s[14:15], v74, 34, v[0:1]
	v_lshl_add_u64 v[2:3], v[2:3], 0, v[42:43]
	v_lshl_add_u64 v[0:1], v[0:1], 0, v[42:43]
	global_load_dword v2, v[2:3], off offset:2
	s_nop 0
	global_load_dword v0, v[0:1], off offset:2
	s_waitcnt vmcnt(1)
	ds_write_b32 v77, v2
	s_waitcnt vmcnt(0)
	ds_write_b32 v79, v0
	v_mad_u64_u32 v[0:1], s[0:1], v76, 34, s[0:1]
	v_mad_u64_u32 v[2:3], s[0:1], v78, 34, v[0:1]
	v_mad_u64_u32 v[0:1], s[0:1], v80, 34, v[0:1]
	global_load_ushort v2, v[2:3], off
	s_nop 0
	global_load_ushort v0, v[0:1], off
	s_waitcnt vmcnt(1)
	v_cvt_f32_f16_e32 v2, v2
	s_waitcnt vmcnt(0)
	v_cvt_f32_f16_e32 v0, v0
	ds_write_b32 v138, v2
	v_add_u32_e32 v2, s9, v40
	ds_write_b32 v139, v0
	v_add_u32_e32 v0, s9, v82
	v_mad_u64_u32 v[0:1], s[0:1], v0, 36, s[2:3]
	global_load_dword v3, v[0:1], off
	v_add_u32_e32 v0, v2, v83
	v_mad_i64_i32 v[0:1], s[0:1], v0, 36, v[84:85]
	global_load_dword v0, v[0:1], off offset:4
	s_waitcnt vmcnt(0)
	ds_write_b32 v140, v0
	v_add_u32_e32 v0, v2, v87
	v_mad_i64_i32 v[0:1], s[0:1], v0, 36, v[84:85]
	global_load_dword v0, v[0:1], off offset:4
	s_waitcnt vmcnt(0)
	ds_write_b32 v141, v0
	;; [unrolled: 5-line block ×7, first 2 shown]
	v_add_u32_e32 v0, v2, v130
	v_mad_i64_i32 v[0:1], s[0:1], v0, 36, v[84:85]
	global_load_dword v0, v[0:1], off offset:4
	s_mov_b32 s0, -8
	s_waitcnt vmcnt(0)
	ds_write_b32 v147, v0
	v_cvt_f32_f16_e32 v0, v3
	ds_write_b32 v81, v0
	s_waitcnt lgkmcnt(0)
	s_barrier
.LBB165_6:                              ;   Parent Loop BB165_5 Depth=1
                                        ; =>  This Inner Loop Header: Depth=2
	v_add_u32_e32 v6, 0x1080, v154
	ds_read2_b32 v[0:1], v149 offset1:32
	ds_read_b128 v[2:5], v148
	ds_read_b128 v[156:159], v148 offset:16
	ds_read_b32 v92, v150
	ds_read2_b32 v[118:119], v154 offset1:1
	ds_read2_b32 v[120:121], v154 offset0:2 offset1:3
	ds_read2_b32 v[122:123], v154 offset0:4 offset1:5
	;; [unrolled: 1-line block ×3, first 2 shown]
	ds_read_b32 v88, v151
	ds_read2_b32 v[94:95], v6 offset1:1
	v_add_u32_e32 v6, 0x1088, v154
	ds_read2_b32 v[98:99], v6 offset1:1
	v_add_u32_e32 v6, 0x1090, v154
	ds_read2_b32 v[104:105], v6 offset1:1
	v_add_u32_e32 v6, 0x1098, v154
	ds_read2_b32 v[110:111], v6 offset1:1
	v_add_u32_e32 v6, 0x2100, v154
	ds_read_b32 v90, v152
	ds_read2_b32 v[96:97], v6 offset1:1
	v_add_u32_e32 v6, 0x2108, v154
	ds_read2_b32 v[102:103], v6 offset1:1
	v_add_u32_e32 v6, 0x2110, v154
	;; [unrolled: 2-line block ×4, first 2 shown]
	ds_read_b32 v86, v153
	ds_read2_b32 v[100:101], v6 offset1:1
	v_mov_b32_e32 v126, 0
	v_mov_b32_e32 v155, 0
	;; [unrolled: 1-line block ×4, first 2 shown]
	s_waitcnt lgkmcnt(14)
	v_dot4c_i32_i8_e32 v126, v118, v2
	s_waitcnt lgkmcnt(10)
	v_dot4c_i32_i8_e32 v155, v94, v2
	s_waitcnt lgkmcnt(5)
	v_dot4c_i32_i8_e32 v160, v96, v2
	s_waitcnt lgkmcnt(0)
	v_dot4c_i32_i8_e32 v161, v100, v2
	v_add_u32_e32 v2, 0x3188, v154
	ds_read2_b32 v[106:107], v2 offset1:1
	v_add_u32_e32 v2, 0x3190, v154
	ds_read2_b32 v[112:113], v2 offset1:1
	v_add_u32_e32 v2, 0x3198, v154
	v_dot4c_i32_i8_e32 v126, v119, v3
	v_dot4c_i32_i8_e32 v155, v95, v3
	;; [unrolled: 1-line block ×4, first 2 shown]
	ds_read2_b32 v[116:117], v2 offset1:1
	v_dot4c_i32_i8_e32 v126, v120, v4
	v_dot4c_i32_i8_e32 v155, v98, v4
	v_dot4c_i32_i8_e32 v160, v102, v4
	s_waitcnt lgkmcnt(2)
	v_dot4c_i32_i8_e32 v161, v106, v4
	v_dot4c_i32_i8_e32 v126, v121, v5
	v_dot4c_i32_i8_e32 v155, v99, v5
	v_dot4c_i32_i8_e32 v160, v103, v5
	v_dot4c_i32_i8_e32 v161, v107, v5
	v_dot4c_i32_i8_e32 v126, v122, v156
	v_dot4c_i32_i8_e32 v155, v104, v156
	v_dot4c_i32_i8_e32 v160, v108, v156
	s_waitcnt lgkmcnt(1)
	v_dot4c_i32_i8_e32 v161, v112, v156
	v_dot4c_i32_i8_e32 v126, v123, v157
	v_dot4c_i32_i8_e32 v155, v105, v157
	v_dot4c_i32_i8_e32 v160, v109, v157
	v_dot4c_i32_i8_e32 v161, v113, v157
	;; [unrolled: 9-line block ×3, first 2 shown]
	ds_read_b128 v[2:5], v148 offset:1024
	ds_read_b128 v[156:159], v148 offset:1040
	v_mov_b32_e32 v127, 0
	v_cvt_f32_i32_e32 v126, v126
	v_pk_mul_f32 v[6:7], v[92:93], v[0:1] op_sel_hi:[0,1]
	s_waitcnt lgkmcnt(1)
	v_dot4c_i32_i8_e32 v127, v118, v2
	v_dot4c_i32_i8_e32 v127, v119, v3
	;; [unrolled: 1-line block ×4, first 2 shown]
	s_waitcnt lgkmcnt(0)
	v_dot4c_i32_i8_e32 v127, v122, v156
	v_dot4c_i32_i8_e32 v127, v123, v157
	;; [unrolled: 1-line block ×4, first 2 shown]
	s_add_i32 s0, s0, 8
	v_add_u32_e32 v154, 32, v154
	v_add_u32_e32 v153, 4, v153
	v_cvt_f32_i32_e32 v127, v127
	v_add_u32_e32 v152, 4, v152
	v_add_u32_e32 v151, 4, v151
	;; [unrolled: 1-line block ×3, first 2 shown]
	v_pk_fma_f32 v[38:39], v[6:7], v[126:127], v[38:39]
	v_mov_b32_e32 v126, 0
	v_dot4c_i32_i8_e32 v126, v94, v2
	v_dot4c_i32_i8_e32 v126, v95, v3
	;; [unrolled: 1-line block ×8, first 2 shown]
	v_pk_mul_f32 v[6:7], v[88:89], v[0:1] op_sel_hi:[0,1]
	s_cmp_lt_u32 s0, 24
	s_nop 0
	v_cvt_f32_i32_e32 v127, v126
	v_cvt_f32_i32_e32 v126, v155
	v_mov_b32_e32 v155, 0
	v_pk_fma_f32 v[36:37], v[6:7], v[126:127], v[36:37]
	v_mov_b32_e32 v126, 0
	v_dot4c_i32_i8_e32 v126, v96, v2
	v_dot4c_i32_i8_e32 v126, v97, v3
	;; [unrolled: 1-line block ×8, first 2 shown]
	v_pk_mul_f32 v[6:7], v[90:91], v[0:1] op_sel_hi:[0,1]
	v_pk_mul_f32 v[0:1], v[86:87], v[0:1] op_sel_hi:[0,1]
	s_nop 0
	v_cvt_f32_i32_e32 v127, v126
	v_cvt_f32_i32_e32 v126, v160
	v_mov_b32_e32 v160, 0
	v_pk_fma_f32 v[34:35], v[6:7], v[126:127], v[34:35]
	v_mov_b32_e32 v6, 0
	v_dot4c_i32_i8_e32 v6, v100, v2
	v_dot4c_i32_i8_e32 v6, v101, v3
	;; [unrolled: 1-line block ×8, first 2 shown]
	v_cvt_f32_i32_e32 v2, v161
	v_mov_b32_e32 v126, 0
	v_mov_b32_e32 v161, 0
	v_cvt_f32_i32_e32 v3, v6
	v_mov_b32_e32 v127, 0
	v_pk_fma_f32 v[32:33], v[0:1], v[2:3], v[32:33]
	ds_read2_b32 v[0:1], v149 offset0:64 offset1:96
	ds_read_b128 v[2:5], v148 offset:2048
	ds_read_b128 v[156:159], v148 offset:2064
	s_waitcnt lgkmcnt(2)
	v_pk_mul_f32 v[6:7], v[92:93], v[0:1] op_sel_hi:[0,1]
	s_waitcnt lgkmcnt(1)
	v_dot4c_i32_i8_e32 v126, v118, v2
	v_dot4c_i32_i8_e32 v155, v94, v2
	;; [unrolled: 1-line block ×16, first 2 shown]
	s_waitcnt lgkmcnt(0)
	v_dot4c_i32_i8_e32 v126, v122, v156
	v_dot4c_i32_i8_e32 v155, v104, v156
	;; [unrolled: 1-line block ×16, first 2 shown]
	ds_read_b128 v[2:5], v148 offset:3072
	ds_read_b128 v[156:159], v148 offset:3088
	v_cvt_f32_i32_e32 v126, v126
	s_waitcnt lgkmcnt(1)
	v_dot4c_i32_i8_e32 v127, v118, v2
	v_dot4c_i32_i8_e32 v127, v119, v3
	;; [unrolled: 1-line block ×4, first 2 shown]
	s_waitcnt lgkmcnt(0)
	v_dot4c_i32_i8_e32 v127, v122, v156
	v_dot4c_i32_i8_e32 v127, v123, v157
	v_dot4c_i32_i8_e32 v127, v124, v158
	v_dot4c_i32_i8_e32 v127, v125, v159
	s_nop 2
	v_cvt_f32_i32_e32 v127, v127
	v_pk_fma_f32 v[30:31], v[6:7], v[126:127], v[30:31]
	v_mov_b32_e32 v126, 0
	v_dot4c_i32_i8_e32 v126, v94, v2
	v_dot4c_i32_i8_e32 v126, v95, v3
	;; [unrolled: 1-line block ×8, first 2 shown]
	v_pk_mul_f32 v[6:7], v[88:89], v[0:1] op_sel_hi:[0,1]
	s_nop 1
	v_cvt_f32_i32_e32 v127, v126
	v_cvt_f32_i32_e32 v126, v155
	v_mov_b32_e32 v155, 0
	v_pk_fma_f32 v[28:29], v[6:7], v[126:127], v[28:29]
	v_mov_b32_e32 v126, 0
	v_dot4c_i32_i8_e32 v126, v96, v2
	v_dot4c_i32_i8_e32 v126, v97, v3
	v_dot4c_i32_i8_e32 v126, v102, v4
	v_dot4c_i32_i8_e32 v126, v103, v5
	v_dot4c_i32_i8_e32 v126, v108, v156
	v_dot4c_i32_i8_e32 v126, v109, v157
	v_dot4c_i32_i8_e32 v126, v114, v158
	v_dot4c_i32_i8_e32 v126, v115, v159
	v_pk_mul_f32 v[6:7], v[90:91], v[0:1] op_sel_hi:[0,1]
	v_pk_mul_f32 v[0:1], v[86:87], v[0:1] op_sel_hi:[0,1]
	s_nop 0
	v_cvt_f32_i32_e32 v127, v126
	v_cvt_f32_i32_e32 v126, v160
	v_mov_b32_e32 v160, 0
	v_pk_fma_f32 v[26:27], v[6:7], v[126:127], v[26:27]
	v_mov_b32_e32 v6, 0
	v_dot4c_i32_i8_e32 v6, v100, v2
	v_dot4c_i32_i8_e32 v6, v101, v3
	v_dot4c_i32_i8_e32 v6, v106, v4
	v_dot4c_i32_i8_e32 v6, v107, v5
	v_dot4c_i32_i8_e32 v6, v112, v156
	v_dot4c_i32_i8_e32 v6, v113, v157
	v_dot4c_i32_i8_e32 v6, v116, v158
	v_dot4c_i32_i8_e32 v6, v117, v159
	v_cvt_f32_i32_e32 v2, v161
	v_mov_b32_e32 v126, 0
	v_mov_b32_e32 v161, 0
	v_cvt_f32_i32_e32 v3, v6
	v_mov_b32_e32 v127, 0
	v_pk_fma_f32 v[24:25], v[0:1], v[2:3], v[24:25]
	ds_read2_b32 v[0:1], v149 offset0:128 offset1:160
	ds_read_b128 v[2:5], v148 offset:4096
	ds_read_b128 v[156:159], v148 offset:4112
	s_waitcnt lgkmcnt(2)
	v_pk_mul_f32 v[6:7], v[92:93], v[0:1] op_sel_hi:[0,1]
	s_waitcnt lgkmcnt(1)
	v_dot4c_i32_i8_e32 v126, v118, v2
	v_dot4c_i32_i8_e32 v155, v94, v2
	;; [unrolled: 1-line block ×16, first 2 shown]
	s_waitcnt lgkmcnt(0)
	v_dot4c_i32_i8_e32 v126, v122, v156
	v_dot4c_i32_i8_e32 v155, v104, v156
	;; [unrolled: 1-line block ×16, first 2 shown]
	ds_read_b128 v[2:5], v148 offset:5120
	ds_read_b128 v[156:159], v148 offset:5136
	v_cvt_f32_i32_e32 v126, v126
	s_waitcnt lgkmcnt(1)
	v_dot4c_i32_i8_e32 v127, v118, v2
	v_dot4c_i32_i8_e32 v127, v119, v3
	;; [unrolled: 1-line block ×4, first 2 shown]
	s_waitcnt lgkmcnt(0)
	v_dot4c_i32_i8_e32 v127, v122, v156
	v_dot4c_i32_i8_e32 v127, v123, v157
	;; [unrolled: 1-line block ×4, first 2 shown]
	s_nop 2
	v_cvt_f32_i32_e32 v127, v127
	v_pk_fma_f32 v[22:23], v[6:7], v[126:127], v[22:23]
	v_mov_b32_e32 v126, 0
	v_dot4c_i32_i8_e32 v126, v94, v2
	v_dot4c_i32_i8_e32 v126, v95, v3
	;; [unrolled: 1-line block ×8, first 2 shown]
	v_pk_mul_f32 v[6:7], v[88:89], v[0:1] op_sel_hi:[0,1]
	s_nop 1
	v_cvt_f32_i32_e32 v127, v126
	v_cvt_f32_i32_e32 v126, v155
	v_mov_b32_e32 v155, 0
	v_pk_fma_f32 v[20:21], v[6:7], v[126:127], v[20:21]
	v_mov_b32_e32 v126, 0
	v_dot4c_i32_i8_e32 v126, v96, v2
	v_dot4c_i32_i8_e32 v126, v97, v3
	v_dot4c_i32_i8_e32 v126, v102, v4
	v_dot4c_i32_i8_e32 v126, v103, v5
	v_dot4c_i32_i8_e32 v126, v108, v156
	v_dot4c_i32_i8_e32 v126, v109, v157
	v_dot4c_i32_i8_e32 v126, v114, v158
	v_dot4c_i32_i8_e32 v126, v115, v159
	v_pk_mul_f32 v[6:7], v[90:91], v[0:1] op_sel_hi:[0,1]
	v_pk_mul_f32 v[0:1], v[86:87], v[0:1] op_sel_hi:[0,1]
	s_nop 0
	v_cvt_f32_i32_e32 v127, v126
	v_cvt_f32_i32_e32 v126, v160
	v_pk_fma_f32 v[18:19], v[6:7], v[126:127], v[18:19]
	v_mov_b32_e32 v6, 0
	v_dot4c_i32_i8_e32 v6, v100, v2
	v_dot4c_i32_i8_e32 v6, v101, v3
	;; [unrolled: 1-line block ×8, first 2 shown]
	v_cvt_f32_i32_e32 v2, v161
	v_mov_b32_e32 v156, 0
	v_mov_b32_e32 v157, 0
	v_cvt_f32_i32_e32 v3, v6
	v_mov_b32_e32 v158, 0
	v_mov_b32_e32 v159, 0
	v_pk_fma_f32 v[16:17], v[0:1], v[2:3], v[16:17]
	ds_read2_b32 v[126:127], v149 offset0:192 offset1:224
	ds_read_b128 v[0:3], v148 offset:6144
	ds_read_b128 v[4:7], v148 offset:6160
	v_add_u32_e32 v149, 4, v149
	s_waitcnt lgkmcnt(1)
	v_dot4c_i32_i8_e32 v156, v118, v0
	v_dot4c_i32_i8_e32 v157, v94, v0
	v_dot4c_i32_i8_e32 v158, v96, v0
	v_dot4c_i32_i8_e32 v155, v100, v0
	v_dot4c_i32_i8_e32 v156, v119, v1
	v_dot4c_i32_i8_e32 v157, v95, v1
	v_dot4c_i32_i8_e32 v158, v97, v1
	v_dot4c_i32_i8_e32 v155, v101, v1
	v_dot4c_i32_i8_e32 v156, v120, v2
	v_dot4c_i32_i8_e32 v157, v98, v2
	v_dot4c_i32_i8_e32 v158, v102, v2
	v_dot4c_i32_i8_e32 v155, v106, v2
	v_dot4c_i32_i8_e32 v156, v121, v3
	v_dot4c_i32_i8_e32 v157, v99, v3
	v_dot4c_i32_i8_e32 v158, v103, v3
	v_dot4c_i32_i8_e32 v155, v107, v3
	s_waitcnt lgkmcnt(0)
	v_dot4c_i32_i8_e32 v156, v122, v4
	v_dot4c_i32_i8_e32 v157, v104, v4
	v_dot4c_i32_i8_e32 v158, v108, v4
	v_dot4c_i32_i8_e32 v155, v112, v4
	v_dot4c_i32_i8_e32 v156, v123, v5
	v_dot4c_i32_i8_e32 v157, v105, v5
	v_dot4c_i32_i8_e32 v158, v109, v5
	v_dot4c_i32_i8_e32 v155, v113, v5
	v_dot4c_i32_i8_e32 v156, v124, v6
	v_dot4c_i32_i8_e32 v157, v110, v6
	v_dot4c_i32_i8_e32 v158, v114, v6
	v_dot4c_i32_i8_e32 v155, v116, v6
	v_dot4c_i32_i8_e32 v156, v125, v7
	v_dot4c_i32_i8_e32 v157, v111, v7
	v_dot4c_i32_i8_e32 v158, v115, v7
	v_dot4c_i32_i8_e32 v155, v117, v7
	ds_read_b128 v[4:7], v148 offset:7168
	ds_read_b128 v[0:3], v148 offset:7184
	v_add_u32_e32 v148, 32, v148
	s_waitcnt lgkmcnt(1)
	v_dot4c_i32_i8_e32 v159, v118, v4
	v_dot4c_i32_i8_e32 v159, v119, v5
	v_pk_mul_f32 v[118:119], v[92:93], v[126:127] op_sel_hi:[0,1]
	v_mov_b32_e32 v92, 0
	v_dot4c_i32_i8_e32 v92, v94, v4
	v_dot4c_i32_i8_e32 v92, v95, v5
	v_pk_mul_f32 v[94:95], v[88:89], v[126:127] op_sel_hi:[0,1]
	v_mov_b32_e32 v88, 0
	v_dot4c_i32_i8_e32 v88, v96, v4
	v_dot4c_i32_i8_e32 v88, v97, v5
	;; [unrolled: 1-line block ×4, first 2 shown]
	s_waitcnt lgkmcnt(0)
	v_dot4c_i32_i8_e32 v88, v108, v0
	v_dot4c_i32_i8_e32 v88, v109, v1
	;; [unrolled: 1-line block ×7, first 2 shown]
	v_cvt_f32_i32_e32 v97, v88
	v_mov_b32_e32 v88, 0
	v_dot4c_i32_i8_e32 v88, v100, v4
	v_dot4c_i32_i8_e32 v88, v101, v5
	;; [unrolled: 1-line block ×16, first 2 shown]
	v_cvt_f32_i32_e32 v98, v157
	v_cvt_f32_i32_e32 v99, v92
	v_dot4c_i32_i8_e32 v88, v117, v3
	v_cvt_f32_i32_e32 v121, v159
	v_cvt_f32_i32_e32 v120, v156
	;; [unrolled: 1-line block ×5, first 2 shown]
	v_pk_fma_f32 v[12:13], v[94:95], v[98:99], v[12:13]
	v_pk_mul_f32 v[94:95], v[90:91], v[126:127] op_sel_hi:[0,1]
	v_pk_mul_f32 v[0:1], v[86:87], v[126:127] op_sel_hi:[0,1]
	v_pk_fma_f32 v[14:15], v[118:119], v[120:121], v[14:15]
	v_pk_fma_f32 v[10:11], v[94:95], v[96:97], v[10:11]
	;; [unrolled: 1-line block ×3, first 2 shown]
	s_cbranch_scc1 .LBB165_6
; %bb.7:                                ;   in Loop: Header=BB165_5 Depth=1
	s_add_i32 s9, s9, 4
	s_cmp_ge_i32 s9, s4
	s_barrier
	s_cbranch_scc0 .LBB165_5
; %bb.8:
	v_mov_b32_e32 v1, v45
.LBB165_9:
	v_cmp_gt_u32_e32 vcc, s8, v47
	s_and_saveexec_b64 s[0:1], vcc
	s_cbranch_execz .LBB165_60
; %bb.10:
	v_add_u32_e32 v0, s6, v41
	v_mul_lo_u32 v5, v47, s10
	v_cmp_gt_u32_e64 s[0:1], s10, v0
	s_and_saveexec_b64 s[2:3], s[0:1]
	s_cbranch_execz .LBB165_12
; %bb.11:
	v_bfe_u32 v2, v38, 16, 1
	s_movk_i32 s4, 0x7fff
	v_add3_u32 v2, v38, v2, s4
	v_cmp_o_f32_e32 vcc, v38, v38
	v_mov_b32_e32 v3, 0x7fc0
	s_nop 0
	v_cndmask_b32_sdwa v4, v3, v2, vcc dst_sel:DWORD dst_unused:UNUSED_PAD src0_sel:DWORD src1_sel:WORD_1
	v_add_u32_e32 v2, v0, v5
	v_mov_b32_e32 v3, 0
	s_waitcnt lgkmcnt(0)
	v_lshl_add_u64 v[2:3], v[2:3], 1, s[12:13]
	global_store_short v[2:3], v4, off
.LBB165_12:
	s_or_b64 exec, exec, s[2:3]
	v_add_u32_e32 v2, 32, v0
	v_cmp_gt_u32_e64 s[2:3], s10, v2
	s_and_saveexec_b64 s[4:5], s[2:3]
	s_cbranch_execz .LBB165_14
; %bb.13:
	v_bfe_u32 v3, v36, 16, 1
	s_movk_i32 s6, 0x7fff
	v_add3_u32 v3, v36, v3, s6
	v_cmp_o_f32_e32 vcc, v36, v36
	v_mov_b32_e32 v4, 0x7fc0
	v_add_u32_e32 v6, v2, v5
	v_mov_b32_e32 v7, 0
	v_cndmask_b32_sdwa v3, v4, v3, vcc dst_sel:DWORD dst_unused:UNUSED_PAD src0_sel:DWORD src1_sel:WORD_1
	s_waitcnt lgkmcnt(0)
	v_lshl_add_u64 v[6:7], v[6:7], 1, s[12:13]
	global_store_short v[6:7], v3, off
.LBB165_14:
	s_or_b64 exec, exec, s[4:5]
	v_add_u32_e32 v3, 64, v0
	v_cmp_gt_u32_e64 s[4:5], s10, v3
	s_and_saveexec_b64 s[6:7], s[4:5]
	s_cbranch_execz .LBB165_16
; %bb.15:
	v_bfe_u32 v4, v34, 16, 1
	s_movk_i32 s9, 0x7fff
	v_add3_u32 v4, v34, v4, s9
	v_cmp_o_f32_e32 vcc, v34, v34
	v_mov_b32_e32 v6, 0x7fc0
	v_mov_b32_e32 v7, 0
	v_cndmask_b32_sdwa v4, v6, v4, vcc dst_sel:DWORD dst_unused:UNUSED_PAD src0_sel:DWORD src1_sel:WORD_1
	v_add_u32_e32 v6, v3, v5
	s_waitcnt lgkmcnt(0)
	v_lshl_add_u64 v[6:7], v[6:7], 1, s[12:13]
	global_store_short v[6:7], v4, off
.LBB165_16:
	s_or_b64 exec, exec, s[6:7]
	v_add_u32_e32 v4, 0x60, v0
	v_cmp_gt_u32_e64 s[6:7], s10, v4
	s_and_saveexec_b64 s[14:15], s[6:7]
	s_cbranch_execz .LBB165_18
; %bb.17:
	v_bfe_u32 v6, v32, 16, 1
	s_movk_i32 s9, 0x7fff
	v_add3_u32 v6, v32, v6, s9
	v_cmp_o_f32_e32 vcc, v32, v32
	v_mov_b32_e32 v7, 0x7fc0
	s_nop 0
	v_cndmask_b32_sdwa v32, v7, v6, vcc dst_sel:DWORD dst_unused:UNUSED_PAD src0_sel:DWORD src1_sel:WORD_1
	v_add_u32_e32 v6, v4, v5
	v_mov_b32_e32 v7, 0
	s_waitcnt lgkmcnt(0)
	v_lshl_add_u64 v[6:7], v[6:7], 1, s[12:13]
	global_store_short v[6:7], v32, off
.LBB165_18:
	s_or_b64 exec, exec, s[14:15]
	v_add3_u32 v5, v1, s11, 8
	v_cmp_gt_u32_e32 vcc, s8, v5
	s_and_b64 exec, exec, vcc
	s_cbranch_execz .LBB165_60
; %bb.19:
	v_mul_lo_u32 v5, v5, s10
	s_and_saveexec_b64 s[14:15], s[0:1]
	s_cbranch_execnz .LBB165_61
; %bb.20:
	s_or_b64 exec, exec, s[14:15]
	s_and_saveexec_b64 s[14:15], s[2:3]
	s_cbranch_execnz .LBB165_62
.LBB165_21:
	s_or_b64 exec, exec, s[14:15]
	s_and_saveexec_b64 s[14:15], s[4:5]
	s_cbranch_execnz .LBB165_63
.LBB165_22:
	s_or_b64 exec, exec, s[14:15]
	s_and_saveexec_b64 s[14:15], s[6:7]
	s_cbranch_execz .LBB165_24
.LBB165_23:
	v_bfe_u32 v6, v33, 16, 1
	s_movk_i32 s9, 0x7fff
	v_add3_u32 v6, v33, v6, s9
	v_cmp_o_f32_e32 vcc, v33, v33
	v_mov_b32_e32 v7, 0x7fc0
	s_nop 0
	v_cndmask_b32_sdwa v32, v7, v6, vcc dst_sel:DWORD dst_unused:UNUSED_PAD src0_sel:DWORD src1_sel:WORD_1
	v_add_u32_e32 v6, v5, v4
	v_mov_b32_e32 v7, 0
	s_waitcnt lgkmcnt(0)
	v_lshl_add_u64 v[6:7], v[6:7], 1, s[12:13]
	global_store_short v[6:7], v32, off
.LBB165_24:
	s_or_b64 exec, exec, s[14:15]
	v_add3_u32 v5, v1, s11, 16
	v_cmp_gt_u32_e32 vcc, s8, v5
	s_and_b64 exec, exec, vcc
	s_cbranch_execz .LBB165_60
; %bb.25:
	v_mul_lo_u32 v5, v5, s10
	s_and_saveexec_b64 s[14:15], s[0:1]
	s_cbranch_execnz .LBB165_64
; %bb.26:
	s_or_b64 exec, exec, s[14:15]
	s_and_saveexec_b64 s[14:15], s[2:3]
	s_cbranch_execnz .LBB165_65
.LBB165_27:
	s_or_b64 exec, exec, s[14:15]
	s_and_saveexec_b64 s[14:15], s[4:5]
	s_cbranch_execnz .LBB165_66
.LBB165_28:
	s_or_b64 exec, exec, s[14:15]
	s_and_saveexec_b64 s[14:15], s[6:7]
	s_cbranch_execz .LBB165_30
.LBB165_29:
	v_bfe_u32 v6, v24, 16, 1
	s_movk_i32 s9, 0x7fff
	v_add3_u32 v6, v24, v6, s9
	v_cmp_o_f32_e32 vcc, v24, v24
	v_mov_b32_e32 v7, 0x7fc0
	s_nop 0
	v_cndmask_b32_sdwa v24, v7, v6, vcc dst_sel:DWORD dst_unused:UNUSED_PAD src0_sel:DWORD src1_sel:WORD_1
	v_add_u32_e32 v6, v5, v4
	v_mov_b32_e32 v7, 0
	s_waitcnt lgkmcnt(0)
	v_lshl_add_u64 v[6:7], v[6:7], 1, s[12:13]
	global_store_short v[6:7], v24, off
.LBB165_30:
	s_or_b64 exec, exec, s[14:15]
	v_add3_u32 v5, v1, s11, 24
	v_cmp_gt_u32_e32 vcc, s8, v5
	s_and_b64 exec, exec, vcc
	s_cbranch_execz .LBB165_60
; %bb.31:
	v_mul_lo_u32 v5, v5, s10
	s_and_saveexec_b64 s[14:15], s[0:1]
	s_cbranch_execnz .LBB165_67
; %bb.32:
	s_or_b64 exec, exec, s[14:15]
	s_and_saveexec_b64 s[14:15], s[2:3]
	s_cbranch_execnz .LBB165_68
.LBB165_33:
	s_or_b64 exec, exec, s[14:15]
	s_and_saveexec_b64 s[14:15], s[4:5]
	s_cbranch_execnz .LBB165_69
.LBB165_34:
	s_or_b64 exec, exec, s[14:15]
	s_and_saveexec_b64 s[14:15], s[6:7]
	s_cbranch_execz .LBB165_36
.LBB165_35:
	v_bfe_u32 v6, v25, 16, 1
	s_movk_i32 s9, 0x7fff
	v_add3_u32 v6, v25, v6, s9
	v_cmp_o_f32_e32 vcc, v25, v25
	v_mov_b32_e32 v7, 0x7fc0
	s_nop 0
	v_cndmask_b32_sdwa v24, v7, v6, vcc dst_sel:DWORD dst_unused:UNUSED_PAD src0_sel:DWORD src1_sel:WORD_1
	v_add_u32_e32 v6, v5, v4
	v_mov_b32_e32 v7, 0
	s_waitcnt lgkmcnt(0)
	v_lshl_add_u64 v[6:7], v[6:7], 1, s[12:13]
	global_store_short v[6:7], v24, off
.LBB165_36:
	s_or_b64 exec, exec, s[14:15]
	v_add3_u32 v5, v1, s11, 32
	v_cmp_gt_u32_e32 vcc, s8, v5
	s_and_b64 exec, exec, vcc
	s_cbranch_execz .LBB165_60
; %bb.37:
	v_mul_lo_u32 v5, v5, s10
	s_and_saveexec_b64 s[14:15], s[0:1]
	s_cbranch_execnz .LBB165_70
; %bb.38:
	s_or_b64 exec, exec, s[14:15]
	s_and_saveexec_b64 s[14:15], s[2:3]
	s_cbranch_execnz .LBB165_71
.LBB165_39:
	s_or_b64 exec, exec, s[14:15]
	s_and_saveexec_b64 s[14:15], s[4:5]
	s_cbranch_execnz .LBB165_72
.LBB165_40:
	s_or_b64 exec, exec, s[14:15]
	s_and_saveexec_b64 s[14:15], s[6:7]
	s_cbranch_execz .LBB165_42
.LBB165_41:
	v_bfe_u32 v6, v16, 16, 1
	s_movk_i32 s9, 0x7fff
	v_add3_u32 v6, v16, v6, s9
	v_cmp_o_f32_e32 vcc, v16, v16
	v_mov_b32_e32 v7, 0x7fc0
	s_nop 0
	v_cndmask_b32_sdwa v16, v7, v6, vcc dst_sel:DWORD dst_unused:UNUSED_PAD src0_sel:DWORD src1_sel:WORD_1
	v_add_u32_e32 v6, v5, v4
	v_mov_b32_e32 v7, 0
	s_waitcnt lgkmcnt(0)
	v_lshl_add_u64 v[6:7], v[6:7], 1, s[12:13]
	global_store_short v[6:7], v16, off
.LBB165_42:
	s_or_b64 exec, exec, s[14:15]
	v_add3_u32 v5, v1, s11, 40
	v_cmp_gt_u32_e32 vcc, s8, v5
	s_and_b64 exec, exec, vcc
	s_cbranch_execz .LBB165_60
; %bb.43:
	v_mul_lo_u32 v5, v5, s10
	s_and_saveexec_b64 s[14:15], s[0:1]
	s_cbranch_execnz .LBB165_73
; %bb.44:
	s_or_b64 exec, exec, s[14:15]
	s_and_saveexec_b64 s[14:15], s[2:3]
	s_cbranch_execnz .LBB165_74
.LBB165_45:
	s_or_b64 exec, exec, s[14:15]
	s_and_saveexec_b64 s[14:15], s[4:5]
	s_cbranch_execnz .LBB165_75
.LBB165_46:
	s_or_b64 exec, exec, s[14:15]
	s_and_saveexec_b64 s[14:15], s[6:7]
	s_cbranch_execz .LBB165_48
.LBB165_47:
	v_bfe_u32 v6, v17, 16, 1
	s_movk_i32 s9, 0x7fff
	v_add3_u32 v6, v17, v6, s9
	v_cmp_o_f32_e32 vcc, v17, v17
	v_mov_b32_e32 v7, 0x7fc0
	s_nop 0
	v_cndmask_b32_sdwa v16, v7, v6, vcc dst_sel:DWORD dst_unused:UNUSED_PAD src0_sel:DWORD src1_sel:WORD_1
	v_add_u32_e32 v6, v5, v4
	v_mov_b32_e32 v7, 0
	s_waitcnt lgkmcnt(0)
	v_lshl_add_u64 v[6:7], v[6:7], 1, s[12:13]
	global_store_short v[6:7], v16, off
.LBB165_48:
	s_or_b64 exec, exec, s[14:15]
	v_add3_u32 v5, v1, s11, 48
	v_cmp_gt_u32_e32 vcc, s8, v5
	s_and_b64 exec, exec, vcc
	s_cbranch_execz .LBB165_60
; %bb.49:
	v_mul_lo_u32 v5, v5, s10
	s_and_saveexec_b64 s[14:15], s[0:1]
	s_cbranch_execnz .LBB165_76
; %bb.50:
	s_or_b64 exec, exec, s[14:15]
	s_and_saveexec_b64 s[14:15], s[2:3]
	s_cbranch_execnz .LBB165_77
.LBB165_51:
	s_or_b64 exec, exec, s[14:15]
	s_and_saveexec_b64 s[14:15], s[4:5]
	s_cbranch_execnz .LBB165_78
.LBB165_52:
	s_or_b64 exec, exec, s[14:15]
	s_and_saveexec_b64 s[14:15], s[6:7]
	s_cbranch_execz .LBB165_54
.LBB165_53:
	v_bfe_u32 v6, v8, 16, 1
	s_movk_i32 s9, 0x7fff
	v_add3_u32 v6, v8, v6, s9
	v_cmp_o_f32_e32 vcc, v8, v8
	v_mov_b32_e32 v7, 0x7fc0
	s_nop 0
	v_cndmask_b32_sdwa v8, v7, v6, vcc dst_sel:DWORD dst_unused:UNUSED_PAD src0_sel:DWORD src1_sel:WORD_1
	v_add_u32_e32 v6, v5, v4
	v_mov_b32_e32 v7, 0
	s_waitcnt lgkmcnt(0)
	v_lshl_add_u64 v[6:7], v[6:7], 1, s[12:13]
	global_store_short v[6:7], v8, off
.LBB165_54:
	s_or_b64 exec, exec, s[14:15]
	v_add3_u32 v1, v1, s11, 56
	v_cmp_gt_u32_e32 vcc, s8, v1
	s_and_b64 exec, exec, vcc
	s_cbranch_execz .LBB165_60
; %bb.55:
	v_mul_lo_u32 v1, v1, s10
	s_and_saveexec_b64 s[8:9], s[0:1]
	s_cbranch_execnz .LBB165_79
; %bb.56:
	s_or_b64 exec, exec, s[8:9]
	s_and_saveexec_b64 s[0:1], s[2:3]
	s_cbranch_execnz .LBB165_80
.LBB165_57:
	s_or_b64 exec, exec, s[0:1]
	s_and_saveexec_b64 s[0:1], s[4:5]
	s_cbranch_execnz .LBB165_81
.LBB165_58:
	s_or_b64 exec, exec, s[0:1]
	s_and_b64 exec, exec, s[6:7]
	s_cbranch_execz .LBB165_60
.LBB165_59:
	v_bfe_u32 v0, v9, 16, 1
	s_movk_i32 s0, 0x7fff
	v_add3_u32 v0, v9, v0, s0
	v_cmp_o_f32_e32 vcc, v9, v9
	v_mov_b32_e32 v2, 0x7fc0
	s_nop 0
	v_cndmask_b32_sdwa v2, v2, v0, vcc dst_sel:DWORD dst_unused:UNUSED_PAD src0_sel:DWORD src1_sel:WORD_1
	v_add_u32_e32 v0, v1, v4
	v_mov_b32_e32 v1, 0
	s_waitcnt lgkmcnt(0)
	v_lshl_add_u64 v[0:1], v[0:1], 1, s[12:13]
	global_store_short v[0:1], v2, off
.LBB165_60:
	s_endpgm
.LBB165_61:
	v_bfe_u32 v6, v39, 16, 1
	s_movk_i32 s9, 0x7fff
	v_add3_u32 v6, v39, v6, s9
	v_cmp_o_f32_e32 vcc, v39, v39
	v_mov_b32_e32 v7, 0x7fc0
	s_nop 0
	v_cndmask_b32_sdwa v32, v7, v6, vcc dst_sel:DWORD dst_unused:UNUSED_PAD src0_sel:DWORD src1_sel:WORD_1
	v_add_u32_e32 v6, v5, v0
	v_mov_b32_e32 v7, 0
	s_waitcnt lgkmcnt(0)
	v_lshl_add_u64 v[6:7], v[6:7], 1, s[12:13]
	global_store_short v[6:7], v32, off
	s_or_b64 exec, exec, s[14:15]
	s_and_saveexec_b64 s[14:15], s[2:3]
	s_cbranch_execz .LBB165_21
.LBB165_62:
	v_bfe_u32 v6, v37, 16, 1
	s_movk_i32 s9, 0x7fff
	v_add3_u32 v6, v37, v6, s9
	v_cmp_o_f32_e32 vcc, v37, v37
	v_mov_b32_e32 v7, 0x7fc0
	s_nop 0
	v_cndmask_b32_sdwa v32, v7, v6, vcc dst_sel:DWORD dst_unused:UNUSED_PAD src0_sel:DWORD src1_sel:WORD_1
	v_add_u32_e32 v6, v5, v2
	v_mov_b32_e32 v7, 0
	s_waitcnt lgkmcnt(0)
	v_lshl_add_u64 v[6:7], v[6:7], 1, s[12:13]
	global_store_short v[6:7], v32, off
	s_or_b64 exec, exec, s[14:15]
	s_and_saveexec_b64 s[14:15], s[4:5]
	s_cbranch_execz .LBB165_22
.LBB165_63:
	v_bfe_u32 v6, v35, 16, 1
	s_movk_i32 s9, 0x7fff
	v_add3_u32 v6, v35, v6, s9
	v_cmp_o_f32_e32 vcc, v35, v35
	v_mov_b32_e32 v7, 0x7fc0
	s_nop 0
	v_cndmask_b32_sdwa v32, v7, v6, vcc dst_sel:DWORD dst_unused:UNUSED_PAD src0_sel:DWORD src1_sel:WORD_1
	v_add_u32_e32 v6, v5, v3
	v_mov_b32_e32 v7, 0
	s_waitcnt lgkmcnt(0)
	v_lshl_add_u64 v[6:7], v[6:7], 1, s[12:13]
	global_store_short v[6:7], v32, off
	s_or_b64 exec, exec, s[14:15]
	s_and_saveexec_b64 s[14:15], s[6:7]
	s_cbranch_execnz .LBB165_23
	s_branch .LBB165_24
.LBB165_64:
	v_bfe_u32 v6, v30, 16, 1
	s_movk_i32 s9, 0x7fff
	v_add3_u32 v6, v30, v6, s9
	v_cmp_o_f32_e32 vcc, v30, v30
	v_mov_b32_e32 v7, 0x7fc0
	s_nop 0
	v_cndmask_b32_sdwa v30, v7, v6, vcc dst_sel:DWORD dst_unused:UNUSED_PAD src0_sel:DWORD src1_sel:WORD_1
	v_add_u32_e32 v6, v5, v0
	v_mov_b32_e32 v7, 0
	s_waitcnt lgkmcnt(0)
	v_lshl_add_u64 v[6:7], v[6:7], 1, s[12:13]
	global_store_short v[6:7], v30, off
	s_or_b64 exec, exec, s[14:15]
	s_and_saveexec_b64 s[14:15], s[2:3]
	s_cbranch_execz .LBB165_27
.LBB165_65:
	v_bfe_u32 v6, v28, 16, 1
	s_movk_i32 s9, 0x7fff
	v_add3_u32 v6, v28, v6, s9
	v_cmp_o_f32_e32 vcc, v28, v28
	v_mov_b32_e32 v7, 0x7fc0
	s_nop 0
	v_cndmask_b32_sdwa v28, v7, v6, vcc dst_sel:DWORD dst_unused:UNUSED_PAD src0_sel:DWORD src1_sel:WORD_1
	v_add_u32_e32 v6, v5, v2
	v_mov_b32_e32 v7, 0
	s_waitcnt lgkmcnt(0)
	v_lshl_add_u64 v[6:7], v[6:7], 1, s[12:13]
	global_store_short v[6:7], v28, off
	s_or_b64 exec, exec, s[14:15]
	s_and_saveexec_b64 s[14:15], s[4:5]
	s_cbranch_execz .LBB165_28
.LBB165_66:
	v_bfe_u32 v6, v26, 16, 1
	s_movk_i32 s9, 0x7fff
	v_add3_u32 v6, v26, v6, s9
	v_cmp_o_f32_e32 vcc, v26, v26
	v_mov_b32_e32 v7, 0x7fc0
	s_nop 0
	v_cndmask_b32_sdwa v26, v7, v6, vcc dst_sel:DWORD dst_unused:UNUSED_PAD src0_sel:DWORD src1_sel:WORD_1
	v_add_u32_e32 v6, v5, v3
	v_mov_b32_e32 v7, 0
	s_waitcnt lgkmcnt(0)
	v_lshl_add_u64 v[6:7], v[6:7], 1, s[12:13]
	global_store_short v[6:7], v26, off
	s_or_b64 exec, exec, s[14:15]
	s_and_saveexec_b64 s[14:15], s[6:7]
	s_cbranch_execnz .LBB165_29
	s_branch .LBB165_30
.LBB165_67:
	v_bfe_u32 v6, v31, 16, 1
	s_movk_i32 s9, 0x7fff
	v_add3_u32 v6, v31, v6, s9
	v_cmp_o_f32_e32 vcc, v31, v31
	v_mov_b32_e32 v7, 0x7fc0
	s_nop 0
	v_cndmask_b32_sdwa v24, v7, v6, vcc dst_sel:DWORD dst_unused:UNUSED_PAD src0_sel:DWORD src1_sel:WORD_1
	v_add_u32_e32 v6, v5, v0
	v_mov_b32_e32 v7, 0
	s_waitcnt lgkmcnt(0)
	v_lshl_add_u64 v[6:7], v[6:7], 1, s[12:13]
	global_store_short v[6:7], v24, off
	s_or_b64 exec, exec, s[14:15]
	s_and_saveexec_b64 s[14:15], s[2:3]
	s_cbranch_execz .LBB165_33
.LBB165_68:
	v_bfe_u32 v6, v29, 16, 1
	s_movk_i32 s9, 0x7fff
	v_add3_u32 v6, v29, v6, s9
	v_cmp_o_f32_e32 vcc, v29, v29
	v_mov_b32_e32 v7, 0x7fc0
	s_nop 0
	v_cndmask_b32_sdwa v24, v7, v6, vcc dst_sel:DWORD dst_unused:UNUSED_PAD src0_sel:DWORD src1_sel:WORD_1
	v_add_u32_e32 v6, v5, v2
	v_mov_b32_e32 v7, 0
	s_waitcnt lgkmcnt(0)
	v_lshl_add_u64 v[6:7], v[6:7], 1, s[12:13]
	global_store_short v[6:7], v24, off
	s_or_b64 exec, exec, s[14:15]
	s_and_saveexec_b64 s[14:15], s[4:5]
	s_cbranch_execz .LBB165_34
.LBB165_69:
	v_bfe_u32 v6, v27, 16, 1
	s_movk_i32 s9, 0x7fff
	v_add3_u32 v6, v27, v6, s9
	v_cmp_o_f32_e32 vcc, v27, v27
	v_mov_b32_e32 v7, 0x7fc0
	s_nop 0
	v_cndmask_b32_sdwa v24, v7, v6, vcc dst_sel:DWORD dst_unused:UNUSED_PAD src0_sel:DWORD src1_sel:WORD_1
	v_add_u32_e32 v6, v5, v3
	v_mov_b32_e32 v7, 0
	s_waitcnt lgkmcnt(0)
	v_lshl_add_u64 v[6:7], v[6:7], 1, s[12:13]
	global_store_short v[6:7], v24, off
	s_or_b64 exec, exec, s[14:15]
	s_and_saveexec_b64 s[14:15], s[6:7]
	s_cbranch_execnz .LBB165_35
	s_branch .LBB165_36
.LBB165_70:
	v_bfe_u32 v6, v22, 16, 1
	s_movk_i32 s9, 0x7fff
	v_add3_u32 v6, v22, v6, s9
	v_cmp_o_f32_e32 vcc, v22, v22
	v_mov_b32_e32 v7, 0x7fc0
	s_nop 0
	v_cndmask_b32_sdwa v22, v7, v6, vcc dst_sel:DWORD dst_unused:UNUSED_PAD src0_sel:DWORD src1_sel:WORD_1
	v_add_u32_e32 v6, v5, v0
	v_mov_b32_e32 v7, 0
	s_waitcnt lgkmcnt(0)
	v_lshl_add_u64 v[6:7], v[6:7], 1, s[12:13]
	global_store_short v[6:7], v22, off
	s_or_b64 exec, exec, s[14:15]
	s_and_saveexec_b64 s[14:15], s[2:3]
	s_cbranch_execz .LBB165_39
.LBB165_71:
	v_bfe_u32 v6, v20, 16, 1
	s_movk_i32 s9, 0x7fff
	v_add3_u32 v6, v20, v6, s9
	v_cmp_o_f32_e32 vcc, v20, v20
	v_mov_b32_e32 v7, 0x7fc0
	s_nop 0
	v_cndmask_b32_sdwa v20, v7, v6, vcc dst_sel:DWORD dst_unused:UNUSED_PAD src0_sel:DWORD src1_sel:WORD_1
	v_add_u32_e32 v6, v5, v2
	v_mov_b32_e32 v7, 0
	s_waitcnt lgkmcnt(0)
	v_lshl_add_u64 v[6:7], v[6:7], 1, s[12:13]
	global_store_short v[6:7], v20, off
	s_or_b64 exec, exec, s[14:15]
	s_and_saveexec_b64 s[14:15], s[4:5]
	s_cbranch_execz .LBB165_40
.LBB165_72:
	v_bfe_u32 v6, v18, 16, 1
	s_movk_i32 s9, 0x7fff
	v_add3_u32 v6, v18, v6, s9
	v_cmp_o_f32_e32 vcc, v18, v18
	v_mov_b32_e32 v7, 0x7fc0
	s_nop 0
	v_cndmask_b32_sdwa v18, v7, v6, vcc dst_sel:DWORD dst_unused:UNUSED_PAD src0_sel:DWORD src1_sel:WORD_1
	v_add_u32_e32 v6, v5, v3
	v_mov_b32_e32 v7, 0
	s_waitcnt lgkmcnt(0)
	v_lshl_add_u64 v[6:7], v[6:7], 1, s[12:13]
	global_store_short v[6:7], v18, off
	s_or_b64 exec, exec, s[14:15]
	s_and_saveexec_b64 s[14:15], s[6:7]
	s_cbranch_execnz .LBB165_41
	s_branch .LBB165_42
.LBB165_73:
	v_bfe_u32 v6, v23, 16, 1
	s_movk_i32 s9, 0x7fff
	v_add3_u32 v6, v23, v6, s9
	v_cmp_o_f32_e32 vcc, v23, v23
	v_mov_b32_e32 v7, 0x7fc0
	s_nop 0
	v_cndmask_b32_sdwa v16, v7, v6, vcc dst_sel:DWORD dst_unused:UNUSED_PAD src0_sel:DWORD src1_sel:WORD_1
	v_add_u32_e32 v6, v5, v0
	v_mov_b32_e32 v7, 0
	s_waitcnt lgkmcnt(0)
	v_lshl_add_u64 v[6:7], v[6:7], 1, s[12:13]
	global_store_short v[6:7], v16, off
	s_or_b64 exec, exec, s[14:15]
	s_and_saveexec_b64 s[14:15], s[2:3]
	s_cbranch_execz .LBB165_45
.LBB165_74:
	v_bfe_u32 v6, v21, 16, 1
	s_movk_i32 s9, 0x7fff
	v_add3_u32 v6, v21, v6, s9
	v_cmp_o_f32_e32 vcc, v21, v21
	v_mov_b32_e32 v7, 0x7fc0
	s_nop 0
	v_cndmask_b32_sdwa v16, v7, v6, vcc dst_sel:DWORD dst_unused:UNUSED_PAD src0_sel:DWORD src1_sel:WORD_1
	v_add_u32_e32 v6, v5, v2
	v_mov_b32_e32 v7, 0
	s_waitcnt lgkmcnt(0)
	v_lshl_add_u64 v[6:7], v[6:7], 1, s[12:13]
	global_store_short v[6:7], v16, off
	s_or_b64 exec, exec, s[14:15]
	s_and_saveexec_b64 s[14:15], s[4:5]
	s_cbranch_execz .LBB165_46
.LBB165_75:
	v_bfe_u32 v6, v19, 16, 1
	s_movk_i32 s9, 0x7fff
	v_add3_u32 v6, v19, v6, s9
	v_cmp_o_f32_e32 vcc, v19, v19
	v_mov_b32_e32 v7, 0x7fc0
	s_nop 0
	v_cndmask_b32_sdwa v16, v7, v6, vcc dst_sel:DWORD dst_unused:UNUSED_PAD src0_sel:DWORD src1_sel:WORD_1
	v_add_u32_e32 v6, v5, v3
	v_mov_b32_e32 v7, 0
	s_waitcnt lgkmcnt(0)
	v_lshl_add_u64 v[6:7], v[6:7], 1, s[12:13]
	global_store_short v[6:7], v16, off
	s_or_b64 exec, exec, s[14:15]
	s_and_saveexec_b64 s[14:15], s[6:7]
	s_cbranch_execnz .LBB165_47
	s_branch .LBB165_48
.LBB165_76:
	v_bfe_u32 v6, v14, 16, 1
	s_movk_i32 s9, 0x7fff
	v_add3_u32 v6, v14, v6, s9
	v_cmp_o_f32_e32 vcc, v14, v14
	v_mov_b32_e32 v7, 0x7fc0
	s_nop 0
	v_cndmask_b32_sdwa v14, v7, v6, vcc dst_sel:DWORD dst_unused:UNUSED_PAD src0_sel:DWORD src1_sel:WORD_1
	v_add_u32_e32 v6, v5, v0
	v_mov_b32_e32 v7, 0
	s_waitcnt lgkmcnt(0)
	v_lshl_add_u64 v[6:7], v[6:7], 1, s[12:13]
	global_store_short v[6:7], v14, off
	s_or_b64 exec, exec, s[14:15]
	s_and_saveexec_b64 s[14:15], s[2:3]
	s_cbranch_execz .LBB165_51
.LBB165_77:
	v_bfe_u32 v6, v12, 16, 1
	s_movk_i32 s9, 0x7fff
	v_add3_u32 v6, v12, v6, s9
	v_cmp_o_f32_e32 vcc, v12, v12
	v_mov_b32_e32 v7, 0x7fc0
	s_nop 0
	v_cndmask_b32_sdwa v12, v7, v6, vcc dst_sel:DWORD dst_unused:UNUSED_PAD src0_sel:DWORD src1_sel:WORD_1
	v_add_u32_e32 v6, v5, v2
	v_mov_b32_e32 v7, 0
	s_waitcnt lgkmcnt(0)
	v_lshl_add_u64 v[6:7], v[6:7], 1, s[12:13]
	global_store_short v[6:7], v12, off
	s_or_b64 exec, exec, s[14:15]
	s_and_saveexec_b64 s[14:15], s[4:5]
	s_cbranch_execz .LBB165_52
.LBB165_78:
	v_bfe_u32 v6, v10, 16, 1
	s_movk_i32 s9, 0x7fff
	v_add3_u32 v6, v10, v6, s9
	v_cmp_o_f32_e32 vcc, v10, v10
	v_mov_b32_e32 v7, 0x7fc0
	s_nop 0
	v_cndmask_b32_sdwa v10, v7, v6, vcc dst_sel:DWORD dst_unused:UNUSED_PAD src0_sel:DWORD src1_sel:WORD_1
	v_add_u32_e32 v6, v5, v3
	v_mov_b32_e32 v7, 0
	s_waitcnt lgkmcnt(0)
	v_lshl_add_u64 v[6:7], v[6:7], 1, s[12:13]
	global_store_short v[6:7], v10, off
	s_or_b64 exec, exec, s[14:15]
	s_and_saveexec_b64 s[14:15], s[6:7]
	s_cbranch_execnz .LBB165_53
	s_branch .LBB165_54
.LBB165_79:
	v_bfe_u32 v5, v15, 16, 1
	s_movk_i32 s0, 0x7fff
	v_add3_u32 v5, v15, v5, s0
	v_cmp_o_f32_e32 vcc, v15, v15
	v_mov_b32_e32 v6, 0x7fc0
	v_mov_b32_e32 v7, 0
	v_cndmask_b32_sdwa v5, v6, v5, vcc dst_sel:DWORD dst_unused:UNUSED_PAD src0_sel:DWORD src1_sel:WORD_1
	v_add_u32_e32 v6, v1, v0
	s_waitcnt lgkmcnt(0)
	v_lshl_add_u64 v[6:7], v[6:7], 1, s[12:13]
	global_store_short v[6:7], v5, off
	s_or_b64 exec, exec, s[8:9]
	s_and_saveexec_b64 s[0:1], s[2:3]
	s_cbranch_execz .LBB165_57
.LBB165_80:
	v_bfe_u32 v0, v13, 16, 1
	s_movk_i32 s2, 0x7fff
	v_add3_u32 v0, v13, v0, s2
	v_cmp_o_f32_e32 vcc, v13, v13
	v_mov_b32_e32 v5, 0x7fc0
	v_add_u32_e32 v6, v1, v2
	v_mov_b32_e32 v7, 0
	v_cndmask_b32_sdwa v0, v5, v0, vcc dst_sel:DWORD dst_unused:UNUSED_PAD src0_sel:DWORD src1_sel:WORD_1
	s_waitcnt lgkmcnt(0)
	v_lshl_add_u64 v[6:7], v[6:7], 1, s[12:13]
	global_store_short v[6:7], v0, off
	s_or_b64 exec, exec, s[0:1]
	s_and_saveexec_b64 s[0:1], s[4:5]
	s_cbranch_execz .LBB165_58
.LBB165_81:
	v_bfe_u32 v0, v11, 16, 1
	s_movk_i32 s2, 0x7fff
	v_add3_u32 v0, v11, v0, s2
	v_cmp_o_f32_e32 vcc, v11, v11
	v_mov_b32_e32 v2, 0x7fc0
	s_nop 0
	v_cndmask_b32_sdwa v0, v2, v0, vcc dst_sel:DWORD dst_unused:UNUSED_PAD src0_sel:DWORD src1_sel:WORD_1
	v_add_u32_e32 v2, v1, v3
	v_mov_b32_e32 v3, 0
	s_waitcnt lgkmcnt(0)
	v_lshl_add_u64 v[2:3], v[2:3], 1, s[12:13]
	global_store_short v[2:3], v0, off
	s_or_b64 exec, exec, s[0:1]
	s_and_b64 exec, exec, s[6:7]
	s_cbranch_execnz .LBB165_59
	s_branch .LBB165_60
	.section	.rodata,"a",@progbits
	.p2align	6, 0x0
	.amdhsa_kernel _ZL12mul_mat_q8_0IN3c108BFloat16ELb0EEvPKvS3_PT_iiiii
		.amdhsa_group_segment_fixed_size 28224
		.amdhsa_private_segment_fixed_size 0
		.amdhsa_kernarg_size 44
		.amdhsa_user_sgpr_count 2
		.amdhsa_user_sgpr_dispatch_ptr 0
		.amdhsa_user_sgpr_queue_ptr 0
		.amdhsa_user_sgpr_kernarg_segment_ptr 1
		.amdhsa_user_sgpr_dispatch_id 0
		.amdhsa_user_sgpr_kernarg_preload_length 0
		.amdhsa_user_sgpr_kernarg_preload_offset 0
		.amdhsa_user_sgpr_private_segment_size 0
		.amdhsa_uses_dynamic_stack 0
		.amdhsa_enable_private_segment 0
		.amdhsa_system_sgpr_workgroup_id_x 1
		.amdhsa_system_sgpr_workgroup_id_y 1
		.amdhsa_system_sgpr_workgroup_id_z 0
		.amdhsa_system_sgpr_workgroup_info 0
		.amdhsa_system_vgpr_workitem_id 1
		.amdhsa_next_free_vgpr 162
		.amdhsa_next_free_sgpr 96
		.amdhsa_accum_offset 164
		.amdhsa_reserve_vcc 1
		.amdhsa_float_round_mode_32 0
		.amdhsa_float_round_mode_16_64 0
		.amdhsa_float_denorm_mode_32 3
		.amdhsa_float_denorm_mode_16_64 3
		.amdhsa_dx10_clamp 1
		.amdhsa_ieee_mode 1
		.amdhsa_fp16_overflow 0
		.amdhsa_tg_split 0
		.amdhsa_exception_fp_ieee_invalid_op 0
		.amdhsa_exception_fp_denorm_src 0
		.amdhsa_exception_fp_ieee_div_zero 0
		.amdhsa_exception_fp_ieee_overflow 0
		.amdhsa_exception_fp_ieee_underflow 0
		.amdhsa_exception_fp_ieee_inexact 0
		.amdhsa_exception_int_div_zero 0
	.end_amdhsa_kernel
	.section	.text._ZL12mul_mat_q8_0IN3c108BFloat16ELb0EEvPKvS3_PT_iiiii,"axG",@progbits,_ZL12mul_mat_q8_0IN3c108BFloat16ELb0EEvPKvS3_PT_iiiii,comdat
.Lfunc_end165:
	.size	_ZL12mul_mat_q8_0IN3c108BFloat16ELb0EEvPKvS3_PT_iiiii, .Lfunc_end165-_ZL12mul_mat_q8_0IN3c108BFloat16ELb0EEvPKvS3_PT_iiiii
                                        ; -- End function
	.set _ZL12mul_mat_q8_0IN3c108BFloat16ELb0EEvPKvS3_PT_iiiii.num_vgpr, 162
	.set _ZL12mul_mat_q8_0IN3c108BFloat16ELb0EEvPKvS3_PT_iiiii.num_agpr, 0
	.set _ZL12mul_mat_q8_0IN3c108BFloat16ELb0EEvPKvS3_PT_iiiii.numbered_sgpr, 16
	.set _ZL12mul_mat_q8_0IN3c108BFloat16ELb0EEvPKvS3_PT_iiiii.num_named_barrier, 0
	.set _ZL12mul_mat_q8_0IN3c108BFloat16ELb0EEvPKvS3_PT_iiiii.private_seg_size, 0
	.set _ZL12mul_mat_q8_0IN3c108BFloat16ELb0EEvPKvS3_PT_iiiii.uses_vcc, 1
	.set _ZL12mul_mat_q8_0IN3c108BFloat16ELb0EEvPKvS3_PT_iiiii.uses_flat_scratch, 0
	.set _ZL12mul_mat_q8_0IN3c108BFloat16ELb0EEvPKvS3_PT_iiiii.has_dyn_sized_stack, 0
	.set _ZL12mul_mat_q8_0IN3c108BFloat16ELb0EEvPKvS3_PT_iiiii.has_recursion, 0
	.set _ZL12mul_mat_q8_0IN3c108BFloat16ELb0EEvPKvS3_PT_iiiii.has_indirect_call, 0
	.section	.AMDGPU.csdata,"",@progbits
; Kernel info:
; codeLenInByte = 7588
; TotalNumSgprs: 22
; NumVgprs: 162
; NumAgprs: 0
; TotalNumVgprs: 162
; ScratchSize: 0
; MemoryBound: 0
; FloatMode: 240
; IeeeMode: 1
; LDSByteSize: 28224 bytes/workgroup (compile time only)
; SGPRBlocks: 12
; VGPRBlocks: 20
; NumSGPRsForWavesPerEU: 102
; NumVGPRsForWavesPerEU: 162
; AccumOffset: 164
; Occupancy: 3
; WaveLimiterHint : 0
; COMPUTE_PGM_RSRC2:SCRATCH_EN: 0
; COMPUTE_PGM_RSRC2:USER_SGPR: 2
; COMPUTE_PGM_RSRC2:TRAP_HANDLER: 0
; COMPUTE_PGM_RSRC2:TGID_X_EN: 1
; COMPUTE_PGM_RSRC2:TGID_Y_EN: 1
; COMPUTE_PGM_RSRC2:TGID_Z_EN: 0
; COMPUTE_PGM_RSRC2:TIDIG_COMP_CNT: 1
; COMPUTE_PGM_RSRC3_GFX90A:ACCUM_OFFSET: 40
; COMPUTE_PGM_RSRC3_GFX90A:TG_SPLIT: 0
	.section	.text._ZL12mul_mat_q8_0IN3c108BFloat16ELb1EEvPKvS3_PT_iiiii,"axG",@progbits,_ZL12mul_mat_q8_0IN3c108BFloat16ELb1EEvPKvS3_PT_iiiii,comdat
	.globl	_ZL12mul_mat_q8_0IN3c108BFloat16ELb1EEvPKvS3_PT_iiiii ; -- Begin function _ZL12mul_mat_q8_0IN3c108BFloat16ELb1EEvPKvS3_PT_iiiii
	.p2align	8
	.type	_ZL12mul_mat_q8_0IN3c108BFloat16ELb1EEvPKvS3_PT_iiiii,@function
_ZL12mul_mat_q8_0IN3c108BFloat16ELb1EEvPKvS3_PT_iiiii: ; @_ZL12mul_mat_q8_0IN3c108BFloat16ELb1EEvPKvS3_PT_iiiii
; %bb.0:
	s_load_dwordx4 s[8:11], s[0:1], 0x18
	s_load_dword s14, s[0:1], 0x28
	s_lshl_b32 s15, s3, 6
	v_bfe_u32 v45, v0, 10, 10
	s_waitcnt lgkmcnt(0)
	s_cmp_gt_i32 s8, 31
	s_cbranch_scc1 .LBB166_2
; %bb.1:
	v_bfe_u32 v1, v0, 10, 10
	v_and_b32_e32 v41, 0x3ff, v0
	v_add_u32_e32 v47, s15, v1
	s_mov_b64 s[4:5], 0
	s_branch .LBB166_3
.LBB166_2:
	s_mov_b64 s[4:5], -1
                                        ; implicit-def: $vgpr1
                                        ; implicit-def: $vgpr41
                                        ; implicit-def: $vgpr47
.LBB166_3:
	s_load_dwordx2 s[12:13], s[0:1], 0x10
	s_lshl_b32 s6, s2, 7
	v_mov_b32_e32 v9, 0
	s_andn2_b64 vcc, exec, s[4:5]
	v_mov_b32_e32 v8, 0
	v_mov_b32_e32 v17, 0
	;; [unrolled: 1-line block ×31, first 2 shown]
	s_cbranch_vccnz .LBB166_9
; %bb.4:
	s_ashr_i32 s4, s8, 31
	s_load_dwordx4 s[0:3], s[0:1], 0x0
	s_lshr_b32 s4, s4, 27
	s_ashr_i32 s5, s11, 31
	s_add_i32 s4, s8, s4
	s_lshr_b32 s5, s5, 27
	s_ashr_i32 s4, s4, 5
	s_add_i32 s5, s11, s5
	s_ashr_i32 s11, s5, 5
	s_mul_i32 s5, s4, s6
	s_mul_hi_i32 s7, s5, 34
	s_mul_i32 s5, s5, 34
	s_waitcnt lgkmcnt(0)
	s_add_u32 s5, s0, s5
	s_addc_u32 s7, s1, s7
	s_not_b32 s0, s6
	s_add_i32 s8, s9, s0
	v_and_b32_e32 v41, 0x3ff, v0
	v_lshlrev_b32_e32 v2, 2, v41
	v_min_i32_e32 v1, s8, v45
	s_movk_i32 s9, 0x84
	v_add_u32_e32 v4, 8, v45
	v_mul_lo_u32 v44, v1, s4
	v_mad_u64_u32 v[46:47], s[0:1], v1, s9, v[2:3]
	v_min_i32_e32 v1, s8, v4
	v_add_u32_e32 v5, 16, v45
	v_mul_lo_u32 v48, v1, s4
	v_mad_u64_u32 v[50:51], s[0:1], v1, s9, v[2:3]
	v_min_i32_e32 v1, s8, v5
	;; [unrolled: 4-line block ×4, first 2 shown]
	v_mul_lo_u32 v60, v1, s4
	v_mad_u64_u32 v[62:63], s[0:1], v1, s9, v[2:3]
	v_add_u32_e32 v1, 64, v45
	v_min_i32_e32 v14, s8, v1
	v_add_u32_e32 v1, 0x48, v45
	v_min_i32_e32 v15, s8, v1
	;; [unrolled: 2-line block ×8, first 2 shown]
	v_bfe_u32 v1, v0, 2, 8
	v_add_u32_e32 v8, 40, v45
	v_add_u32_e32 v10, 48, v45
	;; [unrolled: 1-line block ×3, first 2 shown]
	v_lshl_add_u32 v1, v45, 3, v1
	v_min_i32_e32 v9, s8, v8
	v_min_i32_e32 v11, s8, v10
	;; [unrolled: 1-line block ×4, first 2 shown]
	v_and_b32_e32 v42, 28, v2
	v_mad_u64_u32 v[64:65], s[0:1], v9, s9, v[2:3]
	v_mad_u64_u32 v[66:67], s[0:1], v11, s9, v[2:3]
	;; [unrolled: 1-line block ×11, first 2 shown]
	v_ashrrev_i32_e32 v2, 31, v22
	v_lshrrev_b32_e32 v2, 29, v2
	v_add_u32_e32 v2, v22, v2
	v_and_b32_e32 v86, 3, v0
	v_ashrrev_i32_e32 v2, 3, v2
	v_lshlrev_b32_e32 v2, 2, v2
	v_lshlrev_b32_e32 v23, 2, v86
	s_movk_i32 s0, 0x6200
	v_add3_u32 v24, v2, v23, s0
	v_add_u32_e32 v2, 64, v1
	v_min_i32_e32 v26, s8, v2
	v_ashrrev_i32_e32 v2, 31, v26
	v_lshrrev_b32_e32 v2, 29, v2
	v_bfe_u32 v40, v0, 3, 7
	v_add_u32_e32 v2, v26, v2
	v_and_b32_e32 v0, 31, v0
	v_mov_b32_e32 v29, 0x4200
	v_ashrrev_i32_e32 v2, 3, v2
	v_lshl_or_b32 v29, v0, 2, v29
	v_and_b32_e32 v0, 63, v1
	v_lshlrev_b32_e32 v2, 2, v2
	v_add_u32_e32 v47, s15, v45
	s_add_i32 s1, s10, -1
	v_or_b32_e32 v1, s15, v0
	v_lshl_or_b32 v0, v0, 4, v23
	v_add3_u32 v27, v2, v23, s0
	v_cvt_f64_i32_e32 v[2:3], s1
	v_min_i32_e32 v30, s1, v1
	v_add_u32_e32 v49, 0x6a40, v0
	v_cvt_f64_u32_e32 v[0:1], v47
	v_min_f64 v[0:1], v[0:1], v[2:3]
	v_cvt_i32_f64_e32 v0, v[0:1]
	v_mul_lo_u32 v51, s11, v0
	v_add_u32_e32 v0, 8, v47
	v_cvt_f64_u32_e32 v[0:1], v0
	v_min_f64 v[0:1], v[0:1], v[2:3]
	v_cvt_i32_f64_e32 v0, v[0:1]
	v_mul_lo_u32 v53, s11, v0
	v_add_u32_e32 v0, 16, v47
	v_cvt_f64_u32_e32 v[0:1], v0
	v_min_f64 v[0:1], v[0:1], v[2:3]
	v_cvt_i32_f64_e32 v0, v[0:1]
	v_mul_lo_u32 v55, s11, v0
	v_add_u32_e32 v0, 24, v47
	v_cvt_f64_u32_e32 v[0:1], v0
	v_min_f64 v[0:1], v[0:1], v[2:3]
	v_cvt_i32_f64_e32 v0, v[0:1]
	v_mul_lo_u32 v57, s11, v0
	v_add_u32_e32 v0, 32, v47
	v_cvt_f64_u32_e32 v[0:1], v0
	v_min_f64 v[0:1], v[0:1], v[2:3]
	v_cvt_i32_f64_e32 v0, v[0:1]
	v_mul_lo_u32 v59, s11, v0
	v_add_u32_e32 v0, 40, v47
	v_cvt_f64_u32_e32 v[0:1], v0
	v_min_f64 v[0:1], v[0:1], v[2:3]
	v_cvt_i32_f64_e32 v0, v[0:1]
	v_mul_lo_u32 v61, s11, v0
	v_add_u32_e32 v0, 48, v47
	v_cvt_f64_u32_e32 v[0:1], v0
	v_min_f64 v[0:1], v[0:1], v[2:3]
	v_cvt_i32_f64_e32 v0, v[0:1]
	v_mul_lo_u32 v63, s11, v0
	v_add_u32_e32 v0, 56, v47
	v_cvt_f64_u32_e32 v[0:1], v0
	v_min_f64 v[0:1], v[0:1], v[2:3]
	v_add_u32_e32 v3, 0x60, v41
	v_cvt_i32_f64_e32 v0, v[0:1]
	v_add_u32_e32 v2, 64, v41
	v_lshrrev_b32_e32 v3, 1, v3
	v_mul_lo_u32 v65, s11, v0
	v_lshlrev_b32_e32 v0, 7, v12
	v_add_u32_e32 v1, 32, v41
	v_lshlrev_b32_e32 v12, 4, v41
	v_and_b32_e32 v3, 0xfc, v3
	s_movk_i32 s1, 0x6800
	v_lshrrev_b32_e32 v2, 1, v2
	v_add3_u32 v67, v12, v3, s1
	v_and_b32_e32 v2, 0xfc, v2
	s_movk_i32 s1, 0x6600
	v_lshrrev_b32_e32 v1, 1, v1
	v_add3_u32 v69, v12, v2, s1
	v_and_b32_e32 v1, 0xfc, v1
	s_movk_i32 s1, 0x6400
	v_mov_b32_e32 v43, 0
	v_lshlrev_b32_e32 v5, 7, v5
	v_add3_u32 v71, v12, v1, s1
	v_lshlrev_b32_e32 v1, 2, v40
	v_lshlrev_b32_e32 v25, 4, v22
	;; [unrolled: 1-line block ×9, first 2 shown]
	v_add3_u32 v73, v12, v1, s0
	v_mov_b32_e32 v1, 0x6a40
	v_add_u32_e32 v87, v29, v5
	v_mov_b32_e32 v38, v43
	v_mov_b32_e32 v39, v43
	v_lshl_add_u32 v75, v45, 4, v1
	v_add_u32_e32 v77, v24, v25
	v_add_u32_e32 v79, 0x4200, v23
	s_mov_b32 s8, 0
	v_add_u32_e32 v81, v27, v28
	v_add_u32_e32 v83, v29, v23
	v_add_u32_e32 v85, v29, v4
	v_add_u32_e32 v89, v29, v6
	v_add_u32_e32 v91, v29, v7
	v_add_u32_e32 v93, v29, v8
	v_add_u32_e32 v95, v29, v10
	v_add_u32_e32 v97, v29, v0
	v_mul_lo_u32 v88, v9, s4
	v_mul_lo_u32 v90, v11, s4
	;; [unrolled: 1-line block ×13, first 2 shown]
	v_mad_u64_u32 v[114:115], s[0:1], v30, s11, v[86:87]
	v_mul_u32_u24_e32 v99, 0x84, v41
	v_lshl_add_u64 v[116:117], s[2:3], 0, v[42:43]
	v_mov_b64_e32 v[30:31], v[38:39]
	v_mov_b64_e32 v[22:23], v[38:39]
	;; [unrolled: 1-line block ×15, first 2 shown]
.LBB166_5:                              ; =>This Loop Header: Depth=1
                                        ;     Child Loop BB166_6 Depth 2
	s_mul_i32 s0, s8, 34
	s_mul_hi_u32 s1, s8, 34
	s_add_u32 s0, s5, s0
	s_addc_u32 s1, s7, s1
	v_mad_u64_u32 v[0:1], s[16:17], v40, 34, s[0:1]
	v_mad_i64_i32 v[2:3], s[16:17], v44, 34, v[0:1]
	v_mad_i64_i32 v[4:5], s[16:17], v48, 34, v[0:1]
	;; [unrolled: 1-line block ×7, first 2 shown]
	v_lshl_add_u64 v[2:3], v[2:3], 0, v[42:43]
	v_lshl_add_u64 v[4:5], v[4:5], 0, v[42:43]
	v_lshl_add_u64 v[6:7], v[6:7], 0, v[42:43]
	v_lshl_add_u64 v[118:119], v[118:119], 0, v[42:43]
	v_lshl_add_u64 v[120:121], v[120:121], 0, v[42:43]
	v_lshl_add_u64 v[122:123], v[122:123], 0, v[42:43]
	v_lshl_add_u64 v[124:125], v[124:125], 0, v[42:43]
	v_mad_i64_i32 v[126:127], s[16:17], v92, 34, v[0:1]
	v_lshl_add_u64 v[126:127], v[126:127], 0, v[42:43]
	global_load_dword v101, v[2:3], off offset:2
	global_load_dword v103, v[4:5], off offset:2
	;; [unrolled: 1-line block ×8, first 2 shown]
	v_mad_i64_i32 v[2:3], s[16:17], v94, 34, v[0:1]
	v_mad_i64_i32 v[4:5], s[16:17], v96, 34, v[0:1]
	;; [unrolled: 1-line block ×8, first 2 shown]
	v_lshl_add_u64 v[2:3], v[2:3], 0, v[42:43]
	v_lshl_add_u64 v[0:1], v[0:1], 0, v[42:43]
	;; [unrolled: 1-line block ×8, first 2 shown]
	global_load_dword v126, v[2:3], off offset:2
	global_load_dword v127, v[4:5], off offset:2
                                        ; kill: killed $vgpr2_vgpr3
                                        ; kill: killed $vgpr4_vgpr5
	global_load_dword v128, v[6:7], off offset:2
	global_load_dword v129, v[118:119], off offset:2
	;; [unrolled: 1-line block ×4, first 2 shown]
                                        ; kill: killed $vgpr122_vgpr123
                                        ; kill: killed $vgpr6_vgpr7
                                        ; kill: killed $vgpr118_vgpr119
                                        ; kill: killed $vgpr120_vgpr121
	global_load_dword v132, v[124:125], off offset:2
	global_load_dword v133, v[0:1], off offset:2
	v_mad_u64_u32 v[0:1], s[0:1], v86, 34, s[0:1]
	v_mad_i64_i32 v[2:3], s[0:1], v110, 34, v[0:1]
	v_mad_i64_i32 v[0:1], s[0:1], v112, 34, v[0:1]
	v_add_u32_e32 v136, s8, v40
	global_load_ushort v134, v[2:3], off
	global_load_ushort v135, v[0:1], off
	v_add_u32_e32 v0, s8, v114
	v_add_u32_e32 v2, v136, v51
	;; [unrolled: 1-line block ×5, first 2 shown]
	v_mad_u64_u32 v[0:1], s[0:1], v0, 36, s[2:3]
	v_mad_i64_i32 v[2:3], s[0:1], v2, 36, v[116:117]
	v_mad_i64_i32 v[4:5], s[0:1], v4, 36, v[116:117]
	;; [unrolled: 1-line block ×4, first 2 shown]
	v_add_u32_e32 v120, v136, v59
	v_add_u32_e32 v122, v136, v61
	;; [unrolled: 1-line block ×3, first 2 shown]
	v_mad_i64_i32 v[120:121], s[0:1], v120, 36, v[116:117]
	v_mad_i64_i32 v[122:123], s[0:1], v122, 36, v[116:117]
	;; [unrolled: 1-line block ×3, first 2 shown]
	global_load_dword v137, v[0:1], off
	s_nop 0
	global_load_dword v2, v[2:3], off offset:4
	s_nop 0
	global_load_dword v3, v[4:5], off offset:4
	;; [unrolled: 2-line block ×3, first 2 shown]
	global_load_dword v5, v[118:119], off offset:4
	s_nop 0
	global_load_dword v6, v[120:121], off offset:4
	global_load_dword v7, v[122:123], off offset:4
	;; [unrolled: 1-line block ×3, first 2 shown]
	v_add_u32_e32 v0, v136, v65
	v_mad_i64_i32 v[0:1], s[0:1], v0, 36, v[116:117]
	global_load_dword v0, v[0:1], off offset:4
	s_waitcnt vmcnt(26)
	ds_write_b32 v46, v101
	s_waitcnt vmcnt(25)
	ds_write_b32 v50, v103
	;; [unrolled: 2-line block ×14, first 2 shown]
	s_mov_b32 s0, -8
	v_mov_b32_e32 v103, v75
	v_mov_b32_e32 v105, v73
	;; [unrolled: 1-line block ×6, first 2 shown]
	s_waitcnt vmcnt(10)
	v_cvt_f32_f16_e32 v1, v134
	s_waitcnt vmcnt(9)
	v_cvt_f32_f16_e32 v101, v135
	ds_write_b32 v82, v132
	ds_write_b32 v84, v133
	;; [unrolled: 1-line block ×4, first 2 shown]
	s_waitcnt vmcnt(7)
	ds_write_b32 v83, v2
	s_waitcnt vmcnt(6)
	ds_write_b32 v85, v3
	;; [unrolled: 2-line block ×5, first 2 shown]
	v_cvt_f32_f16_e32 v1, v137
	v_mov_b32_e32 v101, v79
	s_waitcnt vmcnt(2)
	ds_write_b32 v93, v7
	s_waitcnt vmcnt(1)
	ds_write_b32 v95, v118
	s_waitcnt vmcnt(0)
	ds_write_b32 v97, v0
	ds_write_b32 v49, v1
	s_waitcnt lgkmcnt(0)
	s_barrier
.LBB166_6:                              ;   Parent Loop BB166_5 Depth=1
                                        ; =>  This Inner Loop Header: Depth=2
	v_add_u32_e32 v6, 0x1080, v113
	ds_read2_b32 v[0:1], v103 offset1:32
	ds_read_b128 v[2:5], v101
	ds_read_b128 v[158:161], v101 offset:16
	ds_read_b32 v124, v105
	ds_read2_b32 v[150:151], v113 offset1:1
	ds_read2_b32 v[152:153], v113 offset0:2 offset1:3
	ds_read2_b32 v[154:155], v113 offset0:4 offset1:5
	;; [unrolled: 1-line block ×3, first 2 shown]
	ds_read_b32 v120, v107
	ds_read2_b32 v[126:127], v6 offset1:1
	v_add_u32_e32 v6, 0x1088, v113
	ds_read2_b32 v[130:131], v6 offset1:1
	v_add_u32_e32 v6, 0x1090, v113
	;; [unrolled: 2-line block ×4, first 2 shown]
	ds_read_b32 v122, v109
	ds_read2_b32 v[128:129], v6 offset1:1
	v_add_u32_e32 v6, 0x2108, v113
	ds_read2_b32 v[134:135], v6 offset1:1
	v_add_u32_e32 v6, 0x2110, v113
	;; [unrolled: 2-line block ×4, first 2 shown]
	ds_read_b32 v118, v111
	ds_read2_b32 v[132:133], v6 offset1:1
	v_mov_b32_e32 v115, 0
	v_mov_b32_e32 v119, 0
	;; [unrolled: 1-line block ×4, first 2 shown]
	s_waitcnt lgkmcnt(14)
	v_dot4c_i32_i8_e32 v115, v150, v2
	s_waitcnt lgkmcnt(10)
	v_dot4c_i32_i8_e32 v119, v126, v2
	;; [unrolled: 2-line block ×4, first 2 shown]
	v_add_u32_e32 v2, 0x3188, v113
	ds_read2_b32 v[138:139], v2 offset1:1
	v_add_u32_e32 v2, 0x3190, v113
	ds_read2_b32 v[144:145], v2 offset1:1
	v_add_u32_e32 v2, 0x3198, v113
	v_dot4c_i32_i8_e32 v115, v151, v3
	v_dot4c_i32_i8_e32 v119, v127, v3
	;; [unrolled: 1-line block ×4, first 2 shown]
	ds_read2_b32 v[148:149], v2 offset1:1
	v_dot4c_i32_i8_e32 v115, v152, v4
	v_dot4c_i32_i8_e32 v119, v130, v4
	v_dot4c_i32_i8_e32 v121, v134, v4
	s_waitcnt lgkmcnt(2)
	v_dot4c_i32_i8_e32 v123, v138, v4
	v_dot4c_i32_i8_e32 v115, v153, v5
	v_dot4c_i32_i8_e32 v119, v131, v5
	v_dot4c_i32_i8_e32 v121, v135, v5
	v_dot4c_i32_i8_e32 v123, v139, v5
	v_dot4c_i32_i8_e32 v115, v154, v158
	v_dot4c_i32_i8_e32 v119, v136, v158
	v_dot4c_i32_i8_e32 v121, v140, v158
	s_waitcnt lgkmcnt(1)
	v_dot4c_i32_i8_e32 v123, v144, v158
	v_dot4c_i32_i8_e32 v115, v155, v159
	v_dot4c_i32_i8_e32 v119, v137, v159
	v_dot4c_i32_i8_e32 v121, v141, v159
	v_dot4c_i32_i8_e32 v123, v145, v159
	;; [unrolled: 9-line block ×3, first 2 shown]
	ds_read_b128 v[2:5], v101 offset:1024
	ds_read_b128 v[158:161], v101 offset:1040
	v_mov_b32_e32 v125, 0
	v_cvt_f32_i32_e32 v162, v115
	v_mov_b32_e32 v115, 0
	s_waitcnt lgkmcnt(1)
	v_dot4c_i32_i8_e32 v125, v150, v2
	v_dot4c_i32_i8_e32 v125, v151, v3
	v_dot4c_i32_i8_e32 v125, v152, v4
	v_dot4c_i32_i8_e32 v125, v153, v5
	s_waitcnt lgkmcnt(0)
	v_dot4c_i32_i8_e32 v125, v154, v158
	v_dot4c_i32_i8_e32 v115, v126, v2
	v_dot4c_i32_i8_e32 v125, v155, v159
	v_dot4c_i32_i8_e32 v115, v127, v3
	v_dot4c_i32_i8_e32 v125, v156, v160
	v_dot4c_i32_i8_e32 v115, v130, v4
	v_dot4c_i32_i8_e32 v125, v157, v161
	v_dot4c_i32_i8_e32 v115, v131, v5
	v_dot4c_i32_i8_e32 v115, v136, v158
	v_dot4c_i32_i8_e32 v115, v137, v159
	v_cvt_f32_i32_e32 v163, v125
	v_dot4c_i32_i8_e32 v115, v142, v160
	v_pk_mul_f32 v[6:7], v[124:125], v[0:1] op_sel_hi:[0,1]
	v_dot4c_i32_i8_e32 v115, v143, v161
	v_pk_fma_f32 v[38:39], v[6:7], v[162:163], v[38:39]
	v_cvt_f32_i32_e32 v162, v119
	v_pk_mul_f32 v[6:7], v[120:121], v[0:1] op_sel_hi:[0,1]
	v_cvt_f32_i32_e32 v163, v115
	v_mov_b32_e32 v115, 0
	v_dot4c_i32_i8_e32 v115, v128, v2
	v_dot4c_i32_i8_e32 v115, v129, v3
	;; [unrolled: 1-line block ×8, first 2 shown]
	v_pk_fma_f32 v[36:37], v[6:7], v[162:163], v[36:37]
	v_cvt_f32_i32_e32 v162, v121
	v_pk_mul_f32 v[6:7], v[122:123], v[0:1] op_sel_hi:[0,1]
	v_cvt_f32_i32_e32 v163, v115
	v_pk_mul_f32 v[0:1], v[118:119], v[0:1] op_sel_hi:[0,1]
	v_mov_b32_e32 v115, 0
	v_mov_b32_e32 v119, 0
	v_pk_fma_f32 v[34:35], v[6:7], v[162:163], v[34:35]
	v_mov_b32_e32 v6, 0
	v_dot4c_i32_i8_e32 v6, v132, v2
	v_dot4c_i32_i8_e32 v6, v133, v3
	;; [unrolled: 1-line block ×8, first 2 shown]
	v_cvt_f32_i32_e32 v2, v123
	v_mov_b32_e32 v121, 0
	v_mov_b32_e32 v123, 0
	v_cvt_f32_i32_e32 v3, v6
	v_mov_b32_e32 v125, 0
	s_add_i32 s0, s0, 8
	v_add_u32_e32 v113, 32, v113
	v_pk_fma_f32 v[32:33], v[0:1], v[2:3], v[32:33]
	ds_read2_b32 v[0:1], v103 offset0:64 offset1:96
	ds_read_b128 v[2:5], v101 offset:2048
	ds_read_b128 v[158:161], v101 offset:2064
	v_add_u32_e32 v111, 4, v111
	v_add_u32_e32 v109, 4, v109
	;; [unrolled: 1-line block ×3, first 2 shown]
	s_waitcnt lgkmcnt(1)
	v_dot4c_i32_i8_e32 v115, v150, v2
	v_dot4c_i32_i8_e32 v119, v126, v2
	;; [unrolled: 1-line block ×16, first 2 shown]
	s_waitcnt lgkmcnt(0)
	v_dot4c_i32_i8_e32 v115, v154, v158
	v_dot4c_i32_i8_e32 v119, v136, v158
	;; [unrolled: 1-line block ×16, first 2 shown]
	ds_read_b128 v[2:5], v101 offset:3072
	ds_read_b128 v[158:161], v101 offset:3088
	v_cvt_f32_i32_e32 v162, v115
	v_mov_b32_e32 v115, 0
	v_add_u32_e32 v105, 4, v105
	s_waitcnt lgkmcnt(1)
	v_dot4c_i32_i8_e32 v125, v150, v2
	v_dot4c_i32_i8_e32 v125, v151, v3
	v_dot4c_i32_i8_e32 v125, v152, v4
	v_dot4c_i32_i8_e32 v125, v153, v5
	s_waitcnt lgkmcnt(0)
	v_dot4c_i32_i8_e32 v125, v154, v158
	v_dot4c_i32_i8_e32 v115, v126, v2
	;; [unrolled: 1-line block ×10, first 2 shown]
	v_cvt_f32_i32_e32 v163, v125
	v_dot4c_i32_i8_e32 v115, v142, v160
	v_pk_mul_f32 v[6:7], v[124:125], v[0:1] op_sel_hi:[0,1]
	v_dot4c_i32_i8_e32 v115, v143, v161
	v_pk_fma_f32 v[30:31], v[6:7], v[162:163], v[30:31]
	v_cvt_f32_i32_e32 v162, v119
	v_pk_mul_f32 v[6:7], v[120:121], v[0:1] op_sel_hi:[0,1]
	v_cvt_f32_i32_e32 v163, v115
	v_mov_b32_e32 v115, 0
	v_dot4c_i32_i8_e32 v115, v128, v2
	v_dot4c_i32_i8_e32 v115, v129, v3
	;; [unrolled: 1-line block ×8, first 2 shown]
	v_pk_fma_f32 v[28:29], v[6:7], v[162:163], v[28:29]
	v_cvt_f32_i32_e32 v162, v121
	v_pk_mul_f32 v[6:7], v[122:123], v[0:1] op_sel_hi:[0,1]
	v_cvt_f32_i32_e32 v163, v115
	v_pk_mul_f32 v[0:1], v[118:119], v[0:1] op_sel_hi:[0,1]
	v_mov_b32_e32 v115, 0
	v_mov_b32_e32 v119, 0
	v_pk_fma_f32 v[26:27], v[6:7], v[162:163], v[26:27]
	v_mov_b32_e32 v6, 0
	v_dot4c_i32_i8_e32 v6, v132, v2
	v_dot4c_i32_i8_e32 v6, v133, v3
	;; [unrolled: 1-line block ×8, first 2 shown]
	v_cvt_f32_i32_e32 v2, v123
	v_mov_b32_e32 v121, 0
	v_mov_b32_e32 v123, 0
	v_cvt_f32_i32_e32 v3, v6
	v_mov_b32_e32 v125, 0
	s_cmp_lt_u32 s0, 24
	v_pk_fma_f32 v[24:25], v[0:1], v[2:3], v[24:25]
	ds_read2_b32 v[0:1], v103 offset0:128 offset1:160
	ds_read_b128 v[2:5], v101 offset:4096
	ds_read_b128 v[158:161], v101 offset:4112
	s_waitcnt lgkmcnt(1)
	v_dot4c_i32_i8_e32 v115, v150, v2
	v_dot4c_i32_i8_e32 v119, v126, v2
	v_dot4c_i32_i8_e32 v121, v128, v2
	v_dot4c_i32_i8_e32 v123, v132, v2
	v_dot4c_i32_i8_e32 v115, v151, v3
	v_dot4c_i32_i8_e32 v119, v127, v3
	v_dot4c_i32_i8_e32 v121, v129, v3
	v_dot4c_i32_i8_e32 v123, v133, v3
	v_dot4c_i32_i8_e32 v115, v152, v4
	v_dot4c_i32_i8_e32 v119, v130, v4
	v_dot4c_i32_i8_e32 v121, v134, v4
	v_dot4c_i32_i8_e32 v123, v138, v4
	v_dot4c_i32_i8_e32 v115, v153, v5
	v_dot4c_i32_i8_e32 v119, v131, v5
	v_dot4c_i32_i8_e32 v121, v135, v5
	v_dot4c_i32_i8_e32 v123, v139, v5
	s_waitcnt lgkmcnt(0)
	v_dot4c_i32_i8_e32 v115, v154, v158
	v_dot4c_i32_i8_e32 v119, v136, v158
	v_dot4c_i32_i8_e32 v121, v140, v158
	v_dot4c_i32_i8_e32 v123, v144, v158
	v_dot4c_i32_i8_e32 v115, v155, v159
	v_dot4c_i32_i8_e32 v119, v137, v159
	v_dot4c_i32_i8_e32 v121, v141, v159
	v_dot4c_i32_i8_e32 v123, v145, v159
	v_dot4c_i32_i8_e32 v115, v156, v160
	v_dot4c_i32_i8_e32 v119, v142, v160
	v_dot4c_i32_i8_e32 v121, v146, v160
	v_dot4c_i32_i8_e32 v123, v148, v160
	v_dot4c_i32_i8_e32 v115, v157, v161
	v_dot4c_i32_i8_e32 v119, v143, v161
	v_dot4c_i32_i8_e32 v121, v147, v161
	v_dot4c_i32_i8_e32 v123, v149, v161
	ds_read_b128 v[2:5], v101 offset:5120
	ds_read_b128 v[158:161], v101 offset:5136
	v_cvt_f32_i32_e32 v162, v115
	v_mov_b32_e32 v115, 0
	s_waitcnt lgkmcnt(1)
	v_dot4c_i32_i8_e32 v125, v150, v2
	v_dot4c_i32_i8_e32 v125, v151, v3
	;; [unrolled: 1-line block ×4, first 2 shown]
	s_waitcnt lgkmcnt(0)
	v_dot4c_i32_i8_e32 v125, v154, v158
	v_dot4c_i32_i8_e32 v115, v126, v2
	;; [unrolled: 1-line block ×10, first 2 shown]
	v_cvt_f32_i32_e32 v163, v125
	v_dot4c_i32_i8_e32 v115, v142, v160
	v_pk_mul_f32 v[6:7], v[124:125], v[0:1] op_sel_hi:[0,1]
	v_dot4c_i32_i8_e32 v115, v143, v161
	v_pk_fma_f32 v[22:23], v[6:7], v[162:163], v[22:23]
	v_cvt_f32_i32_e32 v162, v119
	v_pk_mul_f32 v[6:7], v[120:121], v[0:1] op_sel_hi:[0,1]
	v_cvt_f32_i32_e32 v163, v115
	v_mov_b32_e32 v115, 0
	v_dot4c_i32_i8_e32 v115, v128, v2
	v_dot4c_i32_i8_e32 v115, v129, v3
	;; [unrolled: 1-line block ×8, first 2 shown]
	v_pk_fma_f32 v[20:21], v[6:7], v[162:163], v[20:21]
	v_cvt_f32_i32_e32 v162, v121
	v_pk_mul_f32 v[6:7], v[122:123], v[0:1] op_sel_hi:[0,1]
	v_cvt_f32_i32_e32 v163, v115
	v_pk_mul_f32 v[0:1], v[118:119], v[0:1] op_sel_hi:[0,1]
	v_mov_b32_e32 v119, 0
	v_mov_b32_e32 v115, 0
	v_pk_fma_f32 v[18:19], v[6:7], v[162:163], v[18:19]
	v_mov_b32_e32 v6, 0
	v_dot4c_i32_i8_e32 v6, v132, v2
	v_dot4c_i32_i8_e32 v6, v133, v3
	;; [unrolled: 1-line block ×8, first 2 shown]
	v_cvt_f32_i32_e32 v2, v123
	v_mov_b32_e32 v123, 0
	v_mov_b32_e32 v160, 0
	v_cvt_f32_i32_e32 v3, v6
	v_mov_b32_e32 v121, 0
	v_pk_fma_f32 v[16:17], v[0:1], v[2:3], v[16:17]
	ds_read2_b32 v[158:159], v103 offset0:192 offset1:224
	ds_read_b128 v[0:3], v101 offset:6144
	ds_read_b128 v[4:7], v101 offset:6160
	v_add_u32_e32 v103, 4, v103
	s_waitcnt lgkmcnt(2)
	v_pk_mul_f32 v[124:125], v[124:125], v[158:159] op_sel_hi:[0,1]
	s_waitcnt lgkmcnt(1)
	v_dot4c_i32_i8_e32 v119, v150, v0
	v_dot4c_i32_i8_e32 v123, v126, v0
	;; [unrolled: 1-line block ×16, first 2 shown]
	s_waitcnt lgkmcnt(0)
	v_dot4c_i32_i8_e32 v119, v154, v4
	v_dot4c_i32_i8_e32 v123, v136, v4
	;; [unrolled: 1-line block ×16, first 2 shown]
	ds_read_b128 v[4:7], v101 offset:7168
	ds_read_b128 v[0:3], v101 offset:7184
	v_add_u32_e32 v101, 32, v101
	s_waitcnt lgkmcnt(1)
	v_dot4c_i32_i8_e32 v121, v150, v4
	v_dot4c_i32_i8_e32 v121, v151, v5
	;; [unrolled: 1-line block ×4, first 2 shown]
	v_cvt_f32_i32_e32 v150, v119
	v_mov_b32_e32 v119, 0
	s_waitcnt lgkmcnt(0)
	v_dot4c_i32_i8_e32 v121, v154, v0
	v_dot4c_i32_i8_e32 v119, v126, v4
	;; [unrolled: 1-line block ×10, first 2 shown]
	v_cvt_f32_i32_e32 v151, v121
	v_dot4c_i32_i8_e32 v119, v142, v2
	v_dot4c_i32_i8_e32 v119, v143, v3
	v_pk_mul_f32 v[120:121], v[120:121], v[158:159] op_sel_hi:[0,1]
	v_pk_fma_f32 v[14:15], v[124:125], v[150:151], v[14:15]
	v_cvt_f32_i32_e32 v124, v123
	v_cvt_f32_i32_e32 v125, v119
	v_mov_b32_e32 v119, 0
	v_dot4c_i32_i8_e32 v119, v128, v4
	v_dot4c_i32_i8_e32 v119, v129, v5
	;; [unrolled: 1-line block ×8, first 2 shown]
	v_pk_fma_f32 v[12:13], v[120:121], v[124:125], v[12:13]
	v_pk_mul_f32 v[120:121], v[122:123], v[158:159] op_sel_hi:[0,1]
	v_cvt_f32_i32_e32 v122, v160
	v_cvt_f32_i32_e32 v123, v119
	v_mov_b32_e32 v119, 0
	v_dot4c_i32_i8_e32 v119, v132, v4
	v_dot4c_i32_i8_e32 v119, v133, v5
	;; [unrolled: 1-line block ×8, first 2 shown]
	v_cvt_f32_i32_e32 v2, v115
	v_pk_fma_f32 v[10:11], v[120:121], v[122:123], v[10:11]
	s_nop 0
	v_cvt_f32_i32_e32 v3, v119
	v_pk_mul_f32 v[0:1], v[118:119], v[158:159] op_sel_hi:[0,1]
	v_pk_fma_f32 v[8:9], v[0:1], v[2:3], v[8:9]
	s_cbranch_scc1 .LBB166_6
; %bb.7:                                ;   in Loop: Header=BB166_5 Depth=1
	s_add_i32 s8, s8, 4
	s_cmp_ge_i32 s8, s4
	s_barrier
	s_cbranch_scc0 .LBB166_5
; %bb.8:
	v_mov_b32_e32 v1, v45
.LBB166_9:
	v_cmp_gt_u32_e32 vcc, s10, v47
	s_and_saveexec_b64 s[0:1], vcc
	s_cbranch_execz .LBB166_60
; %bb.10:
	v_add_u32_e32 v0, s6, v41
	v_mul_lo_u32 v5, v47, s14
	v_cmp_gt_u32_e64 s[0:1], s14, v0
	s_and_saveexec_b64 s[2:3], s[0:1]
	s_cbranch_execz .LBB166_12
; %bb.11:
	v_bfe_u32 v2, v38, 16, 1
	s_movk_i32 s4, 0x7fff
	v_add3_u32 v2, v38, v2, s4
	v_cmp_o_f32_e32 vcc, v38, v38
	v_mov_b32_e32 v3, 0x7fc0
	s_nop 0
	v_cndmask_b32_sdwa v4, v3, v2, vcc dst_sel:DWORD dst_unused:UNUSED_PAD src0_sel:DWORD src1_sel:WORD_1
	v_add_u32_e32 v2, v0, v5
	v_mov_b32_e32 v3, 0
	s_waitcnt lgkmcnt(0)
	v_lshl_add_u64 v[2:3], v[2:3], 1, s[12:13]
	global_store_short v[2:3], v4, off
.LBB166_12:
	s_or_b64 exec, exec, s[2:3]
	v_add_u32_e32 v2, 32, v0
	v_cmp_gt_u32_e64 s[2:3], s14, v2
	s_and_saveexec_b64 s[4:5], s[2:3]
	s_cbranch_execz .LBB166_14
; %bb.13:
	v_bfe_u32 v3, v36, 16, 1
	s_movk_i32 s6, 0x7fff
	v_add3_u32 v3, v36, v3, s6
	v_cmp_o_f32_e32 vcc, v36, v36
	v_mov_b32_e32 v4, 0x7fc0
	v_add_u32_e32 v6, v2, v5
	v_mov_b32_e32 v7, 0
	v_cndmask_b32_sdwa v3, v4, v3, vcc dst_sel:DWORD dst_unused:UNUSED_PAD src0_sel:DWORD src1_sel:WORD_1
	s_waitcnt lgkmcnt(0)
	v_lshl_add_u64 v[6:7], v[6:7], 1, s[12:13]
	global_store_short v[6:7], v3, off
.LBB166_14:
	s_or_b64 exec, exec, s[4:5]
	v_add_u32_e32 v3, 64, v0
	v_cmp_gt_u32_e64 s[4:5], s14, v3
	s_and_saveexec_b64 s[6:7], s[4:5]
	s_cbranch_execz .LBB166_16
; %bb.15:
	v_bfe_u32 v4, v34, 16, 1
	s_movk_i32 s8, 0x7fff
	v_add3_u32 v4, v34, v4, s8
	v_cmp_o_f32_e32 vcc, v34, v34
	v_mov_b32_e32 v6, 0x7fc0
	v_mov_b32_e32 v7, 0
	v_cndmask_b32_sdwa v4, v6, v4, vcc dst_sel:DWORD dst_unused:UNUSED_PAD src0_sel:DWORD src1_sel:WORD_1
	v_add_u32_e32 v6, v3, v5
	s_waitcnt lgkmcnt(0)
	v_lshl_add_u64 v[6:7], v[6:7], 1, s[12:13]
	global_store_short v[6:7], v4, off
.LBB166_16:
	s_or_b64 exec, exec, s[6:7]
	v_add_u32_e32 v4, 0x60, v0
	v_cmp_gt_u32_e64 s[6:7], s14, v4
	s_and_saveexec_b64 s[8:9], s[6:7]
	s_cbranch_execz .LBB166_18
; %bb.17:
	v_bfe_u32 v6, v32, 16, 1
	s_movk_i32 s11, 0x7fff
	v_add3_u32 v6, v32, v6, s11
	v_cmp_o_f32_e32 vcc, v32, v32
	v_mov_b32_e32 v7, 0x7fc0
	s_nop 0
	v_cndmask_b32_sdwa v32, v7, v6, vcc dst_sel:DWORD dst_unused:UNUSED_PAD src0_sel:DWORD src1_sel:WORD_1
	v_add_u32_e32 v6, v4, v5
	v_mov_b32_e32 v7, 0
	s_waitcnt lgkmcnt(0)
	v_lshl_add_u64 v[6:7], v[6:7], 1, s[12:13]
	global_store_short v[6:7], v32, off
.LBB166_18:
	s_or_b64 exec, exec, s[8:9]
	v_add3_u32 v5, v1, s15, 8
	v_cmp_gt_u32_e32 vcc, s10, v5
	s_and_b64 exec, exec, vcc
	s_cbranch_execz .LBB166_60
; %bb.19:
	v_mul_lo_u32 v5, v5, s14
	s_and_saveexec_b64 s[8:9], s[0:1]
	s_cbranch_execnz .LBB166_61
; %bb.20:
	s_or_b64 exec, exec, s[8:9]
	s_and_saveexec_b64 s[8:9], s[2:3]
	s_cbranch_execnz .LBB166_62
.LBB166_21:
	s_or_b64 exec, exec, s[8:9]
	s_and_saveexec_b64 s[8:9], s[4:5]
	s_cbranch_execnz .LBB166_63
.LBB166_22:
	s_or_b64 exec, exec, s[8:9]
	s_and_saveexec_b64 s[8:9], s[6:7]
	s_cbranch_execz .LBB166_24
.LBB166_23:
	v_bfe_u32 v6, v33, 16, 1
	s_movk_i32 s11, 0x7fff
	v_add3_u32 v6, v33, v6, s11
	v_cmp_o_f32_e32 vcc, v33, v33
	v_mov_b32_e32 v7, 0x7fc0
	s_nop 0
	v_cndmask_b32_sdwa v32, v7, v6, vcc dst_sel:DWORD dst_unused:UNUSED_PAD src0_sel:DWORD src1_sel:WORD_1
	v_add_u32_e32 v6, v5, v4
	v_mov_b32_e32 v7, 0
	s_waitcnt lgkmcnt(0)
	v_lshl_add_u64 v[6:7], v[6:7], 1, s[12:13]
	global_store_short v[6:7], v32, off
.LBB166_24:
	s_or_b64 exec, exec, s[8:9]
	v_add3_u32 v5, v1, s15, 16
	v_cmp_gt_u32_e32 vcc, s10, v5
	s_and_b64 exec, exec, vcc
	s_cbranch_execz .LBB166_60
; %bb.25:
	v_mul_lo_u32 v5, v5, s14
	s_and_saveexec_b64 s[8:9], s[0:1]
	s_cbranch_execnz .LBB166_64
; %bb.26:
	s_or_b64 exec, exec, s[8:9]
	s_and_saveexec_b64 s[8:9], s[2:3]
	s_cbranch_execnz .LBB166_65
.LBB166_27:
	s_or_b64 exec, exec, s[8:9]
	s_and_saveexec_b64 s[8:9], s[4:5]
	s_cbranch_execnz .LBB166_66
.LBB166_28:
	s_or_b64 exec, exec, s[8:9]
	s_and_saveexec_b64 s[8:9], s[6:7]
	s_cbranch_execz .LBB166_30
.LBB166_29:
	v_bfe_u32 v6, v24, 16, 1
	s_movk_i32 s11, 0x7fff
	v_add3_u32 v6, v24, v6, s11
	v_cmp_o_f32_e32 vcc, v24, v24
	v_mov_b32_e32 v7, 0x7fc0
	s_nop 0
	v_cndmask_b32_sdwa v24, v7, v6, vcc dst_sel:DWORD dst_unused:UNUSED_PAD src0_sel:DWORD src1_sel:WORD_1
	v_add_u32_e32 v6, v5, v4
	v_mov_b32_e32 v7, 0
	s_waitcnt lgkmcnt(0)
	v_lshl_add_u64 v[6:7], v[6:7], 1, s[12:13]
	global_store_short v[6:7], v24, off
.LBB166_30:
	s_or_b64 exec, exec, s[8:9]
	v_add3_u32 v5, v1, s15, 24
	v_cmp_gt_u32_e32 vcc, s10, v5
	s_and_b64 exec, exec, vcc
	s_cbranch_execz .LBB166_60
; %bb.31:
	v_mul_lo_u32 v5, v5, s14
	s_and_saveexec_b64 s[8:9], s[0:1]
	s_cbranch_execnz .LBB166_67
; %bb.32:
	s_or_b64 exec, exec, s[8:9]
	s_and_saveexec_b64 s[8:9], s[2:3]
	s_cbranch_execnz .LBB166_68
.LBB166_33:
	s_or_b64 exec, exec, s[8:9]
	s_and_saveexec_b64 s[8:9], s[4:5]
	s_cbranch_execnz .LBB166_69
.LBB166_34:
	s_or_b64 exec, exec, s[8:9]
	s_and_saveexec_b64 s[8:9], s[6:7]
	s_cbranch_execz .LBB166_36
.LBB166_35:
	v_bfe_u32 v6, v25, 16, 1
	s_movk_i32 s11, 0x7fff
	v_add3_u32 v6, v25, v6, s11
	v_cmp_o_f32_e32 vcc, v25, v25
	v_mov_b32_e32 v7, 0x7fc0
	s_nop 0
	v_cndmask_b32_sdwa v24, v7, v6, vcc dst_sel:DWORD dst_unused:UNUSED_PAD src0_sel:DWORD src1_sel:WORD_1
	v_add_u32_e32 v6, v5, v4
	v_mov_b32_e32 v7, 0
	s_waitcnt lgkmcnt(0)
	v_lshl_add_u64 v[6:7], v[6:7], 1, s[12:13]
	global_store_short v[6:7], v24, off
.LBB166_36:
	s_or_b64 exec, exec, s[8:9]
	v_add3_u32 v5, v1, s15, 32
	v_cmp_gt_u32_e32 vcc, s10, v5
	s_and_b64 exec, exec, vcc
	s_cbranch_execz .LBB166_60
; %bb.37:
	v_mul_lo_u32 v5, v5, s14
	s_and_saveexec_b64 s[8:9], s[0:1]
	s_cbranch_execnz .LBB166_70
; %bb.38:
	s_or_b64 exec, exec, s[8:9]
	s_and_saveexec_b64 s[8:9], s[2:3]
	s_cbranch_execnz .LBB166_71
.LBB166_39:
	s_or_b64 exec, exec, s[8:9]
	s_and_saveexec_b64 s[8:9], s[4:5]
	s_cbranch_execnz .LBB166_72
.LBB166_40:
	s_or_b64 exec, exec, s[8:9]
	s_and_saveexec_b64 s[8:9], s[6:7]
	s_cbranch_execz .LBB166_42
.LBB166_41:
	v_bfe_u32 v6, v16, 16, 1
	s_movk_i32 s11, 0x7fff
	v_add3_u32 v6, v16, v6, s11
	v_cmp_o_f32_e32 vcc, v16, v16
	v_mov_b32_e32 v7, 0x7fc0
	s_nop 0
	v_cndmask_b32_sdwa v16, v7, v6, vcc dst_sel:DWORD dst_unused:UNUSED_PAD src0_sel:DWORD src1_sel:WORD_1
	v_add_u32_e32 v6, v5, v4
	v_mov_b32_e32 v7, 0
	s_waitcnt lgkmcnt(0)
	v_lshl_add_u64 v[6:7], v[6:7], 1, s[12:13]
	global_store_short v[6:7], v16, off
.LBB166_42:
	s_or_b64 exec, exec, s[8:9]
	v_add3_u32 v5, v1, s15, 40
	v_cmp_gt_u32_e32 vcc, s10, v5
	s_and_b64 exec, exec, vcc
	s_cbranch_execz .LBB166_60
; %bb.43:
	v_mul_lo_u32 v5, v5, s14
	s_and_saveexec_b64 s[8:9], s[0:1]
	s_cbranch_execnz .LBB166_73
; %bb.44:
	s_or_b64 exec, exec, s[8:9]
	s_and_saveexec_b64 s[8:9], s[2:3]
	s_cbranch_execnz .LBB166_74
.LBB166_45:
	s_or_b64 exec, exec, s[8:9]
	s_and_saveexec_b64 s[8:9], s[4:5]
	s_cbranch_execnz .LBB166_75
.LBB166_46:
	s_or_b64 exec, exec, s[8:9]
	s_and_saveexec_b64 s[8:9], s[6:7]
	s_cbranch_execz .LBB166_48
.LBB166_47:
	v_bfe_u32 v6, v17, 16, 1
	s_movk_i32 s11, 0x7fff
	v_add3_u32 v6, v17, v6, s11
	v_cmp_o_f32_e32 vcc, v17, v17
	v_mov_b32_e32 v7, 0x7fc0
	s_nop 0
	v_cndmask_b32_sdwa v16, v7, v6, vcc dst_sel:DWORD dst_unused:UNUSED_PAD src0_sel:DWORD src1_sel:WORD_1
	v_add_u32_e32 v6, v5, v4
	v_mov_b32_e32 v7, 0
	s_waitcnt lgkmcnt(0)
	v_lshl_add_u64 v[6:7], v[6:7], 1, s[12:13]
	global_store_short v[6:7], v16, off
.LBB166_48:
	s_or_b64 exec, exec, s[8:9]
	v_add3_u32 v5, v1, s15, 48
	v_cmp_gt_u32_e32 vcc, s10, v5
	s_and_b64 exec, exec, vcc
	s_cbranch_execz .LBB166_60
; %bb.49:
	v_mul_lo_u32 v5, v5, s14
	s_and_saveexec_b64 s[8:9], s[0:1]
	s_cbranch_execnz .LBB166_76
; %bb.50:
	s_or_b64 exec, exec, s[8:9]
	s_and_saveexec_b64 s[8:9], s[2:3]
	s_cbranch_execnz .LBB166_77
.LBB166_51:
	s_or_b64 exec, exec, s[8:9]
	s_and_saveexec_b64 s[8:9], s[4:5]
	s_cbranch_execnz .LBB166_78
.LBB166_52:
	s_or_b64 exec, exec, s[8:9]
	s_and_saveexec_b64 s[8:9], s[6:7]
	s_cbranch_execz .LBB166_54
.LBB166_53:
	v_bfe_u32 v6, v8, 16, 1
	s_movk_i32 s11, 0x7fff
	v_add3_u32 v6, v8, v6, s11
	v_cmp_o_f32_e32 vcc, v8, v8
	v_mov_b32_e32 v7, 0x7fc0
	s_nop 0
	v_cndmask_b32_sdwa v8, v7, v6, vcc dst_sel:DWORD dst_unused:UNUSED_PAD src0_sel:DWORD src1_sel:WORD_1
	v_add_u32_e32 v6, v5, v4
	v_mov_b32_e32 v7, 0
	s_waitcnt lgkmcnt(0)
	v_lshl_add_u64 v[6:7], v[6:7], 1, s[12:13]
	global_store_short v[6:7], v8, off
.LBB166_54:
	s_or_b64 exec, exec, s[8:9]
	v_add3_u32 v1, v1, s15, 56
	v_cmp_gt_u32_e32 vcc, s10, v1
	s_and_b64 exec, exec, vcc
	s_cbranch_execz .LBB166_60
; %bb.55:
	v_mul_lo_u32 v1, v1, s14
	s_and_saveexec_b64 s[8:9], s[0:1]
	s_cbranch_execnz .LBB166_79
; %bb.56:
	s_or_b64 exec, exec, s[8:9]
	s_and_saveexec_b64 s[0:1], s[2:3]
	s_cbranch_execnz .LBB166_80
.LBB166_57:
	s_or_b64 exec, exec, s[0:1]
	s_and_saveexec_b64 s[0:1], s[4:5]
	s_cbranch_execnz .LBB166_81
.LBB166_58:
	s_or_b64 exec, exec, s[0:1]
	s_and_b64 exec, exec, s[6:7]
	s_cbranch_execz .LBB166_60
.LBB166_59:
	v_bfe_u32 v0, v9, 16, 1
	s_movk_i32 s0, 0x7fff
	v_add3_u32 v0, v9, v0, s0
	v_cmp_o_f32_e32 vcc, v9, v9
	v_mov_b32_e32 v2, 0x7fc0
	s_nop 0
	v_cndmask_b32_sdwa v2, v2, v0, vcc dst_sel:DWORD dst_unused:UNUSED_PAD src0_sel:DWORD src1_sel:WORD_1
	v_add_u32_e32 v0, v1, v4
	v_mov_b32_e32 v1, 0
	s_waitcnt lgkmcnt(0)
	v_lshl_add_u64 v[0:1], v[0:1], 1, s[12:13]
	global_store_short v[0:1], v2, off
.LBB166_60:
	s_endpgm
.LBB166_61:
	v_bfe_u32 v6, v39, 16, 1
	s_movk_i32 s11, 0x7fff
	v_add3_u32 v6, v39, v6, s11
	v_cmp_o_f32_e32 vcc, v39, v39
	v_mov_b32_e32 v7, 0x7fc0
	s_nop 0
	v_cndmask_b32_sdwa v32, v7, v6, vcc dst_sel:DWORD dst_unused:UNUSED_PAD src0_sel:DWORD src1_sel:WORD_1
	v_add_u32_e32 v6, v5, v0
	v_mov_b32_e32 v7, 0
	s_waitcnt lgkmcnt(0)
	v_lshl_add_u64 v[6:7], v[6:7], 1, s[12:13]
	global_store_short v[6:7], v32, off
	s_or_b64 exec, exec, s[8:9]
	s_and_saveexec_b64 s[8:9], s[2:3]
	s_cbranch_execz .LBB166_21
.LBB166_62:
	v_bfe_u32 v6, v37, 16, 1
	s_movk_i32 s11, 0x7fff
	v_add3_u32 v6, v37, v6, s11
	v_cmp_o_f32_e32 vcc, v37, v37
	v_mov_b32_e32 v7, 0x7fc0
	s_nop 0
	v_cndmask_b32_sdwa v32, v7, v6, vcc dst_sel:DWORD dst_unused:UNUSED_PAD src0_sel:DWORD src1_sel:WORD_1
	v_add_u32_e32 v6, v5, v2
	v_mov_b32_e32 v7, 0
	s_waitcnt lgkmcnt(0)
	v_lshl_add_u64 v[6:7], v[6:7], 1, s[12:13]
	global_store_short v[6:7], v32, off
	s_or_b64 exec, exec, s[8:9]
	s_and_saveexec_b64 s[8:9], s[4:5]
	s_cbranch_execz .LBB166_22
.LBB166_63:
	v_bfe_u32 v6, v35, 16, 1
	s_movk_i32 s11, 0x7fff
	v_add3_u32 v6, v35, v6, s11
	v_cmp_o_f32_e32 vcc, v35, v35
	v_mov_b32_e32 v7, 0x7fc0
	s_nop 0
	v_cndmask_b32_sdwa v32, v7, v6, vcc dst_sel:DWORD dst_unused:UNUSED_PAD src0_sel:DWORD src1_sel:WORD_1
	v_add_u32_e32 v6, v5, v3
	v_mov_b32_e32 v7, 0
	s_waitcnt lgkmcnt(0)
	v_lshl_add_u64 v[6:7], v[6:7], 1, s[12:13]
	global_store_short v[6:7], v32, off
	s_or_b64 exec, exec, s[8:9]
	s_and_saveexec_b64 s[8:9], s[6:7]
	s_cbranch_execnz .LBB166_23
	s_branch .LBB166_24
.LBB166_64:
	v_bfe_u32 v6, v30, 16, 1
	s_movk_i32 s11, 0x7fff
	v_add3_u32 v6, v30, v6, s11
	v_cmp_o_f32_e32 vcc, v30, v30
	v_mov_b32_e32 v7, 0x7fc0
	s_nop 0
	v_cndmask_b32_sdwa v30, v7, v6, vcc dst_sel:DWORD dst_unused:UNUSED_PAD src0_sel:DWORD src1_sel:WORD_1
	v_add_u32_e32 v6, v5, v0
	v_mov_b32_e32 v7, 0
	s_waitcnt lgkmcnt(0)
	v_lshl_add_u64 v[6:7], v[6:7], 1, s[12:13]
	global_store_short v[6:7], v30, off
	s_or_b64 exec, exec, s[8:9]
	s_and_saveexec_b64 s[8:9], s[2:3]
	s_cbranch_execz .LBB166_27
.LBB166_65:
	v_bfe_u32 v6, v28, 16, 1
	s_movk_i32 s11, 0x7fff
	v_add3_u32 v6, v28, v6, s11
	v_cmp_o_f32_e32 vcc, v28, v28
	v_mov_b32_e32 v7, 0x7fc0
	s_nop 0
	v_cndmask_b32_sdwa v28, v7, v6, vcc dst_sel:DWORD dst_unused:UNUSED_PAD src0_sel:DWORD src1_sel:WORD_1
	v_add_u32_e32 v6, v5, v2
	v_mov_b32_e32 v7, 0
	s_waitcnt lgkmcnt(0)
	v_lshl_add_u64 v[6:7], v[6:7], 1, s[12:13]
	global_store_short v[6:7], v28, off
	s_or_b64 exec, exec, s[8:9]
	s_and_saveexec_b64 s[8:9], s[4:5]
	s_cbranch_execz .LBB166_28
.LBB166_66:
	v_bfe_u32 v6, v26, 16, 1
	s_movk_i32 s11, 0x7fff
	v_add3_u32 v6, v26, v6, s11
	v_cmp_o_f32_e32 vcc, v26, v26
	v_mov_b32_e32 v7, 0x7fc0
	s_nop 0
	v_cndmask_b32_sdwa v26, v7, v6, vcc dst_sel:DWORD dst_unused:UNUSED_PAD src0_sel:DWORD src1_sel:WORD_1
	v_add_u32_e32 v6, v5, v3
	v_mov_b32_e32 v7, 0
	s_waitcnt lgkmcnt(0)
	v_lshl_add_u64 v[6:7], v[6:7], 1, s[12:13]
	global_store_short v[6:7], v26, off
	s_or_b64 exec, exec, s[8:9]
	s_and_saveexec_b64 s[8:9], s[6:7]
	s_cbranch_execnz .LBB166_29
	s_branch .LBB166_30
.LBB166_67:
	v_bfe_u32 v6, v31, 16, 1
	s_movk_i32 s11, 0x7fff
	v_add3_u32 v6, v31, v6, s11
	v_cmp_o_f32_e32 vcc, v31, v31
	v_mov_b32_e32 v7, 0x7fc0
	s_nop 0
	v_cndmask_b32_sdwa v24, v7, v6, vcc dst_sel:DWORD dst_unused:UNUSED_PAD src0_sel:DWORD src1_sel:WORD_1
	v_add_u32_e32 v6, v5, v0
	v_mov_b32_e32 v7, 0
	s_waitcnt lgkmcnt(0)
	v_lshl_add_u64 v[6:7], v[6:7], 1, s[12:13]
	global_store_short v[6:7], v24, off
	s_or_b64 exec, exec, s[8:9]
	s_and_saveexec_b64 s[8:9], s[2:3]
	s_cbranch_execz .LBB166_33
.LBB166_68:
	v_bfe_u32 v6, v29, 16, 1
	s_movk_i32 s11, 0x7fff
	v_add3_u32 v6, v29, v6, s11
	v_cmp_o_f32_e32 vcc, v29, v29
	v_mov_b32_e32 v7, 0x7fc0
	s_nop 0
	v_cndmask_b32_sdwa v24, v7, v6, vcc dst_sel:DWORD dst_unused:UNUSED_PAD src0_sel:DWORD src1_sel:WORD_1
	v_add_u32_e32 v6, v5, v2
	v_mov_b32_e32 v7, 0
	s_waitcnt lgkmcnt(0)
	v_lshl_add_u64 v[6:7], v[6:7], 1, s[12:13]
	global_store_short v[6:7], v24, off
	s_or_b64 exec, exec, s[8:9]
	s_and_saveexec_b64 s[8:9], s[4:5]
	s_cbranch_execz .LBB166_34
.LBB166_69:
	v_bfe_u32 v6, v27, 16, 1
	s_movk_i32 s11, 0x7fff
	v_add3_u32 v6, v27, v6, s11
	v_cmp_o_f32_e32 vcc, v27, v27
	v_mov_b32_e32 v7, 0x7fc0
	s_nop 0
	v_cndmask_b32_sdwa v24, v7, v6, vcc dst_sel:DWORD dst_unused:UNUSED_PAD src0_sel:DWORD src1_sel:WORD_1
	v_add_u32_e32 v6, v5, v3
	v_mov_b32_e32 v7, 0
	s_waitcnt lgkmcnt(0)
	v_lshl_add_u64 v[6:7], v[6:7], 1, s[12:13]
	global_store_short v[6:7], v24, off
	s_or_b64 exec, exec, s[8:9]
	s_and_saveexec_b64 s[8:9], s[6:7]
	s_cbranch_execnz .LBB166_35
	s_branch .LBB166_36
.LBB166_70:
	v_bfe_u32 v6, v22, 16, 1
	s_movk_i32 s11, 0x7fff
	v_add3_u32 v6, v22, v6, s11
	v_cmp_o_f32_e32 vcc, v22, v22
	v_mov_b32_e32 v7, 0x7fc0
	s_nop 0
	v_cndmask_b32_sdwa v22, v7, v6, vcc dst_sel:DWORD dst_unused:UNUSED_PAD src0_sel:DWORD src1_sel:WORD_1
	v_add_u32_e32 v6, v5, v0
	v_mov_b32_e32 v7, 0
	s_waitcnt lgkmcnt(0)
	v_lshl_add_u64 v[6:7], v[6:7], 1, s[12:13]
	global_store_short v[6:7], v22, off
	s_or_b64 exec, exec, s[8:9]
	s_and_saveexec_b64 s[8:9], s[2:3]
	s_cbranch_execz .LBB166_39
.LBB166_71:
	v_bfe_u32 v6, v20, 16, 1
	s_movk_i32 s11, 0x7fff
	v_add3_u32 v6, v20, v6, s11
	v_cmp_o_f32_e32 vcc, v20, v20
	v_mov_b32_e32 v7, 0x7fc0
	s_nop 0
	v_cndmask_b32_sdwa v20, v7, v6, vcc dst_sel:DWORD dst_unused:UNUSED_PAD src0_sel:DWORD src1_sel:WORD_1
	v_add_u32_e32 v6, v5, v2
	v_mov_b32_e32 v7, 0
	s_waitcnt lgkmcnt(0)
	v_lshl_add_u64 v[6:7], v[6:7], 1, s[12:13]
	global_store_short v[6:7], v20, off
	s_or_b64 exec, exec, s[8:9]
	s_and_saveexec_b64 s[8:9], s[4:5]
	s_cbranch_execz .LBB166_40
.LBB166_72:
	v_bfe_u32 v6, v18, 16, 1
	s_movk_i32 s11, 0x7fff
	v_add3_u32 v6, v18, v6, s11
	v_cmp_o_f32_e32 vcc, v18, v18
	v_mov_b32_e32 v7, 0x7fc0
	s_nop 0
	v_cndmask_b32_sdwa v18, v7, v6, vcc dst_sel:DWORD dst_unused:UNUSED_PAD src0_sel:DWORD src1_sel:WORD_1
	v_add_u32_e32 v6, v5, v3
	v_mov_b32_e32 v7, 0
	s_waitcnt lgkmcnt(0)
	v_lshl_add_u64 v[6:7], v[6:7], 1, s[12:13]
	global_store_short v[6:7], v18, off
	s_or_b64 exec, exec, s[8:9]
	s_and_saveexec_b64 s[8:9], s[6:7]
	s_cbranch_execnz .LBB166_41
	s_branch .LBB166_42
.LBB166_73:
	v_bfe_u32 v6, v23, 16, 1
	s_movk_i32 s11, 0x7fff
	v_add3_u32 v6, v23, v6, s11
	v_cmp_o_f32_e32 vcc, v23, v23
	v_mov_b32_e32 v7, 0x7fc0
	s_nop 0
	v_cndmask_b32_sdwa v16, v7, v6, vcc dst_sel:DWORD dst_unused:UNUSED_PAD src0_sel:DWORD src1_sel:WORD_1
	v_add_u32_e32 v6, v5, v0
	v_mov_b32_e32 v7, 0
	s_waitcnt lgkmcnt(0)
	v_lshl_add_u64 v[6:7], v[6:7], 1, s[12:13]
	global_store_short v[6:7], v16, off
	s_or_b64 exec, exec, s[8:9]
	s_and_saveexec_b64 s[8:9], s[2:3]
	s_cbranch_execz .LBB166_45
.LBB166_74:
	v_bfe_u32 v6, v21, 16, 1
	s_movk_i32 s11, 0x7fff
	v_add3_u32 v6, v21, v6, s11
	v_cmp_o_f32_e32 vcc, v21, v21
	v_mov_b32_e32 v7, 0x7fc0
	s_nop 0
	v_cndmask_b32_sdwa v16, v7, v6, vcc dst_sel:DWORD dst_unused:UNUSED_PAD src0_sel:DWORD src1_sel:WORD_1
	v_add_u32_e32 v6, v5, v2
	v_mov_b32_e32 v7, 0
	s_waitcnt lgkmcnt(0)
	v_lshl_add_u64 v[6:7], v[6:7], 1, s[12:13]
	global_store_short v[6:7], v16, off
	s_or_b64 exec, exec, s[8:9]
	s_and_saveexec_b64 s[8:9], s[4:5]
	s_cbranch_execz .LBB166_46
.LBB166_75:
	v_bfe_u32 v6, v19, 16, 1
	s_movk_i32 s11, 0x7fff
	v_add3_u32 v6, v19, v6, s11
	v_cmp_o_f32_e32 vcc, v19, v19
	v_mov_b32_e32 v7, 0x7fc0
	s_nop 0
	v_cndmask_b32_sdwa v16, v7, v6, vcc dst_sel:DWORD dst_unused:UNUSED_PAD src0_sel:DWORD src1_sel:WORD_1
	v_add_u32_e32 v6, v5, v3
	v_mov_b32_e32 v7, 0
	s_waitcnt lgkmcnt(0)
	v_lshl_add_u64 v[6:7], v[6:7], 1, s[12:13]
	global_store_short v[6:7], v16, off
	s_or_b64 exec, exec, s[8:9]
	s_and_saveexec_b64 s[8:9], s[6:7]
	s_cbranch_execnz .LBB166_47
	s_branch .LBB166_48
.LBB166_76:
	v_bfe_u32 v6, v14, 16, 1
	s_movk_i32 s11, 0x7fff
	v_add3_u32 v6, v14, v6, s11
	v_cmp_o_f32_e32 vcc, v14, v14
	v_mov_b32_e32 v7, 0x7fc0
	s_nop 0
	v_cndmask_b32_sdwa v14, v7, v6, vcc dst_sel:DWORD dst_unused:UNUSED_PAD src0_sel:DWORD src1_sel:WORD_1
	v_add_u32_e32 v6, v5, v0
	v_mov_b32_e32 v7, 0
	s_waitcnt lgkmcnt(0)
	v_lshl_add_u64 v[6:7], v[6:7], 1, s[12:13]
	global_store_short v[6:7], v14, off
	s_or_b64 exec, exec, s[8:9]
	s_and_saveexec_b64 s[8:9], s[2:3]
	s_cbranch_execz .LBB166_51
.LBB166_77:
	v_bfe_u32 v6, v12, 16, 1
	s_movk_i32 s11, 0x7fff
	v_add3_u32 v6, v12, v6, s11
	v_cmp_o_f32_e32 vcc, v12, v12
	v_mov_b32_e32 v7, 0x7fc0
	s_nop 0
	v_cndmask_b32_sdwa v12, v7, v6, vcc dst_sel:DWORD dst_unused:UNUSED_PAD src0_sel:DWORD src1_sel:WORD_1
	v_add_u32_e32 v6, v5, v2
	v_mov_b32_e32 v7, 0
	s_waitcnt lgkmcnt(0)
	v_lshl_add_u64 v[6:7], v[6:7], 1, s[12:13]
	global_store_short v[6:7], v12, off
	s_or_b64 exec, exec, s[8:9]
	s_and_saveexec_b64 s[8:9], s[4:5]
	s_cbranch_execz .LBB166_52
.LBB166_78:
	v_bfe_u32 v6, v10, 16, 1
	s_movk_i32 s11, 0x7fff
	v_add3_u32 v6, v10, v6, s11
	v_cmp_o_f32_e32 vcc, v10, v10
	v_mov_b32_e32 v7, 0x7fc0
	s_nop 0
	v_cndmask_b32_sdwa v10, v7, v6, vcc dst_sel:DWORD dst_unused:UNUSED_PAD src0_sel:DWORD src1_sel:WORD_1
	v_add_u32_e32 v6, v5, v3
	v_mov_b32_e32 v7, 0
	s_waitcnt lgkmcnt(0)
	v_lshl_add_u64 v[6:7], v[6:7], 1, s[12:13]
	global_store_short v[6:7], v10, off
	s_or_b64 exec, exec, s[8:9]
	s_and_saveexec_b64 s[8:9], s[6:7]
	s_cbranch_execnz .LBB166_53
	s_branch .LBB166_54
.LBB166_79:
	v_bfe_u32 v5, v15, 16, 1
	s_movk_i32 s0, 0x7fff
	v_add3_u32 v5, v15, v5, s0
	v_cmp_o_f32_e32 vcc, v15, v15
	v_mov_b32_e32 v6, 0x7fc0
	v_mov_b32_e32 v7, 0
	v_cndmask_b32_sdwa v5, v6, v5, vcc dst_sel:DWORD dst_unused:UNUSED_PAD src0_sel:DWORD src1_sel:WORD_1
	v_add_u32_e32 v6, v1, v0
	s_waitcnt lgkmcnt(0)
	v_lshl_add_u64 v[6:7], v[6:7], 1, s[12:13]
	global_store_short v[6:7], v5, off
	s_or_b64 exec, exec, s[8:9]
	s_and_saveexec_b64 s[0:1], s[2:3]
	s_cbranch_execz .LBB166_57
.LBB166_80:
	v_bfe_u32 v0, v13, 16, 1
	s_movk_i32 s2, 0x7fff
	v_add3_u32 v0, v13, v0, s2
	v_cmp_o_f32_e32 vcc, v13, v13
	v_mov_b32_e32 v5, 0x7fc0
	v_add_u32_e32 v6, v1, v2
	v_mov_b32_e32 v7, 0
	v_cndmask_b32_sdwa v0, v5, v0, vcc dst_sel:DWORD dst_unused:UNUSED_PAD src0_sel:DWORD src1_sel:WORD_1
	s_waitcnt lgkmcnt(0)
	v_lshl_add_u64 v[6:7], v[6:7], 1, s[12:13]
	global_store_short v[6:7], v0, off
	s_or_b64 exec, exec, s[0:1]
	s_and_saveexec_b64 s[0:1], s[4:5]
	s_cbranch_execz .LBB166_58
.LBB166_81:
	v_bfe_u32 v0, v11, 16, 1
	s_movk_i32 s2, 0x7fff
	v_add3_u32 v0, v11, v0, s2
	v_cmp_o_f32_e32 vcc, v11, v11
	v_mov_b32_e32 v2, 0x7fc0
	s_nop 0
	v_cndmask_b32_sdwa v0, v2, v0, vcc dst_sel:DWORD dst_unused:UNUSED_PAD src0_sel:DWORD src1_sel:WORD_1
	v_add_u32_e32 v2, v1, v3
	v_mov_b32_e32 v3, 0
	s_waitcnt lgkmcnt(0)
	v_lshl_add_u64 v[2:3], v[2:3], 1, s[12:13]
	global_store_short v[2:3], v0, off
	s_or_b64 exec, exec, s[0:1]
	s_and_b64 exec, exec, s[6:7]
	s_cbranch_execnz .LBB166_59
	s_branch .LBB166_60
	.section	.rodata,"a",@progbits
	.p2align	6, 0x0
	.amdhsa_kernel _ZL12mul_mat_q8_0IN3c108BFloat16ELb1EEvPKvS3_PT_iiiii
		.amdhsa_group_segment_fixed_size 28224
		.amdhsa_private_segment_fixed_size 0
		.amdhsa_kernarg_size 44
		.amdhsa_user_sgpr_count 2
		.amdhsa_user_sgpr_dispatch_ptr 0
		.amdhsa_user_sgpr_queue_ptr 0
		.amdhsa_user_sgpr_kernarg_segment_ptr 1
		.amdhsa_user_sgpr_dispatch_id 0
		.amdhsa_user_sgpr_kernarg_preload_length 0
		.amdhsa_user_sgpr_kernarg_preload_offset 0
		.amdhsa_user_sgpr_private_segment_size 0
		.amdhsa_uses_dynamic_stack 0
		.amdhsa_enable_private_segment 0
		.amdhsa_system_sgpr_workgroup_id_x 1
		.amdhsa_system_sgpr_workgroup_id_y 1
		.amdhsa_system_sgpr_workgroup_id_z 0
		.amdhsa_system_sgpr_workgroup_info 0
		.amdhsa_system_vgpr_workitem_id 1
		.amdhsa_next_free_vgpr 164
		.amdhsa_next_free_sgpr 96
		.amdhsa_accum_offset 164
		.amdhsa_reserve_vcc 1
		.amdhsa_float_round_mode_32 0
		.amdhsa_float_round_mode_16_64 0
		.amdhsa_float_denorm_mode_32 3
		.amdhsa_float_denorm_mode_16_64 3
		.amdhsa_dx10_clamp 1
		.amdhsa_ieee_mode 1
		.amdhsa_fp16_overflow 0
		.amdhsa_tg_split 0
		.amdhsa_exception_fp_ieee_invalid_op 0
		.amdhsa_exception_fp_denorm_src 0
		.amdhsa_exception_fp_ieee_div_zero 0
		.amdhsa_exception_fp_ieee_overflow 0
		.amdhsa_exception_fp_ieee_underflow 0
		.amdhsa_exception_fp_ieee_inexact 0
		.amdhsa_exception_int_div_zero 0
	.end_amdhsa_kernel
	.section	.text._ZL12mul_mat_q8_0IN3c108BFloat16ELb1EEvPKvS3_PT_iiiii,"axG",@progbits,_ZL12mul_mat_q8_0IN3c108BFloat16ELb1EEvPKvS3_PT_iiiii,comdat
.Lfunc_end166:
	.size	_ZL12mul_mat_q8_0IN3c108BFloat16ELb1EEvPKvS3_PT_iiiii, .Lfunc_end166-_ZL12mul_mat_q8_0IN3c108BFloat16ELb1EEvPKvS3_PT_iiiii
                                        ; -- End function
	.set _ZL12mul_mat_q8_0IN3c108BFloat16ELb1EEvPKvS3_PT_iiiii.num_vgpr, 164
	.set _ZL12mul_mat_q8_0IN3c108BFloat16ELb1EEvPKvS3_PT_iiiii.num_agpr, 0
	.set _ZL12mul_mat_q8_0IN3c108BFloat16ELb1EEvPKvS3_PT_iiiii.numbered_sgpr, 18
	.set _ZL12mul_mat_q8_0IN3c108BFloat16ELb1EEvPKvS3_PT_iiiii.num_named_barrier, 0
	.set _ZL12mul_mat_q8_0IN3c108BFloat16ELb1EEvPKvS3_PT_iiiii.private_seg_size, 0
	.set _ZL12mul_mat_q8_0IN3c108BFloat16ELb1EEvPKvS3_PT_iiiii.uses_vcc, 1
	.set _ZL12mul_mat_q8_0IN3c108BFloat16ELb1EEvPKvS3_PT_iiiii.uses_flat_scratch, 0
	.set _ZL12mul_mat_q8_0IN3c108BFloat16ELb1EEvPKvS3_PT_iiiii.has_dyn_sized_stack, 0
	.set _ZL12mul_mat_q8_0IN3c108BFloat16ELb1EEvPKvS3_PT_iiiii.has_recursion, 0
	.set _ZL12mul_mat_q8_0IN3c108BFloat16ELb1EEvPKvS3_PT_iiiii.has_indirect_call, 0
	.section	.AMDGPU.csdata,"",@progbits
; Kernel info:
; codeLenInByte = 7764
; TotalNumSgprs: 24
; NumVgprs: 164
; NumAgprs: 0
; TotalNumVgprs: 164
; ScratchSize: 0
; MemoryBound: 0
; FloatMode: 240
; IeeeMode: 1
; LDSByteSize: 28224 bytes/workgroup (compile time only)
; SGPRBlocks: 12
; VGPRBlocks: 20
; NumSGPRsForWavesPerEU: 102
; NumVGPRsForWavesPerEU: 164
; AccumOffset: 164
; Occupancy: 3
; WaveLimiterHint : 0
; COMPUTE_PGM_RSRC2:SCRATCH_EN: 0
; COMPUTE_PGM_RSRC2:USER_SGPR: 2
; COMPUTE_PGM_RSRC2:TRAP_HANDLER: 0
; COMPUTE_PGM_RSRC2:TGID_X_EN: 1
; COMPUTE_PGM_RSRC2:TGID_Y_EN: 1
; COMPUTE_PGM_RSRC2:TGID_Z_EN: 0
; COMPUTE_PGM_RSRC2:TIDIG_COMP_CNT: 1
; COMPUTE_PGM_RSRC3_GFX90A:ACCUM_OFFSET: 40
; COMPUTE_PGM_RSRC3_GFX90A:TG_SPLIT: 0
	.section	.text._ZL12mul_mat_q2_KIN3c108BFloat16ELb0EEvPKvS3_PT_iiiii,"axG",@progbits,_ZL12mul_mat_q2_KIN3c108BFloat16ELb0EEvPKvS3_PT_iiiii,comdat
	.globl	_ZL12mul_mat_q2_KIN3c108BFloat16ELb0EEvPKvS3_PT_iiiii ; -- Begin function _ZL12mul_mat_q2_KIN3c108BFloat16ELb0EEvPKvS3_PT_iiiii
	.p2align	8
	.type	_ZL12mul_mat_q2_KIN3c108BFloat16ELb0EEvPKvS3_PT_iiiii,@function
_ZL12mul_mat_q2_KIN3c108BFloat16ELb0EEvPKvS3_PT_iiiii: ; @_ZL12mul_mat_q2_KIN3c108BFloat16ELb0EEvPKvS3_PT_iiiii
; %bb.0:
	s_load_dword s7, s[0:1], 0x18
	s_load_dwordx4 s[8:11], s[0:1], 0x20
	s_waitcnt lgkmcnt(0)
	s_lshl_b32 s11, s3, 6
	v_bfe_u32 v45, v0, 10, 10
	s_cmpk_gt_i32 s7, 0xff
	s_cbranch_scc1 .LBB167_2
; %bb.1:
	v_bfe_u32 v1, v0, 10, 10
	v_and_b32_e32 v41, 0x3ff, v0
	v_add_u32_e32 v49, s11, v1
	s_mov_b64 s[4:5], 0
	s_branch .LBB167_3
.LBB167_2:
	s_mov_b64 s[4:5], -1
                                        ; implicit-def: $vgpr1
                                        ; implicit-def: $vgpr41
                                        ; implicit-def: $vgpr49
.LBB167_3:
	s_load_dwordx2 s[12:13], s[0:1], 0x10
	s_lshl_b32 s6, s2, 7
	s_andn2_b64 vcc, exec, s[4:5]
	s_mov_b32 s4, 0
	s_cbranch_vccnz .LBB167_16
; %bb.4:
	s_ashr_i32 s5, s7, 31
	s_lshr_b32 s5, s5, 24
	s_load_dwordx4 s[0:3], s[0:1], 0x0
	s_add_i32 s7, s7, s5
	s_ashr_i32 s5, s7, 8
	s_ashr_i32 s7, s9, 31
	s_lshr_b32 s7, s7, 27
	s_add_i32 s7, s9, s7
	s_mul_i32 s14, s5, s6
	s_ashr_i32 s9, s7, 5
	s_mul_hi_i32 s15, s14, 0x54
	s_mulk_i32 s14, 0x54
	v_and_b32_e32 v41, 0x3ff, v0
	s_waitcnt lgkmcnt(0)
	s_add_u32 s0, s0, s14
	v_lshlrev_b32_e32 v1, 2, v41
	s_movk_i32 s14, 0x84
	s_addc_u32 s1, s1, s15
	v_mad_u32_u24 v47, v45, s14, v1
	s_lshl_b32 s14, s5, 3
	v_mov_b32_e32 v2, s14
	v_mad_i32_i24 v46, s5, v45, v2
	v_lshlrev_b32_e32 v8, 4, v45
	v_bfe_u32 v2, v0, 1, 9
	v_and_b32_e32 v54, 1, v0
	v_add_u32_e32 v2, v2, v8
	v_and_b32_e32 v3, 0x7f, v2
	v_lshlrev_b32_e32 v4, 2, v54
	v_lshrrev_b32_e32 v2, 2, v2
	v_mul_i32_i24_e32 v56, s5, v3
	v_lshl_or_b32 v3, v3, 3, v4
	v_and_b32_e32 v2, 28, v2
	s_movk_i32 s15, 0x7280
	v_bfe_u32 v97, v0, 3, 7
	v_add3_u32 v95, v3, v2, s15
	v_lshl_add_u32 v2, v45, 2, v97
	v_and_b32_e32 v9, 7, v0
	v_and_b32_e32 v3, 0x7fc, v2
	v_lshlrev_b32_e32 v4, 2, v9
	s_movk_i32 s15, 0x6200
	s_lshl_b32 s18, s5, 5
	v_add3_u32 v10, v3, v4, s15
	v_add_u32_e32 v3, 32, v2
	v_mov_b32_e32 v5, s18
	v_mul_i32_i24_e32 v62, s5, v2
	v_lshlrev_b32_e32 v11, 5, v2
	v_mad_i32_i24 v64, s5, v2, v5
	v_and_b32_e32 v5, 0xffc, v3
	v_lshlrev_b32_e32 v13, 5, v3
	v_add_u32_e32 v3, 64, v2
	v_add_u32_e32 v2, 0x60, v2
	v_add3_u32 v12, v5, v4, s15
	v_and_b32_e32 v5, 0xffc, v3
	v_lshlrev_b32_e32 v15, 5, v3
	v_and_b32_e32 v3, 0xffc, v2
	v_and_b32_e32 v42, 60, v1
	v_and_b32_e32 v60, 12, v1
	v_add3_u32 v14, v5, v4, s15
	v_add3_u32 v16, v3, v4, s15
	v_and_b32_e32 v6, 31, v0
	v_and_b32_e32 v4, 28, v1
	v_mov_b32_e32 v1, 0x4200
	v_lshl_or_b32 v1, v6, 2, v1
	v_bfe_u32 v6, v0, 2, 8
	v_lshl_add_u32 v6, v45, 3, v6
	v_and_b32_e32 v7, 63, v6
	s_add_i32 s15, s8, -1
	v_or_b32_e32 v18, s11, v7
	v_and_b32_e32 v6, 3, v0
	v_min_i32_e32 v18, s15, v18
	v_mad_u64_u32 v[68:69], s[16:17], v18, s9, v[6:7]
	v_lshlrev_b32_e32 v6, 2, v6
	v_add_u32_e32 v49, s11, v45
	v_lshl_or_b32 v6, v7, 4, v6
	v_lshlrev_b32_e32 v17, 5, v2
	v_cvt_f64_i32_e32 v[2:3], s15
	v_add_u32_e32 v69, 0x76a0, v6
	v_cvt_f64_u32_e32 v[6:7], v49
	v_min_f64 v[6:7], v[6:7], v[2:3]
	v_cvt_i32_f64_e32 v6, v[6:7]
	v_mul_lo_u32 v99, s9, v6
	v_add_u32_e32 v6, 8, v49
	v_cvt_f64_u32_e32 v[6:7], v6
	v_min_f64 v[6:7], v[6:7], v[2:3]
	v_cvt_i32_f64_e32 v6, v[6:7]
	v_mul_lo_u32 v101, s9, v6
	;; [unrolled: 5-line block ×5, first 2 shown]
	v_add_u32_e32 v6, 40, v49
	v_cvt_f64_u32_e32 v[6:7], v6
	v_min_f64 v[6:7], v[6:7], v[2:3]
	v_cvt_i32_f64_e32 v6, v[6:7]
	v_add_u32_e32 v48, s14, v46
	v_mul_lo_u32 v109, s9, v6
	v_add_u32_e32 v6, 48, v49
	v_cvt_f64_u32_e32 v[6:7], v6
	v_add_u32_e32 v72, s14, v48
	v_min_f64 v[6:7], v[6:7], v[2:3]
	v_add_u32_e32 v74, s14, v72
	v_cvt_i32_f64_e32 v6, v[6:7]
	v_add_u32_e32 v76, s14, v74
	v_mul_lo_u32 v111, s9, v6
	v_add_u32_e32 v6, 56, v49
	v_add_u32_e32 v78, s14, v76
	v_cvt_f64_u32_e32 v[6:7], v6
	v_add_u32_e32 v80, s14, v78
	v_min_f64 v[2:3], v[6:7], v[2:3]
	v_add_u32_e32 v82, s14, v80
	v_cvt_i32_f64_e32 v2, v[2:3]
	v_mul_u32_u24_e32 v3, 33, v41
	v_add_u32_e32 v84, s14, v82
	v_bfe_u32 v40, v0, 4, 6
	v_add_u32_e32 v7, 32, v41
	v_lshlrev_b32_e32 v126, 2, v3
	v_lshlrev_b32_e32 v3, 5, v41
	v_and_b32_e32 v0, 0xfc, v0
	v_add_u32_e32 v86, s14, v84
	v_add_u32_e32 v27, 64, v41
	;; [unrolled: 1-line block ×3, first 2 shown]
	v_and_b32_e32 v0, 0x1fc, v7
	v_add_u32_e32 v88, s14, v86
	v_add_u32_e32 v30, 0x60, v41
	;; [unrolled: 1-line block ×3, first 2 shown]
	v_and_b32_e32 v0, 0x1fc, v27
	v_add_u32_e32 v90, s14, v88
	v_mov_b32_e32 v43, 0
	v_lshlrev_b32_e32 v18, 7, v45
	v_add_u32_e32 v133, v3, v0
	v_and_b32_e32 v0, 0x1fc, v30
	v_add_u32_e32 v92, s14, v90
	v_mov_b32_e32 v5, v43
	v_add_u32_e32 v19, 0x400, v18
	v_add_u32_e32 v20, 0x800, v18
	;; [unrolled: 1-line block ×6, first 2 shown]
	v_mul_lo_u32 v117, s9, v2
	v_add_u32_e32 v2, 0x1c00, v18
	v_lshlrev_b32_e32 v6, 1, v41
	v_lshlrev_b32_e32 v25, 1, v7
	v_lshrrev_b32_e32 v26, 4, v7
	v_lshlrev_b32_e32 v28, 1, v27
	v_lshrrev_b32_e32 v29, 4, v27
	v_lshlrev_b32_e32 v31, 1, v30
	v_lshrrev_b32_e32 v32, 4, v30
	v_add_u32_e32 v135, v3, v0
	v_mov_b32_e32 v50, v43
	v_mov_b32_e32 v51, v43
	v_add_u32_e32 v94, s14, v92
	v_cmp_lt_u32_e32 vcc, 3, v9
	v_add_u32_e32 v100, s18, v64
	s_movk_i32 s7, 0x54
	v_mul_i32_i24_e32 v44, s5, v45
	v_add_u32_e32 v55, 0x420, v47
	v_add_u32_e32 v57, 0x840, v47
	v_add_u32_e32 v63, 0xc60, v47
	v_add_u32_e32 v65, 0x1080, v47
	v_add_u32_e32 v73, 0x14a0, v47
	v_add_u32_e32 v75, 0x18c0, v47
	v_add_u32_e32 v77, 0x1ce0, v47
	v_add_u32_e32 v79, 0x2100, v47
	v_add_u32_e32 v81, 0x2520, v47
	v_add_u32_e32 v83, 0x2940, v47
	v_add_u32_e32 v85, 0x2d60, v47
	v_add_u32_e32 v87, 0x3180, v47
	v_add_u32_e32 v89, 0x35a0, v47
	v_add_u32_e32 v91, 0x39c0, v47
	v_add_u32_e32 v93, 0x3de0, v47
	v_mov_b32_e32 v61, v43
	v_lshrrev_b32_e32 v119, 3, v7
	v_lshrrev_b32_e32 v124, 3, v27
	;; [unrolled: 1-line block ×3, first 2 shown]
	v_lshl_add_u64 v[70:71], s[2:3], 0, v[4:5]
	v_add_u32_e32 v127, 0x76a0, v8
	v_add_u32_e32 v128, 0x4200, v18
	;; [unrolled: 1-line block ×18, first 2 shown]
	v_lshlrev_b32_e32 v149, 2, v40
	v_lshlrev_b32_e32 v150, 2, v6
	;; [unrolled: 1-line block ×8, first 2 shown]
	s_mov_b32 s9, 0x1010101
	v_mov_b32_e32 v157, 4
	v_mov_b32_e32 v158, 15
	v_add_u32_e32 v96, s14, v94
	v_cndmask_b32_e64 v98, 0, 1, vcc
	v_add_u32_e32 v102, s18, v100
	v_mov_b64_e32 v[38:39], v[50:51]
	v_mov_b64_e32 v[30:31], v[50:51]
	;; [unrolled: 1-line block ×15, first 2 shown]
	s_branch .LBB167_6
.LBB167_5:                              ;   in Loop: Header=BB167_6 Depth=1
	s_add_i32 s4, s4, 2
	s_cmp_ge_i32 s4, s5
	s_cbranch_scc1 .LBB167_18
.LBB167_6:                              ; =>This Loop Header: Depth=1
                                        ;     Child Loop BB167_7 Depth 2
                                        ;     Child Loop BB167_9 Depth 2
	;; [unrolled: 1-line block ×4, first 2 shown]
	s_mul_i32 s14, s4, 0x54
	s_mul_hi_u32 s15, s4, 0x54
	s_add_u32 s14, s0, s14
	s_addc_u32 s15, s1, s15
	v_mov_b64_e32 v[0:1], s[14:15]
	v_mad_u64_u32 v[2:3], s[14:15], v40, s7, v[0:1]
	v_mad_u64_u32 v[4:5], s[14:15], v44, s7, v[2:3]
	;; [unrolled: 1-line block ×9, first 2 shown]
	v_lshl_add_u64 v[4:5], v[4:5], 0, v[42:43]
	v_lshl_add_u64 v[6:7], v[6:7], 0, v[42:43]
	;; [unrolled: 1-line block ×8, first 2 shown]
	global_load_dword v104, v[4:5], off offset:16
	global_load_dword v106, v[6:7], off offset:16
	;; [unrolled: 1-line block ×7, first 2 shown]
	s_nop 0
	global_load_dword v114, v[114:115], off offset:16
	v_mad_u64_u32 v[4:5], s[14:15], v82, s7, v[2:3]
	v_mad_u64_u32 v[6:7], s[14:15], v84, s7, v[2:3]
	;; [unrolled: 1-line block ×8, first 2 shown]
	v_lshl_add_u64 v[4:5], v[4:5], 0, v[42:43]
	v_lshl_add_u64 v[10:11], v[10:11], 0, v[42:43]
	;; [unrolled: 1-line block ×8, first 2 shown]
	global_load_dword v115, v[4:5], off offset:16
	global_load_dword v121, v[6:7], off offset:16
	;; [unrolled: 1-line block ×3, first 2 shown]
	s_nop 0
	global_load_dword v10, v[10:11], off offset:16
	s_nop 0
	global_load_dword v11, v[12:13], off offset:16
	;; [unrolled: 2-line block ×3, first 2 shown]
	global_load_dword v13, v[112:113], off offset:16
	s_nop 0
	global_load_dword v14, v[2:3], off offset:16
	v_mad_u64_u32 v[2:3], s[14:15], v56, s7, v[0:1]
	v_mad_u64_u32 v[0:1], s[14:15], v98, s7, v[0:1]
	v_lshl_add_u64 v[0:1], v[0:1], 0, v[60:61]
	v_mad_u64_u32 v[2:3], s[14:15], v54, s7, v[2:3]
	v_mad_u64_u32 v[4:5], s[14:15], v62, s7, v[0:1]
	;; [unrolled: 1-line block ×5, first 2 shown]
	s_lshl_b32 s14, s4, 3
	s_nop 0
	v_add_u32_e32 v161, s14, v97
	global_load_dword v15, v[2:3], off offset:80
	global_load_dword v112, v[4:5], off
	global_load_dword v113, v[6:7], off
	;; [unrolled: 1-line block ×4, first 2 shown]
	v_add_u32_e32 v0, v161, v99
	v_add_u32_e32 v2, v161, v101
	;; [unrolled: 1-line block ×3, first 2 shown]
	v_mad_i64_i32 v[0:1], s[16:17], v0, 36, v[70:71]
	v_mad_i64_i32 v[2:3], s[16:17], v2, 36, v[70:71]
	v_add_u32_e32 v4, v161, v103
	v_add_u32_e32 v6, v161, v105
	v_mad_i64_i32 v[8:9], s[16:17], v8, 36, v[70:71]
	v_add_u32_e32 v159, s14, v68
	v_mad_i64_i32 v[4:5], s[16:17], v4, 36, v[70:71]
	v_mad_i64_i32 v[6:7], s[16:17], v6, 36, v[70:71]
	global_load_dword v162, v[0:1], off offset:4
	global_load_dword v163, v[2:3], off offset:4
	;; [unrolled: 1-line block ×4, first 2 shown]
	s_nop 0
	global_load_dword v8, v[8:9], off offset:4
	v_add_u32_e32 v0, v161, v109
	v_add_u32_e32 v2, v161, v111
	v_mad_i64_i32 v[0:1], s[16:17], v0, 36, v[70:71]
	v_mad_i64_i32 v[2:3], s[16:17], v2, 36, v[70:71]
	v_add_u32_e32 v4, v161, v117
	v_mad_u64_u32 v[6:7], s[16:17], v159, 36, s[2:3]
	v_mad_i64_i32 v[4:5], s[16:17], v4, 36, v[70:71]
	global_load_dword v6, v[6:7], off
	s_nop 0
	global_load_dword v0, v[0:1], off offset:4
	s_nop 0
	global_load_dword v1, v[2:3], off offset:4
	;; [unrolled: 2-line block ×3, first 2 shown]
	s_waitcnt vmcnt(29)
	ds_write_b32 v47, v104
	s_waitcnt vmcnt(28)
	ds_write_b32 v55, v106
	;; [unrolled: 2-line block ×26, first 2 shown]
	v_mov_b32_e32 v113, v128
	v_mov_b32_e32 v115, v127
	s_mov_b32 s15, 0
	s_waitcnt vmcnt(3)
	v_cvt_f32_f16_e32 v3, v6
	s_waitcnt vmcnt(2)
	ds_write_b32 v146, v0
	s_waitcnt vmcnt(1)
	ds_write_b32 v147, v1
	;; [unrolled: 2-line block ×3, first 2 shown]
	ds_write_b32 v69, v3
	s_waitcnt lgkmcnt(0)
	s_barrier
.LBB167_7:                              ;   Parent Loop BB167_6 Depth=1
                                        ; =>  This Inner Loop Header: Depth=2
	s_and_b32 s17, s15, 0x3ffffff8
	v_lshl_add_u32 v10, s17, 2, v126
	ds_read2_b32 v[120:121], v115 offset1:32
	ds_read_b128 v[4:7], v113
	ds_read_b128 v[0:3], v113 offset:16
	ds_read2_b32 v[8:9], v10 offset1:1
	s_lshr_b32 s17, s15, 2
	s_and_b32 s17, s17, 0x3ffffffc
	s_addk_i32 s17, 0x7280
	s_and_b32 s16, s15, -16
	s_waitcnt lgkmcnt(0)
	v_ashrrev_i32_e32 v8, s15, v8
	v_and_b32_e32 v171, 0x3030303, v8
	v_ashrrev_i32_e32 v8, s15, v9
	v_and_b32_e32 v168, 0x3030303, v8
	ds_read2_b32 v[8:9], v10 offset0:2 offset1:3
	s_add_i32 s16, s15, s16
	v_add_u32_e32 v193, s16, v130
	v_mov_b32_e32 v200, 0
	v_mov_b32_e32 v204, 0
	s_waitcnt lgkmcnt(0)
	v_ashrrev_i32_e32 v8, s15, v8
	v_and_b32_e32 v169, 0x3030303, v8
	v_ashrrev_i32_e32 v8, s15, v9
	v_and_b32_e32 v170, 0x3030303, v8
	ds_read2_b32 v[8:9], v10 offset0:4 offset1:5
	v_mov_b32_e32 v122, 0
	v_mov_b32_e32 v198, 0
	v_dot4c_i32_i8_e32 v122, v171, v4
	v_mov_b32_e32 v123, 0
	s_waitcnt lgkmcnt(0)
	v_ashrrev_i32_e32 v8, s15, v8
	v_and_b32_e32 v164, 0x3030303, v8
	v_ashrrev_i32_e32 v8, s15, v9
	v_and_b32_e32 v165, 0x3030303, v8
	ds_read2_b32 v[8:9], v10 offset0:6 offset1:7
	v_mov_b32_e32 v199, 0
	v_dot4c_i32_i8_e32 v122, v168, v5
	v_dot4c_i32_i8_e32 v123, v164, v0
	;; [unrolled: 1-line block ×3, first 2 shown]
	s_waitcnt lgkmcnt(0)
	v_ashrrev_i32_e32 v8, s15, v8
	v_and_b32_e32 v166, 0x3030303, v8
	v_ashrrev_i32_e32 v8, s15, v9
	v_and_b32_e32 v167, 0x3030303, v8
	v_add3_u32 v8, s17, v149, v150
	ds_read_b32 v8, v8
	v_dot4c_i32_i8_e32 v123, v165, v1
	v_dot4c_i32_i8_e32 v122, v170, v7
	;; [unrolled: 1-line block ×4, first 2 shown]
	s_waitcnt lgkmcnt(0)
	v_cvt_f32_f16_e32 v108, v8
	v_cvt_f32_f16_sdwa v110, v8 dst_sel:DWORD dst_unused:UNUSED_PAD src0_sel:WORD_1
	v_add_u32_e32 v8, 0x1080, v10
	ds_read2_b32 v[8:9], v8 offset1:1
	v_add_u32_e32 v197, s16, v132
	v_add_u32_e32 v201, s16, v134
	;; [unrolled: 1-line block ×3, first 2 shown]
	v_mov_b32_e32 v209, 0
	s_waitcnt lgkmcnt(0)
	v_ashrrev_i32_e32 v8, s15, v8
	v_and_b32_e32 v191, 0x3030303, v8
	v_ashrrev_i32_e32 v8, s15, v9
	v_and_b32_e32 v185, 0x3030303, v8
	v_add_u32_e32 v8, 0x1088, v10
	ds_read2_b32 v[8:9], v8 offset1:1
	v_mov_b32_e32 v212, 0
	v_mov_b32_e32 v202, 0
	v_dot4c_i32_i8_e32 v202, v191, v4
	v_mov_b32_e32 v203, 0
	s_waitcnt lgkmcnt(0)
	v_ashrrev_i32_e32 v8, s15, v8
	v_and_b32_e32 v189, 0x3030303, v8
	v_ashrrev_i32_e32 v8, s15, v9
	v_and_b32_e32 v190, 0x3030303, v8
	v_add_u32_e32 v8, 0x1090, v10
	ds_read2_b32 v[8:9], v8 offset1:1
	v_dot4c_i32_i8_e32 v202, v185, v5
	v_dot4c_i32_i8_e32 v202, v189, v6
	;; [unrolled: 1-line block ×3, first 2 shown]
	v_mov_b32_e32 v213, 0
	s_waitcnt lgkmcnt(0)
	v_ashrrev_i32_e32 v8, s15, v8
	v_and_b32_e32 v180, 0x3030303, v8
	v_ashrrev_i32_e32 v8, s15, v9
	v_and_b32_e32 v181, 0x3030303, v8
	v_add_u32_e32 v8, 0x1098, v10
	ds_read2_b32 v[8:9], v8 offset1:1
	v_dot4c_i32_i8_e32 v203, v180, v0
	v_dot4c_i32_i8_e32 v203, v181, v1
	v_mov_b32_e32 v205, 0
	v_mov_b32_e32 v208, 0
	s_waitcnt lgkmcnt(0)
	v_ashrrev_i32_e32 v8, s15, v8
	v_and_b32_e32 v182, 0x3030303, v8
	v_ashrrev_i32_e32 v8, s15, v9
	v_and_b32_e32 v183, 0x3030303, v8
	v_add3_u32 v8, s17, v151, v152
	ds_read_b32 v8, v8
	v_dot4c_i32_i8_e32 v203, v182, v2
	v_dot4c_i32_i8_e32 v203, v183, v3
	v_mov_b32_e32 v206, 0
	v_mov_b32_e32 v207, 0
	s_waitcnt lgkmcnt(0)
	v_cvt_f32_f16_e32 v116, v8
	v_cvt_f32_f16_sdwa v118, v8 dst_sel:DWORD dst_unused:UNUSED_PAD src0_sel:WORD_1
	v_add_u32_e32 v8, 0x2100, v10
	ds_read2_b32 v[8:9], v8 offset1:1
	v_mov_b32_e32 v214, 0
	s_waitcnt lgkmcnt(0)
	v_ashrrev_i32_e32 v8, s15, v8
	v_and_b32_e32 v179, 0x3030303, v8
	v_ashrrev_i32_e32 v8, s15, v9
	v_and_b32_e32 v176, 0x3030303, v8
	v_add_u32_e32 v8, 0x2108, v10
	ds_read2_b32 v[8:9], v8 offset1:1
	v_dot4c_i32_i8_e32 v205, v179, v4
	v_dot4c_i32_i8_e32 v205, v176, v5
	s_waitcnt lgkmcnt(0)
	v_ashrrev_i32_e32 v8, s15, v8
	v_and_b32_e32 v177, 0x3030303, v8
	v_ashrrev_i32_e32 v8, s15, v9
	v_and_b32_e32 v178, 0x3030303, v8
	v_add_u32_e32 v8, 0x2110, v10
	ds_read2_b32 v[8:9], v8 offset1:1
	v_dot4c_i32_i8_e32 v205, v177, v6
	v_dot4c_i32_i8_e32 v205, v178, v7
	;; [unrolled: 9-line block ×3, first 2 shown]
	s_waitcnt lgkmcnt(0)
	v_ashrrev_i32_e32 v8, s15, v8
	v_and_b32_e32 v174, 0x3030303, v8
	v_ashrrev_i32_e32 v8, s15, v9
	v_and_b32_e32 v175, 0x3030303, v8
	v_add3_u32 v8, s17, v153, v154
	ds_read_b32 v8, v8
	v_dot4c_i32_i8_e32 v208, v174, v2
	v_dot4c_i32_i8_e32 v208, v175, v3
	s_waitcnt lgkmcnt(0)
	v_cvt_f32_f16_e32 v112, v8
	v_cvt_f32_f16_sdwa v114, v8 dst_sel:DWORD dst_unused:UNUSED_PAD src0_sel:WORD_1
	v_add_u32_e32 v8, 0x3180, v10
	ds_read2_b32 v[8:9], v8 offset1:1
	s_waitcnt lgkmcnt(0)
	v_ashrrev_i32_e32 v8, s15, v8
	v_and_b32_e32 v186, 0x3030303, v8
	v_ashrrev_i32_e32 v8, s15, v9
	v_and_b32_e32 v184, 0x3030303, v8
	v_add_u32_e32 v8, 0x3188, v10
	ds_read2_b32 v[8:9], v8 offset1:1
	v_dot4c_i32_i8_e32 v206, v186, v4
	v_dot4c_i32_i8_e32 v206, v184, v5
	s_waitcnt lgkmcnt(0)
	v_ashrrev_i32_e32 v8, s15, v8
	v_and_b32_e32 v187, 0x3030303, v8
	v_ashrrev_i32_e32 v8, s15, v9
	v_and_b32_e32 v188, 0x3030303, v8
	v_add_u32_e32 v8, 0x3190, v10
	ds_read2_b32 v[8:9], v8 offset1:1
	v_dot4c_i32_i8_e32 v206, v187, v6
	v_dot4c_i32_i8_e32 v206, v188, v7
	;; [unrolled: 9-line block ×3, first 2 shown]
	s_waitcnt lgkmcnt(0)
	v_ashrrev_i32_e32 v8, s15, v8
	v_and_b32_e32 v162, 0x3030303, v8
	v_ashrrev_i32_e32 v8, s15, v9
	v_and_b32_e32 v163, 0x3030303, v8
	v_add3_u32 v8, s17, v155, v156
	ds_read_b32 v8, v8
	v_dot4c_i32_i8_e32 v207, v162, v2
	v_dot4c_i32_i8_e32 v207, v163, v3
	s_waitcnt lgkmcnt(0)
	v_cvt_f32_f16_e32 v104, v8
	v_cvt_f32_f16_sdwa v106, v8 dst_sel:DWORD dst_unused:UNUSED_PAD src0_sel:WORD_1
	ds_read_b128 v[12:15], v113 offset:1024
	ds_read_b128 v[8:11], v113 offset:1040
	ds_read_u16 v195, v193
	s_waitcnt lgkmcnt(2)
	v_dot4c_i32_i8_e32 v199, v171, v12
	s_waitcnt lgkmcnt(1)
	v_dot4c_i32_i8_e32 v198, v164, v8
	s_waitcnt lgkmcnt(0)
	v_bfe_u32 v193, v195, 4, 4
	v_mul_lo_u32 v193, v193, s9
	v_dot4c_i32_i8_e32 v200, v193, v4
	v_dot4c_i32_i8_e32 v204, v193, v12
	;; [unrolled: 1-line block ×5, first 2 shown]
	v_lshrrev_b32_sdwa v194, v157, v195 dst_sel:DWORD dst_unused:UNUSED_PAD src0_sel:DWORD src1_sel:BYTE_1
	v_dot4c_i32_i8_e32 v204, v193, v14
	v_dot4c_i32_i8_e32 v198, v165, v9
	;; [unrolled: 1-line block ×3, first 2 shown]
	v_mul_lo_u32 v194, v194, s9
	v_dot4c_i32_i8_e32 v204, v193, v15
	v_dot4c_i32_i8_e32 v199, v168, v13
	;; [unrolled: 1-line block ×4, first 2 shown]
	v_and_b32_e32 v196, 15, v195
	v_and_b32_sdwa v195, v195, v158 dst_sel:DWORD dst_unused:UNUSED_PAD src0_sel:BYTE_1 src1_sel:DWORD
	v_dot4c_i32_i8_e32 v204, v194, v8
	v_dot4c_i32_i8_e32 v199, v169, v14
	;; [unrolled: 1-line block ×4, first 2 shown]
	v_and_b32_e32 v195, 0xffff, v195
	v_and_b32_e32 v196, 0xffff, v196
	v_dot4c_i32_i8_e32 v204, v194, v9
	v_dot4c_i32_i8_e32 v199, v170, v15
	;; [unrolled: 1-line block ×4, first 2 shown]
	v_mul_lo_u32 v122, v122, v196
	v_mul_lo_u32 v198, v198, v195
	v_dot4c_i32_i8_e32 v200, v194, v3
	v_dot4c_i32_i8_e32 v204, v194, v11
	v_mad_u64_u32 v[198:199], s[16:17], v199, v196, v[198:199]
	v_mad_u64_u32 v[122:123], s[16:17], v123, v195, v[122:123]
	v_cvt_f32_i32_e32 v123, v122
	v_cvt_f32_i32_e32 v122, v198
	;; [unrolled: 1-line block ×4, first 2 shown]
	v_mov_b32_e32 v204, 0
	v_dot4c_i32_i8_e32 v204, v180, v8
	v_dot4c_i32_i8_e32 v204, v181, v9
	v_pk_mul_f32 v[198:199], v[110:111], v[198:199] op_sel_hi:[0,1]
	v_pk_fma_f32 v[198:199], v[108:109], v[122:123], v[198:199] op_sel_hi:[0,1,1] neg_lo:[0,0,1] neg_hi:[0,0,1]
	v_mov_b32_e32 v123, v120
	ds_read_u16 v120, v197
	v_mov_b32_e32 v122, v121
	v_pk_fma_f32 v[50:51], v[122:123], v[198:199], v[50:51]
	v_mov_b32_e32 v121, 0
	v_dot4c_i32_i8_e32 v121, v191, v12
	s_waitcnt lgkmcnt(0)
	v_bfe_u32 v197, v120, 4, 4
	v_mul_lo_u32 v197, v197, s9
	v_dot4c_i32_i8_e32 v209, v197, v4
	v_dot4c_i32_i8_e32 v212, v197, v12
	v_dot4c_i32_i8_e32 v209, v197, v5
	v_dot4c_i32_i8_e32 v212, v197, v13
	v_dot4c_i32_i8_e32 v209, v197, v6
	v_lshrrev_b32_sdwa v198, v157, v120 dst_sel:DWORD dst_unused:UNUSED_PAD src0_sel:DWORD src1_sel:BYTE_1
	v_dot4c_i32_i8_e32 v212, v197, v14
	v_dot4c_i32_i8_e32 v209, v197, v7
	v_mul_lo_u32 v198, v198, s9
	v_dot4c_i32_i8_e32 v212, v197, v15
	v_dot4c_i32_i8_e32 v209, v198, v0
	;; [unrolled: 1-line block ×6, first 2 shown]
	v_and_b32_e32 v200, 15, v120
	v_and_b32_sdwa v120, v120, v158 dst_sel:DWORD dst_unused:UNUSED_PAD src0_sel:BYTE_1 src1_sel:DWORD
	v_dot4c_i32_i8_e32 v212, v198, v9
	v_dot4c_i32_i8_e32 v121, v189, v14
	;; [unrolled: 1-line block ×4, first 2 shown]
	v_and_b32_e32 v199, 0xffff, v120
	v_and_b32_e32 v200, 0xffff, v200
	v_dot4c_i32_i8_e32 v212, v198, v10
	v_dot4c_i32_i8_e32 v121, v190, v15
	v_dot4c_i32_i8_e32 v209, v198, v3
	v_dot4c_i32_i8_e32 v212, v198, v11
	v_mul_lo_u32 v120, v202, v200
	v_mul_lo_u32 v202, v204, v199
	v_mad_u64_u32 v[210:211], s[16:17], v121, v200, v[202:203]
	v_mad_u64_u32 v[120:121], s[16:17], v203, v199, v[120:121]
	v_cvt_f32_i32_e32 v203, v209
	v_cvt_f32_i32_e32 v202, v212
	;; [unrolled: 1-line block ×4, first 2 shown]
	v_mov_b32_e32 v212, 0
	v_pk_mul_f32 v[202:203], v[118:119], v[202:203] op_sel_hi:[0,1]
	v_mov_b32_e32 v209, 0
	v_pk_fma_f32 v[120:121], v[116:117], v[120:121], v[202:203] op_sel_hi:[0,1,1] neg_lo:[0,0,1] neg_hi:[0,0,1]
	v_pk_fma_f32 v[66:67], v[122:123], v[120:121], v[66:67]
	ds_read_u16 v120, v201
	v_mov_b32_e32 v121, 0
	v_dot4c_i32_i8_e32 v209, v172, v8
	v_dot4c_i32_i8_e32 v121, v179, v12
	;; [unrolled: 1-line block ×3, first 2 shown]
	s_waitcnt lgkmcnt(0)
	v_bfe_u32 v201, v120, 4, 4
	v_mul_lo_u32 v201, v201, s9
	v_dot4c_i32_i8_e32 v212, v201, v4
	v_dot4c_i32_i8_e32 v213, v201, v12
	;; [unrolled: 1-line block ×5, first 2 shown]
	v_lshrrev_b32_sdwa v202, v157, v120 dst_sel:DWORD dst_unused:UNUSED_PAD src0_sel:DWORD src1_sel:BYTE_1
	v_dot4c_i32_i8_e32 v213, v201, v14
	v_dot4c_i32_i8_e32 v212, v201, v7
	v_mul_lo_u32 v202, v202, s9
	v_dot4c_i32_i8_e32 v213, v201, v15
	v_dot4c_i32_i8_e32 v212, v202, v0
	;; [unrolled: 1-line block ×6, first 2 shown]
	v_and_b32_e32 v204, 15, v120
	v_and_b32_sdwa v120, v120, v158 dst_sel:DWORD dst_unused:UNUSED_PAD src0_sel:BYTE_1 src1_sel:DWORD
	v_dot4c_i32_i8_e32 v213, v202, v9
	v_dot4c_i32_i8_e32 v121, v177, v14
	;; [unrolled: 1-line block ×4, first 2 shown]
	v_and_b32_e32 v203, 0xffff, v120
	v_and_b32_e32 v204, 0xffff, v204
	v_dot4c_i32_i8_e32 v213, v202, v10
	v_dot4c_i32_i8_e32 v121, v178, v15
	;; [unrolled: 1-line block ×4, first 2 shown]
	v_mul_lo_u32 v120, v205, v204
	v_mul_lo_u32 v210, v209, v203
	v_mad_u64_u32 v[210:211], s[16:17], v121, v204, v[210:211]
	v_mad_u64_u32 v[120:121], s[16:17], v208, v203, v[120:121]
	v_cvt_f32_i32_e32 v209, v212
	v_cvt_f32_i32_e32 v208, v213
	;; [unrolled: 1-line block ×4, first 2 shown]
	v_mov_b32_e32 v210, 0
	v_pk_mul_f32 v[208:209], v[114:115], v[208:209] op_sel_hi:[0,1]
	v_mov_b32_e32 v211, 0
	v_pk_fma_f32 v[120:121], v[112:113], v[120:121], v[208:209] op_sel_hi:[0,1,1] neg_lo:[0,0,1] neg_hi:[0,0,1]
	v_pk_fma_f32 v[58:59], v[122:123], v[120:121], v[58:59]
	ds_read_u16 v121, v192
	v_mov_b32_e32 v209, 0
	v_mov_b32_e32 v208, 0
	v_dot4c_i32_i8_e32 v209, v160, v8
	v_dot4c_i32_i8_e32 v208, v186, v12
	s_waitcnt lgkmcnt(0)
	v_bfe_u32 v120, v121, 4, 4
	v_mul_lo_u32 v205, v120, s9
	v_dot4c_i32_i8_e32 v210, v205, v4
	v_lshrrev_b32_sdwa v4, v157, v121 dst_sel:DWORD dst_unused:UNUSED_PAD src0_sel:DWORD src1_sel:BYTE_1
	v_mul_lo_u32 v120, v4, s9
	v_mov_b32_e32 v4, 0
	v_dot4c_i32_i8_e32 v210, v205, v5
	v_dot4c_i32_i8_e32 v4, v205, v12
	;; [unrolled: 1-line block ×12, first 2 shown]
	v_and_b32_e32 v0, 15, v121
	v_and_b32_sdwa v1, v121, v158 dst_sel:DWORD dst_unused:UNUSED_PAD src0_sel:BYTE_1 src1_sel:DWORD
	v_dot4c_i32_i8_e32 v4, v120, v8
	v_dot4c_i32_i8_e32 v208, v187, v14
	;; [unrolled: 1-line block ×3, first 2 shown]
	v_and_b32_e32 v121, 0xffff, v1
	v_and_b32_e32 v192, 0xffff, v0
	v_dot4c_i32_i8_e32 v4, v120, v9
	v_dot4c_i32_i8_e32 v208, v188, v15
	;; [unrolled: 1-line block ×4, first 2 shown]
	v_mul_lo_u32 v0, v206, v192
	v_mul_lo_u32 v2, v209, v121
	v_dot4c_i32_i8_e32 v210, v120, v3
	v_dot4c_i32_i8_e32 v4, v120, v11
	v_mad_u64_u32 v[2:3], s[16:17], v208, v192, v[2:3]
	v_mad_u64_u32 v[0:1], s[16:17], v207, v121, v[0:1]
	v_cvt_f32_i32_e32 v1, v0
	v_cvt_f32_i32_e32 v0, v2
	;; [unrolled: 1-line block ×4, first 2 shown]
	v_mov_b32_e32 v206, 0
	v_mov_b32_e32 v209, 0
	;; [unrolled: 1-line block ×3, first 2 shown]
	v_pk_mul_f32 v[2:3], v[106:107], v[2:3] op_sel_hi:[0,1]
	v_pk_fma_f32 v[0:1], v[104:105], v[0:1], v[2:3] op_sel_hi:[0,1,1] neg_lo:[0,0,1] neg_hi:[0,0,1]
	v_pk_fma_f32 v[52:53], v[122:123], v[0:1], v[52:53]
	ds_read2_b32 v[8:9], v115 offset0:64 offset1:96
	ds_read_b128 v[4:7], v113 offset:2048
	ds_read_b128 v[0:3], v113 offset:2064
	v_mov_b32_e32 v122, 0
	v_mov_b32_e32 v13, 0
	;; [unrolled: 1-line block ×3, first 2 shown]
	s_waitcnt lgkmcnt(1)
	v_dot4c_i32_i8_e32 v122, v193, v4
	v_dot4c_i32_i8_e32 v206, v197, v4
	;; [unrolled: 1-line block ×13, first 2 shown]
	v_mov_b32_e32 v123, 0
	v_dot4c_i32_i8_e32 v206, v197, v7
	v_mov_b32_e32 v207, 0
	v_mov_b32_e32 v208, 0
	v_dot4c_i32_i8_e32 v209, v201, v7
	v_mov_b32_e32 v210, 0
	v_mov_b32_e32 v10, 0
	v_dot4c_i32_i8_e32 v11, v205, v7
	v_dot4c_i32_i8_e32 v13, v171, v4
	s_waitcnt lgkmcnt(0)
	v_dot4c_i32_i8_e32 v14, v164, v0
	v_dot4c_i32_i8_e32 v122, v194, v0
	;; [unrolled: 1-line block ×47, first 2 shown]
	ds_read_b128 v[4:7], v113 offset:3072
	ds_read_b128 v[0:3], v113 offset:3088
	v_mov_b32_e32 v212, 0
	v_mov_b32_e32 v12, 0
	;; [unrolled: 1-line block ×3, first 2 shown]
	s_waitcnt lgkmcnt(1)
	v_dot4c_i32_i8_e32 v212, v193, v4
	v_dot4c_i32_i8_e32 v212, v193, v5
	;; [unrolled: 1-line block ×6, first 2 shown]
	s_waitcnt lgkmcnt(0)
	v_dot4c_i32_i8_e32 v213, v164, v0
	v_dot4c_i32_i8_e32 v12, v169, v6
	;; [unrolled: 1-line block ×9, first 2 shown]
	v_mul_lo_u32 v12, v12, v196
	v_mul_lo_u32 v14, v14, v195
	v_dot4c_i32_i8_e32 v212, v194, v3
	v_mad_u64_u32 v[14:15], s[16:17], v13, v196, v[14:15]
	v_mad_u64_u32 v[12:13], s[16:17], v213, v195, v[12:13]
	v_cvt_f32_i32_e32 v13, v12
	v_cvt_f32_i32_e32 v12, v14
	;; [unrolled: 1-line block ×4, first 2 shown]
	v_mov_b32_e32 v122, 0
	v_dot4c_i32_i8_e32 v122, v197, v4
	v_dot4c_i32_i8_e32 v122, v197, v5
	v_pk_mul_f32 v[14:15], v[110:111], v[14:15] op_sel_hi:[0,1]
	v_pk_fma_f32 v[12:13], v[108:109], v[12:13], v[14:15] op_sel_hi:[0,1,1] neg_lo:[0,0,1] neg_hi:[0,0,1]
	v_pk_fma_f32 v[38:39], v[8:9], v[12:13], v[38:39]
	v_mov_b32_e32 v12, 0
	v_dot4c_i32_i8_e32 v12, v191, v4
	v_dot4c_i32_i8_e32 v122, v197, v6
	v_mov_b32_e32 v13, 0
	v_dot4c_i32_i8_e32 v12, v185, v5
	v_dot4c_i32_i8_e32 v122, v197, v7
	;; [unrolled: 1-line block ×11, first 2 shown]
	v_mul_lo_u32 v12, v12, v200
	v_mul_lo_u32 v14, v207, v199
	v_dot4c_i32_i8_e32 v122, v198, v3
	v_mad_u64_u32 v[14:15], s[16:17], v123, v200, v[14:15]
	v_mad_u64_u32 v[12:13], s[16:17], v13, v199, v[12:13]
	v_cvt_f32_i32_e32 v13, v12
	v_cvt_f32_i32_e32 v12, v14
	;; [unrolled: 1-line block ×4, first 2 shown]
	v_mov_b32_e32 v122, 0
	v_dot4c_i32_i8_e32 v122, v201, v4
	v_dot4c_i32_i8_e32 v122, v201, v5
	v_pk_mul_f32 v[14:15], v[118:119], v[14:15] op_sel_hi:[0,1]
	v_pk_fma_f32 v[12:13], v[116:117], v[12:13], v[14:15] op_sel_hi:[0,1,1] neg_lo:[0,0,1] neg_hi:[0,0,1]
	v_pk_fma_f32 v[36:37], v[8:9], v[12:13], v[36:37]
	v_mov_b32_e32 v12, 0
	v_dot4c_i32_i8_e32 v12, v179, v4
	v_dot4c_i32_i8_e32 v122, v201, v6
	v_mov_b32_e32 v13, 0
	v_dot4c_i32_i8_e32 v12, v176, v5
	v_dot4c_i32_i8_e32 v122, v201, v7
	;; [unrolled: 1-line block ×11, first 2 shown]
	v_mul_lo_u32 v12, v12, v204
	v_mul_lo_u32 v14, v210, v203
	v_dot4c_i32_i8_e32 v122, v202, v3
	v_mad_u64_u32 v[14:15], s[16:17], v208, v204, v[14:15]
	v_mad_u64_u32 v[12:13], s[16:17], v13, v203, v[12:13]
	v_cvt_f32_i32_e32 v13, v12
	v_cvt_f32_i32_e32 v12, v14
	;; [unrolled: 1-line block ×4, first 2 shown]
	v_mov_b32_e32 v212, 0
	v_mov_b32_e32 v123, 0
	v_mov_b32_e32 v207, 0
	v_pk_mul_f32 v[14:15], v[114:115], v[14:15] op_sel_hi:[0,1]
	v_pk_fma_f32 v[12:13], v[112:113], v[12:13], v[14:15] op_sel_hi:[0,1,1] neg_lo:[0,0,1] neg_hi:[0,0,1]
	v_pk_fma_f32 v[34:35], v[8:9], v[12:13], v[34:35]
	v_mov_b32_e32 v13, 0
	v_dot4c_i32_i8_e32 v13, v205, v4
	v_mov_b32_e32 v12, 0
	v_dot4c_i32_i8_e32 v13, v205, v5
	v_dot4c_i32_i8_e32 v12, v186, v4
	;; [unrolled: 1-line block ×3, first 2 shown]
	v_mov_b32_e32 v4, 0
	v_dot4c_i32_i8_e32 v12, v184, v5
	v_dot4c_i32_i8_e32 v13, v205, v7
	;; [unrolled: 1-line block ×11, first 2 shown]
	v_mul_lo_u32 v0, v12, v192
	v_mul_lo_u32 v2, v211, v121
	v_dot4c_i32_i8_e32 v13, v120, v3
	v_mad_u64_u32 v[2:3], s[16:17], v10, v192, v[2:3]
	v_mad_u64_u32 v[0:1], s[16:17], v4, v121, v[0:1]
	v_cvt_f32_i32_e32 v1, v0
	v_cvt_f32_i32_e32 v0, v2
	;; [unrolled: 1-line block ×4, first 2 shown]
	v_mov_b32_e32 v14, 0
	v_mov_b32_e32 v11, 0
	v_mov_b32_e32 v209, 0
	v_pk_mul_f32 v[2:3], v[106:107], v[2:3] op_sel_hi:[0,1]
	v_pk_fma_f32 v[0:1], v[104:105], v[0:1], v[2:3] op_sel_hi:[0,1,1] neg_lo:[0,0,1] neg_hi:[0,0,1]
	v_pk_fma_f32 v[32:33], v[8:9], v[0:1], v[32:33]
	ds_read2_b32 v[8:9], v115 offset0:128 offset1:160
	ds_read_b128 v[4:7], v113 offset:4096
	ds_read_b128 v[0:3], v113 offset:4112
	v_mov_b32_e32 v122, 0
	v_mov_b32_e32 v206, 0
	;; [unrolled: 1-line block ×3, first 2 shown]
	s_waitcnt lgkmcnt(1)
	v_dot4c_i32_i8_e32 v212, v193, v4
	v_dot4c_i32_i8_e32 v123, v197, v4
	;; [unrolled: 1-line block ×15, first 2 shown]
	v_mov_b32_e32 v15, 0
	v_mov_b32_e32 v10, 0
	v_dot4c_i32_i8_e32 v11, v205, v7
	v_mov_b32_e32 v12, 0
	v_dot4c_i32_i8_e32 v207, v171, v4
	s_waitcnt lgkmcnt(0)
	v_dot4c_i32_i8_e32 v209, v164, v0
	v_dot4c_i32_i8_e32 v212, v194, v0
	;; [unrolled: 1-line block ×47, first 2 shown]
	ds_read_b128 v[4:7], v113 offset:5120
	ds_read_b128 v[0:3], v113 offset:5136
	v_mov_b32_e32 v213, 0
	v_mov_b32_e32 v208, 0
	v_mul_lo_u32 v210, v209, v195
	s_waitcnt lgkmcnt(1)
	v_dot4c_i32_i8_e32 v213, v193, v4
	v_dot4c_i32_i8_e32 v213, v193, v5
	v_dot4c_i32_i8_e32 v208, v171, v4
	v_dot4c_i32_i8_e32 v213, v193, v6
	v_dot4c_i32_i8_e32 v208, v168, v5
	v_dot4c_i32_i8_e32 v213, v193, v7
	s_waitcnt lgkmcnt(0)
	v_dot4c_i32_i8_e32 v214, v164, v0
	v_dot4c_i32_i8_e32 v208, v169, v6
	;; [unrolled: 1-line block ×9, first 2 shown]
	v_mul_lo_u32 v208, v208, v196
	v_dot4c_i32_i8_e32 v213, v194, v3
	v_mad_u64_u32 v[210:211], s[16:17], v207, v196, v[210:211]
	v_mad_u64_u32 v[208:209], s[16:17], v214, v195, v[208:209]
	v_cvt_f32_i32_e32 v209, v208
	v_cvt_f32_i32_e32 v208, v210
	;; [unrolled: 1-line block ×4, first 2 shown]
	v_mov_b32_e32 v207, 0
	v_dot4c_i32_i8_e32 v207, v191, v4
	v_dot4c_i32_i8_e32 v207, v185, v5
	v_pk_mul_f32 v[210:211], v[110:111], v[210:211] op_sel_hi:[0,1]
	v_pk_fma_f32 v[208:209], v[108:109], v[208:209], v[210:211] op_sel_hi:[0,1,1] neg_lo:[0,0,1] neg_hi:[0,0,1]
	v_mov_b32_e32 v210, 0
	v_dot4c_i32_i8_e32 v210, v197, v4
	v_dot4c_i32_i8_e32 v210, v197, v5
	v_pk_fma_f32 v[30:31], v[8:9], v[208:209], v[30:31]
	v_dot4c_i32_i8_e32 v210, v197, v6
	v_mov_b32_e32 v209, 0
	v_dot4c_i32_i8_e32 v210, v197, v7
	v_dot4c_i32_i8_e32 v209, v180, v0
	;; [unrolled: 1-line block ×10, first 2 shown]
	v_mul_lo_u32 v208, v207, v200
	v_mul_lo_u32 v206, v206, v199
	v_dot4c_i32_i8_e32 v210, v198, v3
	v_mad_u64_u32 v[206:207], s[16:17], v122, v200, v[206:207]
	v_mad_u64_u32 v[208:209], s[16:17], v209, v199, v[208:209]
	v_cvt_f32_i32_e32 v207, v208
	v_cvt_f32_i32_e32 v209, v210
	;; [unrolled: 1-line block ×5, first 2 shown]
	v_mov_b32_e32 v210, 0
	v_pk_mul_f32 v[122:123], v[118:119], v[208:209] op_sel_hi:[0,1]
	v_mov_b32_e32 v208, 0
	v_dot4c_i32_i8_e32 v208, v201, v4
	v_pk_fma_f32 v[122:123], v[116:117], v[206:207], v[122:123] op_sel_hi:[0,1,1] neg_lo:[0,0,1] neg_hi:[0,0,1]
	v_dot4c_i32_i8_e32 v208, v201, v5
	v_pk_fma_f32 v[28:29], v[8:9], v[122:123], v[28:29]
	v_mov_b32_e32 v122, 0
	v_dot4c_i32_i8_e32 v208, v201, v6
	v_dot4c_i32_i8_e32 v122, v179, v4
	;; [unrolled: 1-line block ×3, first 2 shown]
	v_mov_b32_e32 v123, 0
	v_dot4c_i32_i8_e32 v122, v176, v5
	v_dot4c_i32_i8_e32 v123, v172, v0
	v_dot4c_i32_i8_e32 v208, v202, v0
	v_dot4c_i32_i8_e32 v122, v177, v6
	v_dot4c_i32_i8_e32 v123, v173, v1
	v_dot4c_i32_i8_e32 v208, v202, v1
	v_dot4c_i32_i8_e32 v122, v178, v7
	v_dot4c_i32_i8_e32 v123, v174, v2
	v_dot4c_i32_i8_e32 v208, v202, v2
	v_dot4c_i32_i8_e32 v123, v175, v3
	v_dot4c_i32_i8_e32 v208, v202, v3
	v_mul_lo_u32 v122, v122, v204
	v_mul_lo_u32 v206, v15, v203
	v_mad_u64_u32 v[206:207], s[16:17], v13, v204, v[206:207]
	v_mad_u64_u32 v[122:123], s[16:17], v123, v203, v[122:123]
	v_cvt_f32_i32_e32 v15, v208
	v_cvt_f32_i32_e32 v123, v122
	;; [unrolled: 1-line block ×3, first 2 shown]
	v_mov_b32_e32 v13, 0
	v_pk_mul_f32 v[14:15], v[114:115], v[14:15] op_sel_hi:[0,1]
	v_dot4c_i32_i8_e32 v13, v186, v4
	v_pk_fma_f32 v[14:15], v[112:113], v[122:123], v[14:15] op_sel_hi:[0,1,1] neg_lo:[0,0,1] neg_hi:[0,0,1]
	v_pk_fma_f32 v[26:27], v[8:9], v[14:15], v[26:27]
	v_mov_b32_e32 v14, 0
	v_dot4c_i32_i8_e32 v14, v205, v4
	v_dot4c_i32_i8_e32 v14, v205, v5
	;; [unrolled: 1-line block ×3, first 2 shown]
	v_mov_b32_e32 v4, 0
	v_dot4c_i32_i8_e32 v13, v184, v5
	v_dot4c_i32_i8_e32 v14, v205, v7
	;; [unrolled: 1-line block ×11, first 2 shown]
	v_mul_lo_u32 v0, v13, v192
	v_mul_lo_u32 v2, v12, v121
	v_dot4c_i32_i8_e32 v14, v120, v3
	v_mad_u64_u32 v[2:3], s[16:17], v10, v192, v[2:3]
	v_mad_u64_u32 v[0:1], s[16:17], v4, v121, v[0:1]
	v_cvt_f32_i32_e32 v1, v0
	v_cvt_f32_i32_e32 v0, v2
	;; [unrolled: 1-line block ×4, first 2 shown]
	v_mov_b32_e32 v207, 0
	v_mov_b32_e32 v123, 0
	;; [unrolled: 1-line block ×3, first 2 shown]
	v_pk_mul_f32 v[2:3], v[106:107], v[2:3] op_sel_hi:[0,1]
	v_pk_fma_f32 v[0:1], v[104:105], v[0:1], v[2:3] op_sel_hi:[0,1,1] neg_lo:[0,0,1] neg_hi:[0,0,1]
	v_pk_fma_f32 v[24:25], v[8:9], v[0:1], v[24:25]
	ds_read2_b32 v[8:9], v115 offset0:192 offset1:224
	ds_read_b128 v[4:7], v113 offset:6144
	ds_read_b128 v[0:3], v113 offset:6160
	v_mov_b32_e32 v11, 0
	v_mov_b32_e32 v206, 0
	;; [unrolled: 1-line block ×3, first 2 shown]
	s_waitcnt lgkmcnt(1)
	v_dot4c_i32_i8_e32 v207, v193, v4
	v_dot4c_i32_i8_e32 v123, v197, v4
	;; [unrolled: 1-line block ×13, first 2 shown]
	v_mov_b32_e32 v122, 0
	v_dot4c_i32_i8_e32 v123, v197, v7
	v_mov_b32_e32 v209, 0
	v_mov_b32_e32 v13, 0
	v_dot4c_i32_i8_e32 v14, v201, v7
	v_mov_b32_e32 v15, 0
	;; [unrolled: 3-line block ×3, first 2 shown]
	v_dot4c_i32_i8_e32 v206, v171, v4
	s_waitcnt lgkmcnt(0)
	v_dot4c_i32_i8_e32 v208, v164, v0
	v_dot4c_i32_i8_e32 v207, v194, v0
	;; [unrolled: 1-line block ×47, first 2 shown]
	ds_read_b128 v[4:7], v113 offset:7168
	ds_read_b128 v[0:3], v113 offset:7184
	v_cvt_f32_i32_e32 v14, v14
	s_waitcnt lgkmcnt(1)
	v_dot4c_i32_i8_e32 v210, v171, v4
	v_mov_b32_e32 v171, 0
	v_dot4c_i32_i8_e32 v171, v193, v4
	v_dot4c_i32_i8_e32 v171, v193, v5
	;; [unrolled: 1-line block ×4, first 2 shown]
	v_mov_b32_e32 v168, 0
	v_dot4c_i32_i8_e32 v171, v193, v7
	s_waitcnt lgkmcnt(0)
	v_dot4c_i32_i8_e32 v168, v164, v0
	v_dot4c_i32_i8_e32 v210, v169, v6
	;; [unrolled: 1-line block ×9, first 2 shown]
	v_mul_lo_u32 v164, v210, v196
	v_mul_lo_u32 v166, v208, v195
	v_dot4c_i32_i8_e32 v171, v194, v3
	v_mad_u64_u32 v[166:167], s[16:17], v206, v196, v[166:167]
	v_mad_u64_u32 v[164:165], s[16:17], v168, v195, v[164:165]
	v_cvt_f32_i32_e32 v165, v164
	v_cvt_f32_i32_e32 v164, v166
	;; [unrolled: 1-line block ×4, first 2 shown]
	v_mov_b32_e32 v168, 0
	v_dot4c_i32_i8_e32 v168, v197, v4
	v_dot4c_i32_i8_e32 v168, v197, v5
	v_pk_mul_f32 v[166:167], v[110:111], v[166:167] op_sel_hi:[0,1]
	v_pk_fma_f32 v[164:165], v[108:109], v[164:165], v[166:167] op_sel_hi:[0,1,1] neg_lo:[0,0,1] neg_hi:[0,0,1]
	v_mov_b32_e32 v108, 0
	v_dot4c_i32_i8_e32 v108, v191, v4
	v_dot4c_i32_i8_e32 v168, v197, v6
	v_mov_b32_e32 v166, 0
	v_dot4c_i32_i8_e32 v108, v185, v5
	v_dot4c_i32_i8_e32 v168, v197, v7
	;; [unrolled: 1-line block ×11, first 2 shown]
	v_mul_lo_u32 v108, v108, v200
	v_mul_lo_u32 v110, v209, v199
	v_pk_fma_f32 v[22:23], v[8:9], v[164:165], v[22:23]
	v_dot4c_i32_i8_e32 v168, v198, v3
	v_mad_u64_u32 v[164:165], s[16:17], v122, v200, v[110:111]
	v_mad_u64_u32 v[166:167], s[16:17], v166, v199, v[108:109]
	v_cvt_f32_i32_e32 v165, v166
	v_cvt_f32_i32_e32 v167, v168
	;; [unrolled: 1-line block ×4, first 2 shown]
	v_mov_b32_e32 v108, 0
	v_dot4c_i32_i8_e32 v108, v179, v4
	v_pk_mul_f32 v[122:123], v[118:119], v[166:167] op_sel_hi:[0,1]
	v_pk_fma_f32 v[122:123], v[116:117], v[164:165], v[122:123] op_sel_hi:[0,1,1] neg_lo:[0,0,1] neg_hi:[0,0,1]
	v_mov_b32_e32 v116, 0
	v_dot4c_i32_i8_e32 v116, v201, v4
	v_dot4c_i32_i8_e32 v116, v201, v5
	;; [unrolled: 1-line block ×4, first 2 shown]
	v_mov_b32_e32 v118, 0
	v_dot4c_i32_i8_e32 v108, v176, v5
	v_dot4c_i32_i8_e32 v118, v172, v0
	;; [unrolled: 1-line block ×11, first 2 shown]
	v_mul_lo_u32 v108, v108, v204
	v_mul_lo_u32 v110, v15, v203
	v_pk_fma_f32 v[20:21], v[8:9], v[122:123], v[20:21]
	v_mad_u64_u32 v[122:123], s[16:17], v13, v204, v[110:111]
	v_mad_u64_u32 v[164:165], s[16:17], v118, v203, v[108:109]
	v_cvt_f32_i32_e32 v15, v116
	v_cvt_f32_i32_e32 v123, v164
	;; [unrolled: 1-line block ×3, first 2 shown]
	v_mov_b32_e32 v13, 0
	v_pk_mul_f32 v[14:15], v[114:115], v[14:15] op_sel_hi:[0,1]
	v_dot4c_i32_i8_e32 v13, v205, v4
	v_pk_fma_f32 v[14:15], v[112:113], v[122:123], v[14:15] op_sel_hi:[0,1,1] neg_lo:[0,0,1] neg_hi:[0,0,1]
	v_pk_fma_f32 v[18:19], v[8:9], v[14:15], v[18:19]
	v_mov_b32_e32 v14, 0
	v_dot4c_i32_i8_e32 v13, v205, v5
	v_dot4c_i32_i8_e32 v14, v186, v4
	;; [unrolled: 1-line block ×3, first 2 shown]
	v_mov_b32_e32 v4, 0
	v_dot4c_i32_i8_e32 v14, v184, v5
	v_dot4c_i32_i8_e32 v13, v205, v7
	;; [unrolled: 1-line block ×11, first 2 shown]
	v_mul_lo_u32 v0, v14, v192
	v_mul_lo_u32 v2, v12, v121
	v_dot4c_i32_i8_e32 v13, v120, v3
	v_mad_u64_u32 v[2:3], s[16:17], v10, v192, v[2:3]
	v_mad_u64_u32 v[0:1], s[16:17], v4, v121, v[0:1]
	v_cvt_f32_i32_e32 v1, v0
	v_cvt_f32_i32_e32 v0, v2
	;; [unrolled: 1-line block ×4, first 2 shown]
	s_add_i32 s16, s15, 2
	v_add_u32_e32 v115, 4, v115
	v_add_u32_e32 v113, 32, v113
	v_pk_mul_f32 v[2:3], v[106:107], v[2:3] op_sel_hi:[0,1]
	v_pk_fma_f32 v[0:1], v[104:105], v[0:1], v[2:3] op_sel_hi:[0,1,1] neg_lo:[0,0,1] neg_hi:[0,0,1]
	v_pk_fma_f32 v[16:17], v[8:9], v[0:1], v[16:17]
	s_cmp_lt_u32 s15, 6
	s_mov_b32 s15, s16
	s_cbranch_scc1 .LBB167_7
; %bb.8:                                ;   in Loop: Header=BB167_6 Depth=1
	v_add_u32_e32 v14, s14, v119
	v_add_u32_e32 v0, v14, v99
	;; [unrolled: 1-line block ×6, first 2 shown]
	v_mad_i64_i32 v[0:1], s[16:17], v0, 36, v[70:71]
	v_mad_i64_i32 v[2:3], s[16:17], v2, 36, v[70:71]
	;; [unrolled: 1-line block ×4, first 2 shown]
	v_add_u32_e32 v8, v14, v107
	v_add_u32_e32 v10, v14, v109
	;; [unrolled: 1-line block ×4, first 2 shown]
	v_mad_u64_u32 v[112:113], s[16:17], v104, 36, s[2:3]
	s_barrier
	v_mad_i64_i32 v[8:9], s[16:17], v8, 36, v[70:71]
	v_mad_i64_i32 v[10:11], s[16:17], v10, 36, v[70:71]
	;; [unrolled: 1-line block ×4, first 2 shown]
	global_load_dword v104, v[112:113], off
	s_nop 0
	global_load_dword v0, v[0:1], off offset:4
	s_nop 0
	global_load_dword v1, v[2:3], off offset:4
	s_nop 0
	global_load_dword v2, v[4:5], off offset:4
	global_load_dword v3, v[6:7], off offset:4
	s_nop 0
	global_load_dword v4, v[8:9], off offset:4
	global_load_dword v5, v[10:11], off offset:4
	;; [unrolled: 1-line block ×4, first 2 shown]
	s_mov_b32 s15, 8
	v_mov_b32_e32 v113, v128
	v_mov_b32_e32 v115, v127
	s_waitcnt vmcnt(8)
	v_cvt_f32_f16_e32 v8, v104
	s_waitcnt vmcnt(7)
	ds_write_b32 v141, v0
	s_waitcnt vmcnt(6)
	ds_write_b32 v142, v1
	;; [unrolled: 2-line block ×8, first 2 shown]
	ds_write_b32 v69, v8
	s_waitcnt lgkmcnt(0)
	s_barrier
.LBB167_9:                              ;   Parent Loop BB167_6 Depth=1
                                        ; =>  This Inner Loop Header: Depth=2
	s_and_b32 s18, s15, 0x3ffffff8
	v_lshl_add_u32 v10, s18, 2, v126
	ds_read2_b32 v[120:121], v115 offset1:32
	ds_read_b128 v[4:7], v113
	ds_read_b128 v[0:3], v113 offset:16
	ds_read2_b32 v[8:9], v10 offset1:1
	s_add_i32 s16, s15, -8
	s_lshr_b32 s18, s15, 2
	s_and_b32 s18, s18, 0x3ffffffc
	s_addk_i32 s18, 0x7280
	s_waitcnt lgkmcnt(0)
	v_ashrrev_i32_e32 v8, s16, v8
	v_and_b32_e32 v175, 0x3030303, v8
	v_ashrrev_i32_e32 v8, s16, v9
	v_and_b32_e32 v172, 0x3030303, v8
	ds_read2_b32 v[8:9], v10 offset0:2 offset1:3
	s_and_b32 s17, s15, -16
	s_add_i32 s17, s15, s17
	v_add_u32_e32 v123, s17, v129
	v_mov_b32_e32 v205, 0
	s_waitcnt lgkmcnt(0)
	v_ashrrev_i32_e32 v8, s16, v8
	v_and_b32_e32 v173, 0x3030303, v8
	v_ashrrev_i32_e32 v8, s16, v9
	v_and_b32_e32 v174, 0x3030303, v8
	ds_read2_b32 v[8:9], v10 offset0:4 offset1:5
	v_mov_b32_e32 v209, 0
	v_mov_b32_e32 v198, 0
	;; [unrolled: 1-line block ×4, first 2 shown]
	s_waitcnt lgkmcnt(0)
	v_ashrrev_i32_e32 v8, s16, v8
	v_and_b32_e32 v164, 0x3030303, v8
	v_ashrrev_i32_e32 v8, s16, v9
	v_and_b32_e32 v165, 0x3030303, v8
	ds_read2_b32 v[8:9], v10 offset0:6 offset1:7
	v_dot4c_i32_i8_e32 v198, v164, v0
	v_dot4c_i32_i8_e32 v122, v175, v4
	;; [unrolled: 1-line block ×4, first 2 shown]
	s_waitcnt lgkmcnt(0)
	v_ashrrev_i32_e32 v8, s16, v8
	v_and_b32_e32 v166, 0x3030303, v8
	v_ashrrev_i32_e32 v8, s16, v9
	v_and_b32_e32 v167, 0x3030303, v8
	v_add3_u32 v8, s18, v149, v150
	ds_read_b32 v8, v8
	v_dot4c_i32_i8_e32 v198, v166, v2
	v_dot4c_i32_i8_e32 v122, v173, v6
	;; [unrolled: 1-line block ×4, first 2 shown]
	s_waitcnt lgkmcnt(0)
	v_cvt_f32_f16_e32 v108, v8
	v_cvt_f32_f16_sdwa v110, v8 dst_sel:DWORD dst_unused:UNUSED_PAD src0_sel:WORD_1
	v_add_u32_e32 v8, 0x1080, v10
	ds_read2_b32 v[8:9], v8 offset1:1
	v_add_u32_e32 v199, s17, v135
                                        ; kill: def $vgpr201 killed $sgpr0 killed $exec
	v_add_u32_e32 v197, s17, v131
	v_add_u32_e32 v203, s17, v133
	v_mov_b32_e32 v204, 0
	s_waitcnt lgkmcnt(0)
	v_ashrrev_i32_e32 v8, s16, v8
	v_and_b32_e32 v183, 0x3030303, v8
	v_ashrrev_i32_e32 v8, s16, v9
	v_and_b32_e32 v176, 0x3030303, v8
	v_add_u32_e32 v8, 0x1088, v10
	ds_read2_b32 v[8:9], v8 offset1:1
	v_mov_b32_e32 v210, 0
	v_mov_b32_e32 v202, 0
	v_dot4c_i32_i8_e32 v202, v183, v4
	v_dot4c_i32_i8_e32 v202, v176, v5
	s_waitcnt lgkmcnt(0)
	v_ashrrev_i32_e32 v8, s16, v8
	v_and_b32_e32 v179, 0x3030303, v8
	v_ashrrev_i32_e32 v8, s16, v9
	v_and_b32_e32 v180, 0x3030303, v8
	v_add_u32_e32 v8, 0x1090, v10
	ds_read2_b32 v[8:9], v8 offset1:1
	v_dot4c_i32_i8_e32 v202, v179, v6
	v_dot4c_i32_i8_e32 v202, v180, v7
	v_mov_b32_e32 v206, 0
	v_mov_b32_e32 v212, 0
	s_waitcnt lgkmcnt(0)
	v_ashrrev_i32_e32 v8, s16, v8
	v_and_b32_e32 v168, 0x3030303, v8
	v_ashrrev_i32_e32 v8, s16, v9
	v_and_b32_e32 v169, 0x3030303, v8
	v_add_u32_e32 v8, 0x1098, v10
	ds_read2_b32 v[8:9], v8 offset1:1
	v_dot4c_i32_i8_e32 v204, v168, v0
	v_dot4c_i32_i8_e32 v204, v169, v1
	v_mov_b32_e32 v207, 0
	v_mov_b32_e32 v196, 0
	s_waitcnt lgkmcnt(0)
	v_ashrrev_i32_e32 v8, s16, v8
	v_and_b32_e32 v170, 0x3030303, v8
	v_ashrrev_i32_e32 v8, s16, v9
	v_and_b32_e32 v171, 0x3030303, v8
	v_add3_u32 v8, s18, v151, v152
	ds_read_b32 v8, v8
	v_dot4c_i32_i8_e32 v204, v170, v2
	v_dot4c_i32_i8_e32 v204, v171, v3
	v_mov_b32_e32 v208, 0
	v_mov_b32_e32 v213, 0
	s_waitcnt lgkmcnt(0)
	v_cvt_f32_f16_e32 v112, v8
	v_cvt_f32_f16_sdwa v114, v8 dst_sel:DWORD dst_unused:UNUSED_PAD src0_sel:WORD_1
	v_add_u32_e32 v8, 0x2100, v10
	ds_read2_b32 v[8:9], v8 offset1:1
	v_mov_b32_e32 v214, 0
	s_waitcnt lgkmcnt(0)
	v_ashrrev_i32_e32 v8, s16, v8
	v_and_b32_e32 v187, 0x3030303, v8
	v_ashrrev_i32_e32 v8, s16, v9
	v_and_b32_e32 v184, 0x3030303, v8
	v_add_u32_e32 v8, 0x2108, v10
	ds_read2_b32 v[8:9], v8 offset1:1
	v_dot4c_i32_i8_e32 v196, v187, v4
	v_dot4c_i32_i8_e32 v196, v184, v5
	s_waitcnt lgkmcnt(0)
	v_ashrrev_i32_e32 v8, s16, v8
	v_and_b32_e32 v185, 0x3030303, v8
	v_ashrrev_i32_e32 v8, s16, v9
	v_and_b32_e32 v186, 0x3030303, v8
	v_add_u32_e32 v8, 0x2110, v10
	ds_read2_b32 v[8:9], v8 offset1:1
	v_dot4c_i32_i8_e32 v196, v185, v6
	v_dot4c_i32_i8_e32 v196, v186, v7
	;; [unrolled: 9-line block ×3, first 2 shown]
	s_waitcnt lgkmcnt(0)
	v_ashrrev_i32_e32 v8, s16, v8
	v_and_b32_e32 v181, 0x3030303, v8
	v_ashrrev_i32_e32 v8, s16, v9
	v_and_b32_e32 v182, 0x3030303, v8
	v_add3_u32 v8, s18, v153, v154
	ds_read_b32 v8, v8
	v_dot4c_i32_i8_e32 v206, v181, v2
	v_dot4c_i32_i8_e32 v206, v182, v3
	s_waitcnt lgkmcnt(0)
	v_cvt_f32_f16_e32 v116, v8
	v_cvt_f32_f16_sdwa v118, v8 dst_sel:DWORD dst_unused:UNUSED_PAD src0_sel:WORD_1
	v_add_u32_e32 v8, 0x3180, v10
	ds_read2_b32 v[8:9], v8 offset1:1
	s_waitcnt lgkmcnt(0)
	v_ashrrev_i32_e32 v8, s16, v8
	v_and_b32_e32 v191, 0x3030303, v8
	v_ashrrev_i32_e32 v8, s16, v9
	v_and_b32_e32 v188, 0x3030303, v8
	v_add_u32_e32 v8, 0x3188, v10
	ds_read2_b32 v[8:9], v8 offset1:1
	v_dot4c_i32_i8_e32 v207, v191, v4
	v_dot4c_i32_i8_e32 v207, v188, v5
	s_waitcnt lgkmcnt(0)
	v_ashrrev_i32_e32 v8, s16, v8
	v_and_b32_e32 v189, 0x3030303, v8
	v_ashrrev_i32_e32 v8, s16, v9
	v_and_b32_e32 v190, 0x3030303, v8
	v_add_u32_e32 v8, 0x3190, v10
	ds_read2_b32 v[8:9], v8 offset1:1
	v_dot4c_i32_i8_e32 v207, v189, v6
	v_dot4c_i32_i8_e32 v207, v190, v7
	;; [unrolled: 9-line block ×3, first 2 shown]
	s_waitcnt lgkmcnt(0)
	v_ashrrev_i32_e32 v8, s16, v8
	v_and_b32_e32 v162, 0x3030303, v8
	v_ashrrev_i32_e32 v8, s16, v9
	v_and_b32_e32 v163, 0x3030303, v8
	v_add3_u32 v8, s18, v155, v156
	ds_read_b32 v8, v8
	v_dot4c_i32_i8_e32 v208, v162, v2
	v_dot4c_i32_i8_e32 v208, v163, v3
	s_waitcnt lgkmcnt(0)
	v_cvt_f32_f16_e32 v104, v8
	v_cvt_f32_f16_sdwa v106, v8 dst_sel:DWORD dst_unused:UNUSED_PAD src0_sel:WORD_1
	ds_read_b128 v[12:15], v113 offset:1024
	ds_read_b128 v[8:11], v113 offset:1040
	ds_read_u16 v123, v123 offset:25088
	s_waitcnt lgkmcnt(2)
	v_dot4c_i32_i8_e32 v200, v175, v12
	v_dot4c_i32_i8_e32 v200, v172, v13
	s_waitcnt lgkmcnt(0)
	v_bfe_u32 v192, v123, 4, 4
	v_mul_lo_u32 v195, v192, s9
	v_dot4c_i32_i8_e32 v205, v195, v4
	v_dot4c_i32_i8_e32 v209, v195, v12
	;; [unrolled: 1-line block ×3, first 2 shown]
	v_and_b32_sdwa v192, v123, v158 dst_sel:DWORD dst_unused:UNUSED_PAD src0_sel:BYTE_1 src1_sel:DWORD
	v_and_b32_e32 v193, 15, v123
	v_lshrrev_b32_sdwa v123, v157, v123 dst_sel:DWORD dst_unused:UNUSED_PAD src0_sel:DWORD src1_sel:BYTE_1
	v_dot4c_i32_i8_e32 v209, v195, v13
	v_dot4c_i32_i8_e32 v205, v195, v6
	v_mul_lo_u32 v194, v123, s9
	v_dot4c_i32_i8_e32 v209, v195, v14
	v_mov_b32_e32 v123, 0
	v_dot4c_i32_i8_e32 v205, v195, v7
	v_dot4c_i32_i8_e32 v209, v195, v15
	;; [unrolled: 1-line block ×8, first 2 shown]
	v_and_b32_e32 v193, 0xffff, v193
	v_and_b32_e32 v192, 0xffff, v192
	v_dot4c_i32_i8_e32 v205, v194, v1
	v_dot4c_i32_i8_e32 v209, v194, v9
	;; [unrolled: 1-line block ×4, first 2 shown]
	v_mul_lo_u32 v198, v198, v192
	v_mul_lo_u32 v200, v200, v193
	v_dot4c_i32_i8_e32 v209, v194, v10
	v_dot4c_i32_i8_e32 v123, v167, v11
	;; [unrolled: 1-line block ×4, first 2 shown]
	s_nop 0
	v_mad_u64_u32 v[200:201], s[16:17], v123, v192, v[200:201]
	v_mad_u64_u32 v[122:123], s[16:17], v193, v122, v[198:199]
	v_cvt_f32_i32_e32 v123, v122
	v_cvt_f32_i32_e32 v122, v200
	;; [unrolled: 1-line block ×4, first 2 shown]
	ds_read_u16 v199, v199 offset:28160
	v_mov_b32_e32 v209, 0
                                        ; kill: def $vgpr205 killed $sgpr0 killed $exec
	v_pk_mul_f32 v[200:201], v[110:111], v[200:201] op_sel_hi:[0,1]
	v_pk_fma_f32 v[200:201], v[108:109], v[122:123], v[200:201] op_sel_hi:[0,1,1] neg_lo:[0,0,1] neg_hi:[0,0,1]
	v_mov_b32_e32 v123, v120
	ds_read_u16 v120, v197 offset:26112
	v_mov_b32_e32 v122, v121
	v_mov_b32_e32 v121, 0
	v_dot4c_i32_i8_e32 v121, v183, v12
	v_dot4c_i32_i8_e32 v121, v176, v13
	s_waitcnt lgkmcnt(0)
	v_bfe_u32 v197, v120, 4, 4
	v_pk_fma_f32 v[50:51], v[122:123], v[200:201], v[50:51]
	v_dot4c_i32_i8_e32 v121, v179, v14
	v_mul_lo_u32 v201, v197, s9
	v_and_b32_sdwa v197, v120, v158 dst_sel:DWORD dst_unused:UNUSED_PAD src0_sel:BYTE_1 src1_sel:DWORD
	v_and_b32_e32 v198, 15, v120
	v_dot4c_i32_i8_e32 v121, v180, v15
	v_dot4c_i32_i8_e32 v209, v201, v4
	v_and_b32_e32 v198, 0xffff, v198
	v_and_b32_e32 v197, 0xffff, v197
	v_lshrrev_b32_sdwa v120, v157, v120 dst_sel:DWORD dst_unused:UNUSED_PAD src0_sel:DWORD src1_sel:BYTE_1
	v_dot4c_i32_i8_e32 v210, v201, v12
	v_dot4c_i32_i8_e32 v209, v201, v5
	v_mul_lo_u32 v200, v120, s9
	v_dot4c_i32_i8_e32 v210, v201, v13
	v_mul_lo_u32 v120, v204, v197
	v_mul_lo_u32 v204, v121, v198
	v_mov_b32_e32 v121, 0
	v_dot4c_i32_i8_e32 v209, v201, v6
	v_dot4c_i32_i8_e32 v210, v201, v14
	;; [unrolled: 1-line block ×15, first 2 shown]
	v_mad_u64_u32 v[204:205], s[16:17], v121, v197, v[204:205]
                                        ; kill: def $vgpr121 killed $sgpr0 killed $exec
	v_dot4c_i32_i8_e32 v210, v200, v11
	v_mad_u64_u32 v[120:121], s[16:17], v198, v202, v[120:121]
	v_cvt_f32_i32_e32 v121, v120
	v_cvt_f32_i32_e32 v120, v204
	;; [unrolled: 1-line block ×4, first 2 shown]
	v_mov_b32_e32 v209, 0
	v_pk_mul_f32 v[204:205], v[114:115], v[204:205] op_sel_hi:[0,1]
	v_pk_fma_f32 v[120:121], v[112:113], v[120:121], v[204:205] op_sel_hi:[0,1,1] neg_lo:[0,0,1] neg_hi:[0,0,1]
	v_pk_fma_f32 v[66:67], v[122:123], v[120:121], v[66:67]
	ds_read_u16 v120, v203 offset:27136
	v_mov_b32_e32 v121, 0
	v_dot4c_i32_i8_e32 v121, v187, v12
	v_dot4c_i32_i8_e32 v121, v184, v13
	;; [unrolled: 1-line block ×3, first 2 shown]
	s_waitcnt lgkmcnt(0)
	v_bfe_u32 v202, v120, 4, 4
	v_mul_lo_u32 v205, v202, s9
	v_and_b32_sdwa v202, v120, v158 dst_sel:DWORD dst_unused:UNUSED_PAD src0_sel:BYTE_1 src1_sel:DWORD
	v_and_b32_e32 v203, 15, v120
	v_dot4c_i32_i8_e32 v121, v186, v15
	v_dot4c_i32_i8_e32 v209, v205, v4
	v_and_b32_e32 v203, 0xffff, v203
	v_and_b32_e32 v202, 0xffff, v202
	v_lshrrev_b32_sdwa v120, v157, v120 dst_sel:DWORD dst_unused:UNUSED_PAD src0_sel:DWORD src1_sel:BYTE_1
	v_dot4c_i32_i8_e32 v212, v205, v12
	v_dot4c_i32_i8_e32 v209, v205, v5
	v_mul_lo_u32 v204, v120, s9
	v_dot4c_i32_i8_e32 v212, v205, v13
	v_mul_lo_u32 v120, v206, v202
	v_mul_lo_u32 v206, v121, v203
	v_mov_b32_e32 v121, 0
	v_dot4c_i32_i8_e32 v209, v205, v6
	v_dot4c_i32_i8_e32 v212, v205, v14
	;; [unrolled: 1-line block ×15, first 2 shown]
	v_mad_u64_u32 v[210:211], s[16:17], v121, v202, v[206:207]
                                        ; kill: def $vgpr121 killed $sgpr0 killed $exec
	v_dot4c_i32_i8_e32 v212, v204, v11
	v_mad_u64_u32 v[120:121], s[16:17], v203, v196, v[120:121]
	v_cvt_f32_i32_e32 v121, v120
	v_cvt_f32_i32_e32 v120, v210
	;; [unrolled: 1-line block ×4, first 2 shown]
	v_mov_b32_e32 v209, 0
	v_mov_b32_e32 v212, 0
	v_pk_mul_f32 v[210:211], v[118:119], v[210:211] op_sel_hi:[0,1]
	v_pk_fma_f32 v[120:121], v[116:117], v[120:121], v[210:211] op_sel_hi:[0,1,1] neg_lo:[0,0,1] neg_hi:[0,0,1]
	v_pk_fma_f32 v[58:59], v[122:123], v[120:121], v[58:59]
	v_bfe_u32 v121, v199, 4, 4
	v_mul_lo_u32 v206, v121, s9
	v_dot4c_i32_i8_e32 v209, v206, v4
	v_dot4c_i32_i8_e32 v209, v206, v5
	v_and_b32_sdwa v4, v199, v158 dst_sel:DWORD dst_unused:UNUSED_PAD src0_sel:BYTE_1 src1_sel:DWORD
	v_dot4c_i32_i8_e32 v209, v206, v6
	v_and_b32_e32 v121, 0xffff, v4
	v_lshrrev_b32_sdwa v4, v157, v199 dst_sel:DWORD dst_unused:UNUSED_PAD src0_sel:DWORD src1_sel:BYTE_1
	v_dot4c_i32_i8_e32 v209, v206, v7
	v_and_b32_e32 v5, 15, v199
	v_mul_lo_u32 v199, v4, s9
	v_mov_b32_e32 v4, 0
	v_mov_b32_e32 v120, 0
	v_dot4c_i32_i8_e32 v209, v199, v0
	v_dot4c_i32_i8_e32 v4, v206, v12
	;; [unrolled: 1-line block ×5, first 2 shown]
	v_mov_b32_e32 v1, 0
	v_dot4c_i32_i8_e32 v120, v188, v13
	v_dot4c_i32_i8_e32 v4, v206, v14
	;; [unrolled: 1-line block ×7, first 2 shown]
	v_and_b32_e32 v196, 0xffff, v5
	v_dot4c_i32_i8_e32 v209, v199, v2
	v_dot4c_i32_i8_e32 v4, v199, v8
	;; [unrolled: 1-line block ×4, first 2 shown]
	v_mul_lo_u32 v2, v120, v196
	v_dot4c_i32_i8_e32 v4, v199, v9
	v_dot4c_i32_i8_e32 v1, v163, v11
                                        ; kill: def $vgpr3 killed $sgpr0 killed $exec
	v_mul_lo_u32 v0, v208, v121
	v_dot4c_i32_i8_e32 v4, v199, v10
	v_dot4c_i32_i8_e32 v4, v199, v11
	v_mad_u64_u32 v[2:3], s[16:17], v1, v121, v[2:3]
                                        ; kill: def $vgpr1 killed $sgpr0 killed $exec
	v_cvt_f32_i32_e32 v3, v209
	v_mad_u64_u32 v[0:1], s[16:17], v196, v207, v[0:1]
	v_cvt_f32_i32_e32 v1, v0
	v_cvt_f32_i32_e32 v0, v2
	;; [unrolled: 1-line block ×3, first 2 shown]
	v_mov_b32_e32 v10, 0
	v_mov_b32_e32 v207, 0
	;; [unrolled: 1-line block ×3, first 2 shown]
	v_pk_mul_f32 v[2:3], v[106:107], v[2:3] op_sel_hi:[0,1]
	v_pk_fma_f32 v[0:1], v[104:105], v[0:1], v[2:3] op_sel_hi:[0,1,1] neg_lo:[0,0,1] neg_hi:[0,0,1]
	v_pk_fma_f32 v[52:53], v[122:123], v[0:1], v[52:53]
	ds_read2_b32 v[8:9], v115 offset0:64 offset1:96
	ds_read_b128 v[4:7], v113 offset:2048
	ds_read_b128 v[0:3], v113 offset:2064
	v_mov_b32_e32 v11, 0
	v_mov_b32_e32 v123, 0
	v_mov_b32_e32 v122, 0
	s_waitcnt lgkmcnt(1)
	v_dot4c_i32_i8_e32 v207, v195, v4
	s_waitcnt lgkmcnt(0)
	v_dot4c_i32_i8_e32 v10, v164, v0
	v_dot4c_i32_i8_e32 v10, v165, v1
	;; [unrolled: 1-line block ×7, first 2 shown]
	v_mul_lo_u32 v120, v10, v192
	v_mov_b32_e32 v10, 0
	v_dot4c_i32_i8_e32 v10, v168, v0
	v_dot4c_i32_i8_e32 v10, v169, v1
	;; [unrolled: 1-line block ×7, first 2 shown]
	v_mov_b32_e32 v13, 0
	v_dot4c_i32_i8_e32 v11, v206, v5
	v_dot4c_i32_i8_e32 v123, v175, v4
	;; [unrolled: 1-line block ×5, first 2 shown]
	v_mul_lo_u32 v14, v10, v197
	v_dot4c_i32_i8_e32 v122, v187, v4
	v_dot4c_i32_i8_e32 v15, v205, v6
	v_mov_b32_e32 v10, 0
	v_dot4c_i32_i8_e32 v13, v191, v4
	v_dot4c_i32_i8_e32 v11, v206, v6
	v_mov_b32_e32 v4, 0
	v_dot4c_i32_i8_e32 v207, v195, v7
	v_dot4c_i32_i8_e32 v213, v201, v7
	;; [unrolled: 1-line block ×38, first 2 shown]
	v_mul_lo_u32 v12, v10, v202
	v_dot4c_i32_i8_e32 v13, v190, v7
	v_dot4c_i32_i8_e32 v11, v199, v3
	v_mul_lo_u32 v10, v4, v121
	ds_read_b128 v[4:7], v113 offset:3072
	ds_read_b128 v[0:3], v113 offset:3088
	v_mov_b32_e32 v208, 0
	v_mov_b32_e32 v209, 0
	v_mad_u64_u32 v[210:211], s[16:17], v123, v193, v[120:121]
	s_waitcnt lgkmcnt(1)
	v_dot4c_i32_i8_e32 v214, v195, v4
	v_dot4c_i32_i8_e32 v214, v195, v5
	v_dot4c_i32_i8_e32 v208, v175, v4
	v_dot4c_i32_i8_e32 v214, v195, v6
	v_dot4c_i32_i8_e32 v208, v172, v5
	v_dot4c_i32_i8_e32 v214, v195, v7
	s_waitcnt lgkmcnt(0)
	v_dot4c_i32_i8_e32 v209, v164, v0
	v_dot4c_i32_i8_e32 v208, v173, v6
	;; [unrolled: 1-line block ×8, first 2 shown]
	v_mul_lo_u32 v208, v208, v193
	v_dot4c_i32_i8_e32 v209, v167, v3
	v_mov_b32_e32 v123, 0
	v_dot4c_i32_i8_e32 v214, v194, v3
	v_mov_b32_e32 v120, 0
	v_mad_u64_u32 v[208:209], s[16:17], v209, v192, v[208:209]
	v_dot4c_i32_i8_e32 v123, v201, v4
	v_cvt_f32_i32_e32 v209, v208
	v_cvt_f32_i32_e32 v208, v210
	;; [unrolled: 1-line block ×4, first 2 shown]
	v_dot4c_i32_i8_e32 v120, v183, v4
	v_dot4c_i32_i8_e32 v123, v201, v5
	v_mov_b32_e32 v207, 0
	v_dot4c_i32_i8_e32 v120, v176, v5
	v_dot4c_i32_i8_e32 v123, v201, v6
	;; [unrolled: 1-line block ×9, first 2 shown]
	v_pk_mul_f32 v[210:211], v[110:111], v[210:211] op_sel_hi:[0,1]
	v_mul_lo_u32 v120, v120, v198
	v_dot4c_i32_i8_e32 v123, v200, v1
	v_dot4c_i32_i8_e32 v207, v171, v3
	v_pk_fma_f32 v[208:209], v[108:109], v[208:209], v[210:211] op_sel_hi:[0,1,1] neg_lo:[0,0,1] neg_hi:[0,0,1]
	v_dot4c_i32_i8_e32 v123, v200, v2
	v_pk_fma_f32 v[38:39], v[8:9], v[208:209], v[38:39]
	v_mad_u64_u32 v[210:211], s[16:17], v207, v197, v[120:121]
	v_mov_b32_e32 v120, 0
	v_dot4c_i32_i8_e32 v123, v200, v3
	v_mad_u64_u32 v[208:209], s[16:17], v212, v198, v[14:15]
	v_dot4c_i32_i8_e32 v120, v205, v4
	v_cvt_f32_i32_e32 v209, v210
	v_cvt_f32_i32_e32 v211, v123
	v_cvt_f32_i32_e32 v210, v213
	v_mov_b32_e32 v14, 0
	v_dot4c_i32_i8_e32 v120, v205, v5
	v_cvt_f32_i32_e32 v208, v208
	v_dot4c_i32_i8_e32 v14, v187, v4
	v_dot4c_i32_i8_e32 v120, v205, v6
	v_mov_b32_e32 v207, 0
	v_dot4c_i32_i8_e32 v14, v184, v5
	v_dot4c_i32_i8_e32 v120, v205, v7
	;; [unrolled: 1-line block ×6, first 2 shown]
	v_pk_mul_f32 v[210:211], v[114:115], v[210:211] op_sel_hi:[0,1]
	v_dot4c_i32_i8_e32 v14, v186, v7
	v_dot4c_i32_i8_e32 v120, v204, v1
	;; [unrolled: 1-line block ×3, first 2 shown]
	v_pk_fma_f32 v[208:209], v[112:113], v[208:209], v[210:211] op_sel_hi:[0,1,1] neg_lo:[0,0,1] neg_hi:[0,0,1]
	v_mul_lo_u32 v14, v14, v203
	v_dot4c_i32_i8_e32 v120, v204, v2
	v_dot4c_i32_i8_e32 v207, v182, v3
	v_pk_fma_f32 v[36:37], v[8:9], v[208:209], v[36:37]
	v_dot4c_i32_i8_e32 v120, v204, v3
	v_mad_u64_u32 v[122:123], s[16:17], v122, v203, v[12:13]
	v_mad_u64_u32 v[208:209], s[16:17], v207, v202, v[14:15]
	v_cvt_f32_i32_e32 v123, v208
	v_cvt_f32_i32_e32 v209, v120
	;; [unrolled: 1-line block ×4, first 2 shown]
	v_mov_b32_e32 v12, 0
	v_dot4c_i32_i8_e32 v12, v191, v4
	v_pk_mul_f32 v[14:15], v[118:119], v[208:209] op_sel_hi:[0,1]
	v_pk_fma_f32 v[14:15], v[116:117], v[122:123], v[14:15] op_sel_hi:[0,1,1] neg_lo:[0,0,1] neg_hi:[0,0,1]
	v_pk_fma_f32 v[34:35], v[8:9], v[14:15], v[34:35]
	v_mov_b32_e32 v14, 0
	v_dot4c_i32_i8_e32 v14, v206, v4
	v_dot4c_i32_i8_e32 v14, v206, v5
	;; [unrolled: 1-line block ×4, first 2 shown]
	v_mov_b32_e32 v5, 0
	v_dot4c_i32_i8_e32 v14, v206, v7
	v_dot4c_i32_i8_e32 v5, v160, v0
	;; [unrolled: 1-line block ×9, first 2 shown]
	v_mul_lo_u32 v4, v12, v196
	v_dot4c_i32_i8_e32 v5, v163, v3
	v_dot4c_i32_i8_e32 v14, v199, v3
	v_mad_u64_u32 v[0:1], s[16:17], v13, v196, v[10:11]
	s_nop 0
	v_mad_u64_u32 v[2:3], s[16:17], v5, v121, v[4:5]
	v_cvt_f32_i32_e32 v1, v2
	v_cvt_f32_i32_e32 v3, v14
	;; [unrolled: 1-line block ×4, first 2 shown]
	v_mov_b32_e32 v10, 0
	v_mov_b32_e32 v207, 0
	v_pk_mul_f32 v[2:3], v[106:107], v[2:3] op_sel_hi:[0,1]
	v_pk_fma_f32 v[0:1], v[104:105], v[0:1], v[2:3] op_sel_hi:[0,1,1] neg_lo:[0,0,1] neg_hi:[0,0,1]
	v_pk_fma_f32 v[32:33], v[8:9], v[0:1], v[32:33]
	ds_read2_b32 v[8:9], v115 offset0:128 offset1:160
	ds_read_b128 v[4:7], v113 offset:4096
	ds_read_b128 v[0:3], v113 offset:4112
	v_mov_b32_e32 v213, 0
	v_mov_b32_e32 v15, 0
	;; [unrolled: 1-line block ×3, first 2 shown]
	s_waitcnt lgkmcnt(1)
	v_dot4c_i32_i8_e32 v207, v195, v4
	s_waitcnt lgkmcnt(0)
	v_dot4c_i32_i8_e32 v10, v164, v0
	v_dot4c_i32_i8_e32 v10, v165, v1
	;; [unrolled: 1-line block ×7, first 2 shown]
	v_mul_lo_u32 v120, v10, v192
	v_mov_b32_e32 v10, 0
	v_dot4c_i32_i8_e32 v10, v168, v0
	v_dot4c_i32_i8_e32 v10, v169, v1
	;; [unrolled: 1-line block ×3, first 2 shown]
	v_mov_b32_e32 v123, 0
	v_dot4c_i32_i8_e32 v207, v195, v5
	v_mov_b32_e32 v212, 0
	v_dot4c_i32_i8_e32 v213, v201, v5
	v_dot4c_i32_i8_e32 v10, v171, v3
	v_mov_b32_e32 v122, 0
	v_dot4c_i32_i8_e32 v15, v205, v5
	v_mov_b32_e32 v13, 0
	v_dot4c_i32_i8_e32 v11, v206, v5
	v_dot4c_i32_i8_e32 v123, v175, v4
	;; [unrolled: 1-line block ×5, first 2 shown]
	v_mul_lo_u32 v14, v10, v197
	v_dot4c_i32_i8_e32 v122, v187, v4
	v_dot4c_i32_i8_e32 v15, v205, v6
	v_mov_b32_e32 v10, 0
	v_dot4c_i32_i8_e32 v13, v191, v4
	v_dot4c_i32_i8_e32 v11, v206, v6
	v_mov_b32_e32 v4, 0
	v_dot4c_i32_i8_e32 v207, v195, v7
	v_dot4c_i32_i8_e32 v213, v201, v7
	;; [unrolled: 1-line block ×38, first 2 shown]
	v_mul_lo_u32 v12, v10, v202
	v_dot4c_i32_i8_e32 v13, v190, v7
	v_dot4c_i32_i8_e32 v11, v199, v3
	v_mul_lo_u32 v10, v4, v121
	ds_read_b128 v[4:7], v113 offset:5120
	ds_read_b128 v[0:3], v113 offset:5136
	v_mov_b32_e32 v214, 0
	v_mov_b32_e32 v208, 0
	;; [unrolled: 1-line block ×3, first 2 shown]
	s_waitcnt lgkmcnt(1)
	v_dot4c_i32_i8_e32 v214, v195, v4
	v_dot4c_i32_i8_e32 v214, v195, v5
	;; [unrolled: 1-line block ×6, first 2 shown]
	s_waitcnt lgkmcnt(0)
	v_dot4c_i32_i8_e32 v209, v164, v0
	v_dot4c_i32_i8_e32 v208, v173, v6
	;; [unrolled: 1-line block ×8, first 2 shown]
	v_mul_lo_u32 v208, v208, v193
	v_dot4c_i32_i8_e32 v209, v167, v3
	v_mad_u64_u32 v[210:211], s[16:17], v123, v193, v[120:121]
	v_mov_b32_e32 v123, 0
	v_dot4c_i32_i8_e32 v214, v194, v3
	v_mad_u64_u32 v[208:209], s[16:17], v209, v192, v[208:209]
	v_mov_b32_e32 v120, 0
	v_dot4c_i32_i8_e32 v123, v201, v4
	v_cvt_f32_i32_e32 v209, v208
	v_cvt_f32_i32_e32 v208, v210
	;; [unrolled: 1-line block ×4, first 2 shown]
	v_dot4c_i32_i8_e32 v120, v183, v4
	v_dot4c_i32_i8_e32 v123, v201, v5
	v_mov_b32_e32 v207, 0
	v_dot4c_i32_i8_e32 v120, v176, v5
	v_dot4c_i32_i8_e32 v123, v201, v6
	;; [unrolled: 1-line block ×9, first 2 shown]
	v_pk_mul_f32 v[210:211], v[110:111], v[210:211] op_sel_hi:[0,1]
	v_mul_lo_u32 v120, v120, v198
	v_dot4c_i32_i8_e32 v123, v200, v1
	v_dot4c_i32_i8_e32 v207, v171, v3
	v_pk_fma_f32 v[208:209], v[108:109], v[208:209], v[210:211] op_sel_hi:[0,1,1] neg_lo:[0,0,1] neg_hi:[0,0,1]
	v_dot4c_i32_i8_e32 v123, v200, v2
	v_pk_fma_f32 v[30:31], v[8:9], v[208:209], v[30:31]
	v_mad_u64_u32 v[210:211], s[16:17], v207, v197, v[120:121]
	v_mov_b32_e32 v120, 0
	v_dot4c_i32_i8_e32 v123, v200, v3
	v_mad_u64_u32 v[208:209], s[16:17], v212, v198, v[14:15]
	v_dot4c_i32_i8_e32 v120, v205, v4
	v_cvt_f32_i32_e32 v209, v210
	v_cvt_f32_i32_e32 v211, v123
	v_cvt_f32_i32_e32 v210, v213
	v_mov_b32_e32 v14, 0
	v_dot4c_i32_i8_e32 v120, v205, v5
	v_cvt_f32_i32_e32 v208, v208
	v_dot4c_i32_i8_e32 v14, v187, v4
	v_dot4c_i32_i8_e32 v120, v205, v6
	v_mov_b32_e32 v207, 0
	v_dot4c_i32_i8_e32 v14, v184, v5
	v_dot4c_i32_i8_e32 v120, v205, v7
	;; [unrolled: 1-line block ×6, first 2 shown]
	v_pk_mul_f32 v[210:211], v[114:115], v[210:211] op_sel_hi:[0,1]
	v_dot4c_i32_i8_e32 v14, v186, v7
	v_dot4c_i32_i8_e32 v120, v204, v1
	;; [unrolled: 1-line block ×3, first 2 shown]
	v_pk_fma_f32 v[208:209], v[112:113], v[208:209], v[210:211] op_sel_hi:[0,1,1] neg_lo:[0,0,1] neg_hi:[0,0,1]
	v_mul_lo_u32 v14, v14, v203
	v_dot4c_i32_i8_e32 v120, v204, v2
	v_dot4c_i32_i8_e32 v207, v182, v3
	v_pk_fma_f32 v[28:29], v[8:9], v[208:209], v[28:29]
	v_dot4c_i32_i8_e32 v120, v204, v3
	v_mad_u64_u32 v[122:123], s[16:17], v122, v203, v[12:13]
	v_mad_u64_u32 v[208:209], s[16:17], v207, v202, v[14:15]
	v_cvt_f32_i32_e32 v123, v208
	v_cvt_f32_i32_e32 v209, v120
	;; [unrolled: 1-line block ×4, first 2 shown]
	v_mov_b32_e32 v12, 0
	v_dot4c_i32_i8_e32 v12, v191, v4
	v_pk_mul_f32 v[14:15], v[118:119], v[208:209] op_sel_hi:[0,1]
	v_pk_fma_f32 v[14:15], v[116:117], v[122:123], v[14:15] op_sel_hi:[0,1,1] neg_lo:[0,0,1] neg_hi:[0,0,1]
	v_pk_fma_f32 v[26:27], v[8:9], v[14:15], v[26:27]
	v_mov_b32_e32 v14, 0
	v_dot4c_i32_i8_e32 v14, v206, v4
	v_dot4c_i32_i8_e32 v14, v206, v5
	;; [unrolled: 1-line block ×4, first 2 shown]
	v_mov_b32_e32 v5, 0
	v_dot4c_i32_i8_e32 v14, v206, v7
	v_dot4c_i32_i8_e32 v5, v160, v0
	;; [unrolled: 1-line block ×9, first 2 shown]
	v_mul_lo_u32 v4, v12, v196
	v_dot4c_i32_i8_e32 v5, v163, v3
	v_dot4c_i32_i8_e32 v14, v199, v3
	v_mad_u64_u32 v[0:1], s[16:17], v13, v196, v[10:11]
	s_nop 0
	v_mad_u64_u32 v[2:3], s[16:17], v5, v121, v[4:5]
	v_cvt_f32_i32_e32 v1, v2
	v_cvt_f32_i32_e32 v3, v14
	v_cvt_f32_i32_e32 v2, v11
	v_cvt_f32_i32_e32 v0, v0
	v_mov_b32_e32 v10, 0
	v_mov_b32_e32 v207, 0
	v_pk_mul_f32 v[2:3], v[106:107], v[2:3] op_sel_hi:[0,1]
	v_pk_fma_f32 v[0:1], v[104:105], v[0:1], v[2:3] op_sel_hi:[0,1,1] neg_lo:[0,0,1] neg_hi:[0,0,1]
	v_pk_fma_f32 v[24:25], v[8:9], v[0:1], v[24:25]
	ds_read2_b32 v[8:9], v115 offset0:192 offset1:224
	ds_read_b128 v[4:7], v113 offset:6144
	ds_read_b128 v[0:3], v113 offset:6160
	v_mov_b32_e32 v209, 0
	v_mov_b32_e32 v15, 0
	;; [unrolled: 1-line block ×3, first 2 shown]
	s_waitcnt lgkmcnt(1)
	v_dot4c_i32_i8_e32 v207, v195, v4
	s_waitcnt lgkmcnt(0)
	v_dot4c_i32_i8_e32 v10, v164, v0
	v_dot4c_i32_i8_e32 v10, v165, v1
	;; [unrolled: 1-line block ×7, first 2 shown]
	v_mul_lo_u32 v120, v10, v192
	v_mov_b32_e32 v10, 0
	v_dot4c_i32_i8_e32 v10, v168, v0
	v_dot4c_i32_i8_e32 v10, v169, v1
	;; [unrolled: 1-line block ×3, first 2 shown]
	v_mov_b32_e32 v123, 0
	v_dot4c_i32_i8_e32 v207, v195, v5
	v_mov_b32_e32 v208, 0
	v_dot4c_i32_i8_e32 v209, v201, v5
	v_dot4c_i32_i8_e32 v10, v171, v3
	v_mov_b32_e32 v122, 0
	v_dot4c_i32_i8_e32 v15, v205, v5
	v_mov_b32_e32 v13, 0
	v_dot4c_i32_i8_e32 v11, v206, v5
	v_dot4c_i32_i8_e32 v123, v175, v4
	;; [unrolled: 1-line block ×5, first 2 shown]
	v_mul_lo_u32 v14, v10, v197
	v_dot4c_i32_i8_e32 v122, v187, v4
	v_dot4c_i32_i8_e32 v15, v205, v6
	v_mov_b32_e32 v10, 0
	v_dot4c_i32_i8_e32 v13, v191, v4
	v_dot4c_i32_i8_e32 v11, v206, v6
	v_mov_b32_e32 v4, 0
	v_dot4c_i32_i8_e32 v207, v195, v7
	v_dot4c_i32_i8_e32 v209, v201, v7
	;; [unrolled: 1-line block ×38, first 2 shown]
	v_mul_lo_u32 v12, v10, v202
	v_dot4c_i32_i8_e32 v13, v190, v7
	v_dot4c_i32_i8_e32 v11, v199, v3
	v_mul_lo_u32 v10, v4, v121
	ds_read_b128 v[4:7], v113 offset:7168
	ds_read_b128 v[0:3], v113 offset:7184
	v_mov_b32_e32 v210, 0
	s_waitcnt lgkmcnt(1)
	v_dot4c_i32_i8_e32 v210, v175, v4
	v_mov_b32_e32 v175, 0
	v_dot4c_i32_i8_e32 v175, v195, v4
	v_dot4c_i32_i8_e32 v210, v172, v5
	;; [unrolled: 1-line block ×5, first 2 shown]
	v_mov_b32_e32 v173, 0
	v_dot4c_i32_i8_e32 v175, v195, v7
	s_waitcnt lgkmcnt(0)
	v_dot4c_i32_i8_e32 v173, v164, v0
	v_dot4c_i32_i8_e32 v175, v194, v0
	;; [unrolled: 1-line block ×7, first 2 shown]
	v_mul_lo_u32 v172, v210, v193
	v_dot4c_i32_i8_e32 v173, v167, v3
	v_dot4c_i32_i8_e32 v175, v194, v3
	v_mad_u64_u32 v[164:165], s[16:17], v123, v193, v[120:121]
	s_nop 0
	v_mad_u64_u32 v[166:167], s[16:17], v173, v192, v[172:173]
	v_cvt_f32_i32_e32 v165, v166
	v_cvt_f32_i32_e32 v167, v175
	v_cvt_f32_i32_e32 v166, v207
	v_cvt_f32_i32_e32 v164, v164
	v_mov_b32_e32 v120, 0
	v_dot4c_i32_i8_e32 v120, v168, v0
	v_pk_mul_f32 v[166:167], v[110:111], v[166:167] op_sel_hi:[0,1]
	v_mov_b32_e32 v110, 0
	v_pk_fma_f32 v[164:165], v[108:109], v[164:165], v[166:167] op_sel_hi:[0,1,1] neg_lo:[0,0,1] neg_hi:[0,0,1]
	v_mov_b32_e32 v108, 0
	v_dot4c_i32_i8_e32 v110, v201, v4
	v_dot4c_i32_i8_e32 v108, v183, v4
	;; [unrolled: 1-line block ×12, first 2 shown]
	v_mul_lo_u32 v108, v108, v198
	v_dot4c_i32_i8_e32 v120, v171, v3
	v_dot4c_i32_i8_e32 v110, v200, v2
	v_pk_fma_f32 v[22:23], v[8:9], v[164:165], v[22:23]
	v_dot4c_i32_i8_e32 v110, v200, v3
	v_mad_u64_u32 v[166:167], s[16:17], v120, v197, v[108:109]
	v_mov_b32_e32 v108, 0
	v_mad_u64_u32 v[164:165], s[16:17], v208, v198, v[14:15]
	v_dot4c_i32_i8_e32 v108, v205, v4
	v_cvt_f32_i32_e32 v165, v166
	v_cvt_f32_i32_e32 v167, v110
	;; [unrolled: 1-line block ×3, first 2 shown]
	v_mov_b32_e32 v14, 0
	v_dot4c_i32_i8_e32 v108, v205, v5
	v_cvt_f32_i32_e32 v164, v164
	v_dot4c_i32_i8_e32 v14, v187, v4
	v_dot4c_i32_i8_e32 v108, v205, v6
	v_mov_b32_e32 v110, 0
	v_dot4c_i32_i8_e32 v14, v184, v5
	v_dot4c_i32_i8_e32 v108, v205, v7
	;; [unrolled: 1-line block ×6, first 2 shown]
	v_pk_mul_f32 v[166:167], v[114:115], v[166:167] op_sel_hi:[0,1]
	v_dot4c_i32_i8_e32 v14, v186, v7
	v_dot4c_i32_i8_e32 v108, v204, v1
	;; [unrolled: 1-line block ×3, first 2 shown]
	v_pk_fma_f32 v[164:165], v[112:113], v[164:165], v[166:167] op_sel_hi:[0,1,1] neg_lo:[0,0,1] neg_hi:[0,0,1]
	v_mul_lo_u32 v14, v14, v203
	v_dot4c_i32_i8_e32 v108, v204, v2
	v_dot4c_i32_i8_e32 v110, v182, v3
	v_pk_fma_f32 v[20:21], v[8:9], v[164:165], v[20:21]
	v_dot4c_i32_i8_e32 v108, v204, v3
	v_mad_u64_u32 v[122:123], s[16:17], v122, v203, v[12:13]
	v_mad_u64_u32 v[164:165], s[16:17], v110, v202, v[14:15]
	v_cvt_f32_i32_e32 v123, v164
	v_cvt_f32_i32_e32 v165, v108
	;; [unrolled: 1-line block ×4, first 2 shown]
	v_mov_b32_e32 v12, 0
	v_dot4c_i32_i8_e32 v12, v191, v4
	v_pk_mul_f32 v[14:15], v[118:119], v[164:165] op_sel_hi:[0,1]
	v_pk_fma_f32 v[14:15], v[116:117], v[122:123], v[14:15] op_sel_hi:[0,1,1] neg_lo:[0,0,1] neg_hi:[0,0,1]
	v_pk_fma_f32 v[18:19], v[8:9], v[14:15], v[18:19]
	v_mov_b32_e32 v14, 0
	v_dot4c_i32_i8_e32 v14, v206, v4
	v_dot4c_i32_i8_e32 v14, v206, v5
	v_dot4c_i32_i8_e32 v12, v188, v5
	v_dot4c_i32_i8_e32 v14, v206, v6
	v_mov_b32_e32 v5, 0
	v_dot4c_i32_i8_e32 v14, v206, v7
	v_dot4c_i32_i8_e32 v5, v160, v0
	;; [unrolled: 1-line block ×9, first 2 shown]
	v_mul_lo_u32 v4, v12, v196
	v_dot4c_i32_i8_e32 v5, v163, v3
	v_dot4c_i32_i8_e32 v14, v199, v3
	v_mad_u64_u32 v[0:1], s[16:17], v13, v196, v[10:11]
	s_nop 0
	v_mad_u64_u32 v[2:3], s[16:17], v5, v121, v[4:5]
	v_cvt_f32_i32_e32 v1, v2
	v_cvt_f32_i32_e32 v3, v14
	v_cvt_f32_i32_e32 v2, v11
	v_cvt_f32_i32_e32 v0, v0
	s_add_i32 s16, s15, 2
	v_add_u32_e32 v115, 4, v115
	v_pk_mul_f32 v[2:3], v[106:107], v[2:3] op_sel_hi:[0,1]
	v_pk_fma_f32 v[0:1], v[104:105], v[0:1], v[2:3] op_sel_hi:[0,1,1] neg_lo:[0,0,1] neg_hi:[0,0,1]
	v_pk_fma_f32 v[16:17], v[8:9], v[0:1], v[16:17]
	v_add_u32_e32 v113, 32, v113
	s_cmp_lt_u32 s15, 14
	s_mov_b32 s15, s16
	s_cbranch_scc1 .LBB167_9
; %bb.10:                               ;   in Loop: Header=BB167_6 Depth=1
	s_or_b32 s15, s4, 1
	s_cmp_ge_i32 s15, s5
	s_barrier
	s_cbranch_scc1 .LBB167_5
; %bb.11:                               ;   in Loop: Header=BB167_6 Depth=1
	v_add_u32_e32 v14, s14, v124
	v_add_u32_e32 v0, v14, v99
	v_add_u32_e32 v2, v14, v101
	v_add_u32_e32 v4, v14, v103
	v_add_u32_e32 v6, v14, v105
	v_add_u32_e32 v104, 8, v159
	v_mad_i64_i32 v[0:1], s[16:17], v0, 36, v[70:71]
	v_mad_i64_i32 v[2:3], s[16:17], v2, 36, v[70:71]
	;; [unrolled: 1-line block ×4, first 2 shown]
	v_add_u32_e32 v8, v14, v107
	v_add_u32_e32 v10, v14, v109
	;; [unrolled: 1-line block ×4, first 2 shown]
	v_mad_u64_u32 v[112:113], s[16:17], v104, 36, s[2:3]
	v_mad_i64_i32 v[8:9], s[16:17], v8, 36, v[70:71]
	v_mad_i64_i32 v[10:11], s[16:17], v10, 36, v[70:71]
	;; [unrolled: 1-line block ×4, first 2 shown]
	global_load_dword v104, v[112:113], off
	s_nop 0
	global_load_dword v0, v[0:1], off offset:4
	s_nop 0
	global_load_dword v1, v[2:3], off offset:4
	;; [unrolled: 2-line block ×3, first 2 shown]
	global_load_dword v3, v[6:7], off offset:4
	s_nop 0
	global_load_dword v4, v[8:9], off offset:4
	global_load_dword v5, v[10:11], off offset:4
	;; [unrolled: 1-line block ×4, first 2 shown]
	s_mov_b32 s15, 16
	v_mov_b32_e32 v9, v128
	v_mov_b32_e32 v11, v127
	s_waitcnt vmcnt(8)
	v_cvt_f32_f16_e32 v8, v104
	s_waitcnt vmcnt(7)
	ds_write_b32 v141, v0
	s_waitcnt vmcnt(6)
	ds_write_b32 v142, v1
	;; [unrolled: 2-line block ×8, first 2 shown]
	ds_write_b32 v69, v8
	s_waitcnt lgkmcnt(0)
	s_barrier
.LBB167_12:                             ;   Parent Loop BB167_6 Depth=1
                                        ; =>  This Inner Loop Header: Depth=2
	s_and_b32 s18, s15, 0x3ffffff8
	v_lshl_add_u32 v12, s18, 2, v126
	ds_read2_b32 v[112:113], v11 offset1:32
	ds_read_b128 v[4:7], v9
	ds_read_b128 v[0:3], v9 offset:16
	ds_read2_b32 v[14:15], v12 offset1:1
	ds_read2_b32 v[114:115], v12 offset0:6 offset1:7
	s_add_i32 s16, s15, -16
	s_lshr_b32 s18, s15, 2
	s_and_b32 s18, s18, 0x3ffffffc
	s_waitcnt lgkmcnt(1)
	v_ashrrev_i32_e32 v8, s16, v14
	v_and_b32_e32 v163, 0x3030303, v8
	v_ashrrev_i32_e32 v8, s16, v15
	ds_read2_b32 v[14:15], v12 offset0:2 offset1:3
	v_and_b32_e32 v122, 0x3030303, v8
	s_and_b32 s17, s15, -16
	s_addk_i32 s18, 0x7280
	s_add_i32 s17, s15, s17
	s_waitcnt lgkmcnt(0)
	v_ashrrev_i32_e32 v8, s16, v14
	v_and_b32_e32 v161, 0x3030303, v8
	v_ashrrev_i32_e32 v8, s16, v15
	ds_read2_b32 v[14:15], v12 offset0:4 offset1:5
	v_and_b32_e32 v162, 0x3030303, v8
	v_add3_u32 v10, s18, v149, v150
	v_add3_u32 v104, s18, v151, v152
	;; [unrolled: 1-line block ×3, first 2 shown]
	s_waitcnt lgkmcnt(0)
	v_ashrrev_i32_e32 v8, s16, v14
	v_and_b32_e32 v13, 0x3030303, v8
	v_ashrrev_i32_e32 v8, s16, v15
	v_and_b32_e32 v15, 0x3030303, v8
	;; [unrolled: 2-line block ×3, first 2 shown]
	v_ashrrev_i32_e32 v8, s16, v115
	v_add_u32_e32 v14, 0x1080, v12
	v_and_b32_e32 v118, 0x3030303, v8
	v_add_u32_e32 v8, s17, v129
	ds_read_b32 v10, v10
	ds_read_u16 v193, v8 offset:25072
	ds_read2_b32 v[120:121], v14 offset1:1
	v_mov_b32_e32 v115, 0
	v_mov_b32_e32 v200, 0
	;; [unrolled: 1-line block ×3, first 2 shown]
	s_waitcnt lgkmcnt(1)
	v_bfe_u32 v8, v193, 4, 4
	s_waitcnt lgkmcnt(0)
	v_ashrrev_i32_e32 v14, s16, v120
	v_and_b32_e32 v171, 0x3030303, v14
	v_ashrrev_i32_e32 v14, s16, v121
	v_and_b32_e32 v168, 0x3030303, v14
	v_add_u32_e32 v14, 0x1088, v12
	ds_read2_b32 v[120:121], v14 offset1:1
	v_mul_lo_u32 v173, v8, s9
	v_mov_b32_e32 v206, 0
	v_dot4c_i32_i8_e32 v115, v173, v4
	v_mov_b32_e32 v114, 0
	s_waitcnt lgkmcnt(0)
	v_ashrrev_i32_e32 v14, s16, v120
	v_and_b32_e32 v169, 0x3030303, v14
	v_ashrrev_i32_e32 v14, s16, v121
	v_and_b32_e32 v170, 0x3030303, v14
	v_add_u32_e32 v14, 0x1090, v12
	ds_read2_b32 v[120:121], v14 offset1:1
	v_dot4c_i32_i8_e32 v115, v173, v5
	v_mov_b32_e32 v199, 0
	v_mov_b32_e32 v202, 0
	;; [unrolled: 1-line block ×3, first 2 shown]
	s_waitcnt lgkmcnt(0)
	v_ashrrev_i32_e32 v14, s16, v120
	v_and_b32_e32 v164, 0x3030303, v14
	v_ashrrev_i32_e32 v14, s16, v121
	v_and_b32_e32 v165, 0x3030303, v14
	v_add_u32_e32 v14, 0x1098, v12
	ds_read2_b32 v[120:121], v14 offset1:1
	v_dot4c_i32_i8_e32 v114, v163, v4
	v_dot4c_i32_i8_e32 v115, v173, v6
	v_lshrrev_b32_sdwa v8, v157, v193 dst_sel:DWORD dst_unused:UNUSED_PAD src0_sel:DWORD src1_sel:BYTE_1
	v_dot4c_i32_i8_e32 v199, v171, v4
	s_waitcnt lgkmcnt(0)
	v_ashrrev_i32_e32 v14, s16, v120
	v_and_b32_e32 v166, 0x3030303, v14
	v_ashrrev_i32_e32 v14, s16, v121
	v_and_b32_e32 v167, 0x3030303, v14
	v_add_u32_e32 v14, s17, v131
	ds_read_b32 v106, v104
	ds_read_u16 v192, v14 offset:26096
	v_dot4c_i32_i8_e32 v115, v173, v7
	v_mul_lo_u32 v174, v8, s9
	v_mov_b32_e32 v196, 0
	v_mov_b32_e32 v204, 0
	s_waitcnt lgkmcnt(0)
	v_bfe_u32 v14, v192, 4, 4
	v_mul_lo_u32 v172, v14, s9
	v_lshrrev_b32_sdwa v14, v157, v192 dst_sel:DWORD dst_unused:UNUSED_PAD src0_sel:DWORD src1_sel:BYTE_1
	v_mul_lo_u32 v185, v14, s9
	v_add_u32_e32 v14, 0x2100, v12
	ds_read2_b32 v[120:121], v14 offset1:1
	v_dot4c_i32_i8_e32 v200, v172, v4
	v_dot4c_i32_i8_e32 v200, v172, v5
	;; [unrolled: 1-line block ×4, first 2 shown]
	s_waitcnt lgkmcnt(0)
	v_ashrrev_i32_e32 v14, s16, v120
	v_and_b32_e32 v182, 0x3030303, v14
	v_ashrrev_i32_e32 v14, s16, v121
	v_and_b32_e32 v179, 0x3030303, v14
	v_add_u32_e32 v14, 0x2108, v12
	ds_read2_b32 v[120:121], v14 offset1:1
	v_dot4c_i32_i8_e32 v202, v182, v4
	v_mov_b32_e32 v207, 0
	v_mov_b32_e32 v208, 0
	v_dot4c_i32_i8_e32 v196, v13, v0
	s_waitcnt lgkmcnt(0)
	v_ashrrev_i32_e32 v14, s16, v120
	v_and_b32_e32 v180, 0x3030303, v14
	v_ashrrev_i32_e32 v14, s16, v121
	v_and_b32_e32 v181, 0x3030303, v14
	v_add_u32_e32 v14, 0x2110, v12
	ds_read2_b32 v[120:121], v14 offset1:1
	v_dot4c_i32_i8_e32 v115, v174, v0
	v_dot4c_i32_i8_e32 v204, v164, v0
	;; [unrolled: 1-line block ×4, first 2 shown]
	s_waitcnt lgkmcnt(0)
	v_ashrrev_i32_e32 v14, s16, v120
	v_and_b32_e32 v175, 0x3030303, v14
	v_ashrrev_i32_e32 v14, s16, v121
	v_and_b32_e32 v176, 0x3030303, v14
	v_add_u32_e32 v14, 0x2118, v12
	ds_read2_b32 v[120:121], v14 offset1:1
	v_dot4c_i32_i8_e32 v207, v175, v0
	v_dot4c_i32_i8_e32 v196, v15, v1
	;; [unrolled: 1-line block ×4, first 2 shown]
	s_waitcnt lgkmcnt(0)
	v_ashrrev_i32_e32 v14, s16, v120
	v_and_b32_e32 v177, 0x3030303, v14
	v_ashrrev_i32_e32 v14, s16, v121
	v_and_b32_e32 v178, 0x3030303, v14
	v_add_u32_e32 v14, s17, v133
	ds_read_b32 v110, v108
	ds_read_u16 v198, v14 offset:27120
	v_dot4c_i32_i8_e32 v204, v165, v1
	v_dot4c_i32_i8_e32 v200, v185, v1
	;; [unrolled: 1-line block ×4, first 2 shown]
	s_waitcnt lgkmcnt(0)
	v_bfe_u32 v14, v198, 4, 4
	v_mul_lo_u32 v184, v14, s9
	v_lshrrev_b32_sdwa v14, v157, v198 dst_sel:DWORD dst_unused:UNUSED_PAD src0_sel:DWORD src1_sel:BYTE_1
	v_mul_lo_u32 v191, v14, s9
	v_add_u32_e32 v14, 0x3180, v12
	ds_read2_b32 v[120:121], v14 offset1:1
	v_dot4c_i32_i8_e32 v203, v184, v4
	v_dot4c_i32_i8_e32 v203, v184, v5
	;; [unrolled: 1-line block ×4, first 2 shown]
	s_waitcnt lgkmcnt(0)
	v_ashrrev_i32_e32 v14, s16, v120
	v_and_b32_e32 v189, 0x3030303, v14
	v_ashrrev_i32_e32 v14, s16, v121
	v_and_b32_e32 v186, 0x3030303, v14
	v_add_u32_e32 v14, 0x3188, v12
	ds_read2_b32 v[120:121], v14 offset1:1
	v_dot4c_i32_i8_e32 v205, v189, v4
	v_dot4c_i32_i8_e32 v203, v191, v0
	;; [unrolled: 1-line block ×4, first 2 shown]
	s_waitcnt lgkmcnt(0)
	v_ashrrev_i32_e32 v14, s16, v120
	v_and_b32_e32 v187, 0x3030303, v14
	v_ashrrev_i32_e32 v14, s16, v121
	v_and_b32_e32 v188, 0x3030303, v14
	v_add_u32_e32 v14, 0x3190, v12
	ds_read2_b32 v[120:121], v14 offset1:1
	v_add_u32_e32 v12, 0x3198, v12
	ds_read2_b32 v[194:195], v12 offset1:1
	v_dot4c_i32_i8_e32 v114, v161, v6
	v_dot4c_i32_i8_e32 v196, v116, v2
	s_waitcnt lgkmcnt(1)
	v_ashrrev_i32_e32 v14, s16, v120
	v_and_b32_e32 v120, 0x3030303, v14
	v_ashrrev_i32_e32 v14, s16, v121
	s_waitcnt lgkmcnt(0)
	v_ashrrev_i32_e32 v12, s16, v194
	v_and_b32_e32 v121, 0x3030303, v14
	v_and_b32_e32 v123, 0x3030303, v12
	v_ashrrev_i32_e32 v12, s16, v195
	v_add3_u32 v14, s18, v155, v156
	v_and_b32_e32 v160, 0x3030303, v12
	v_add_u32_e32 v12, s17, v135
	ds_read_b32 v14, v14
	ds_read_u16 v201, v12 offset:28144
	v_dot4c_i32_i8_e32 v208, v120, v0
	v_dot4c_i32_i8_e32 v208, v121, v1
	;; [unrolled: 1-line block ×4, first 2 shown]
	s_waitcnt lgkmcnt(0)
	v_bfe_u32 v12, v201, 4, 4
	v_mul_lo_u32 v190, v12, s9
	v_dot4c_i32_i8_e32 v206, v190, v4
	v_dot4c_i32_i8_e32 v206, v190, v5
	;; [unrolled: 1-line block ×3, first 2 shown]
	v_lshrrev_b32_sdwa v4, v157, v201 dst_sel:DWORD dst_unused:UNUSED_PAD src0_sel:DWORD src1_sel:BYTE_1
	v_dot4c_i32_i8_e32 v206, v190, v7
	v_mul_lo_u32 v183, v4, s9
	v_dot4c_i32_i8_e32 v206, v183, v0
	v_dot4c_i32_i8_e32 v206, v183, v1
	;; [unrolled: 1-line block ×22, first 2 shown]
	ds_read_b128 v[4:7], v9 offset:1024
	ds_read_b128 v[0:3], v9 offset:1040
	v_mov_b32_e32 v209, 0
	v_mov_b32_e32 v197, 0
	;; [unrolled: 1-line block ×3, first 2 shown]
	s_waitcnt lgkmcnt(1)
	v_dot4c_i32_i8_e32 v209, v173, v4
	v_dot4c_i32_i8_e32 v209, v173, v5
	;; [unrolled: 1-line block ×6, first 2 shown]
	s_waitcnt lgkmcnt(0)
	v_dot4c_i32_i8_e32 v211, v13, v0
	v_dot4c_i32_i8_e32 v209, v174, v0
	;; [unrolled: 1-line block ×8, first 2 shown]
	v_and_b32_sdwa v195, v193, v158 dst_sel:DWORD dst_unused:UNUSED_PAD src0_sel:BYTE_0 src1_sel:DWORD
	v_and_b32_sdwa v194, v193, v158 dst_sel:DWORD dst_unused:UNUSED_PAD src0_sel:BYTE_1 src1_sel:DWORD
	v_dot4c_i32_i8_e32 v211, v118, v3
	v_dot4c_i32_i8_e32 v209, v174, v3
	v_mul_lo_u32 v196, v194, v196
	v_mul_lo_u32 v210, v195, v197
	v_cvt_f32_f16_e32 v8, v10
	v_cvt_f32_f16_sdwa v10, v10 dst_sel:DWORD dst_unused:UNUSED_PAD src0_sel:WORD_1
	v_mad_u64_u32 v[210:211], s[16:17], v194, v211, v[210:211]
	v_mad_u64_u32 v[196:197], s[16:17], v195, v114, v[196:197]
	v_cvt_f32_i32_e32 v115, v115
	v_cvt_f32_i32_e32 v114, v209
	;; [unrolled: 1-line block ×4, first 2 shown]
	v_mov_b32_e32 v209, 0
	v_pk_mul_f32 v[114:115], v[10:11], v[114:115] op_sel_hi:[0,1]
	v_dot4c_i32_i8_e32 v209, v172, v4
	v_pk_fma_f32 v[196:197], v[8:9], v[196:197], v[114:115] op_sel_hi:[0,1,1] neg_lo:[0,0,1] neg_hi:[0,0,1]
	v_mov_b32_e32 v114, v113
	v_mov_b32_e32 v113, 0
	v_dot4c_i32_i8_e32 v209, v172, v5
	v_dot4c_i32_i8_e32 v113, v171, v4
	v_dot4c_i32_i8_e32 v209, v172, v6
	v_mov_b32_e32 v193, 0
	v_dot4c_i32_i8_e32 v113, v168, v5
	v_dot4c_i32_i8_e32 v209, v172, v7
	v_dot4c_i32_i8_e32 v193, v164, v0
	;; [unrolled: 4-line block ×3, first 2 shown]
	v_pk_fma_f32 v[50:51], v[114:115], v[196:197], v[50:51]
	v_dot4c_i32_i8_e32 v113, v170, v7
	v_dot4c_i32_i8_e32 v209, v185, v1
	;; [unrolled: 1-line block ×3, first 2 shown]
	v_and_b32_sdwa v197, v192, v158 dst_sel:DWORD dst_unused:UNUSED_PAD src0_sel:BYTE_0 src1_sel:DWORD
	v_and_b32_sdwa v196, v192, v158 dst_sel:DWORD dst_unused:UNUSED_PAD src0_sel:BYTE_1 src1_sel:DWORD
	v_dot4c_i32_i8_e32 v209, v185, v2
	v_dot4c_i32_i8_e32 v193, v167, v3
	v_mul_lo_u32 v112, v196, v204
	v_mul_lo_u32 v192, v197, v113
                                        ; kill: def $vgpr113 killed $sgpr0 killed $exec
	v_dot4c_i32_i8_e32 v209, v185, v3
	v_mad_u64_u32 v[192:193], s[16:17], v196, v193, v[192:193]
	v_mad_u64_u32 v[112:113], s[16:17], v197, v199, v[112:113]
	v_cvt_f32_f16_e32 v104, v106
	v_cvt_f32_f16_sdwa v106, v106 dst_sel:DWORD dst_unused:UNUSED_PAD src0_sel:WORD_1
	v_cvt_f32_i32_e32 v113, v112
	v_cvt_f32_i32_e32 v112, v192
	;; [unrolled: 1-line block ×4, first 2 shown]
	v_mov_b32_e32 v200, 0
	v_dot4c_i32_i8_e32 v200, v184, v4
	v_dot4c_i32_i8_e32 v200, v184, v5
	v_pk_mul_f32 v[192:193], v[106:107], v[192:193] op_sel_hi:[0,1]
	v_pk_fma_f32 v[112:113], v[104:105], v[112:113], v[192:193] op_sel_hi:[0,1,1] neg_lo:[0,0,1] neg_hi:[0,0,1]
	v_pk_fma_f32 v[66:67], v[114:115], v[112:113], v[66:67]
	v_mov_b32_e32 v113, 0
	v_dot4c_i32_i8_e32 v113, v182, v4
	v_dot4c_i32_i8_e32 v200, v184, v6
	v_mov_b32_e32 v193, 0
	v_dot4c_i32_i8_e32 v113, v179, v5
	v_dot4c_i32_i8_e32 v200, v184, v7
	;; [unrolled: 1-line block ×9, first 2 shown]
	v_and_b32_sdwa v199, v198, v158 dst_sel:DWORD dst_unused:UNUSED_PAD src0_sel:BYTE_0 src1_sel:DWORD
	v_and_b32_sdwa v198, v198, v158 dst_sel:DWORD dst_unused:UNUSED_PAD src0_sel:BYTE_1 src1_sel:DWORD
	v_dot4c_i32_i8_e32 v200, v191, v2
	v_dot4c_i32_i8_e32 v193, v178, v3
	v_mul_lo_u32 v112, v198, v207
	v_mul_lo_u32 v192, v199, v113
                                        ; kill: def $vgpr113 killed $sgpr0 killed $exec
	v_dot4c_i32_i8_e32 v200, v191, v3
	v_mad_u64_u32 v[192:193], s[16:17], v198, v193, v[192:193]
	v_mad_u64_u32 v[112:113], s[16:17], v199, v202, v[112:113]
	v_cvt_f32_f16_e32 v108, v110
	v_cvt_f32_f16_sdwa v110, v110 dst_sel:DWORD dst_unused:UNUSED_PAD src0_sel:WORD_1
	v_cvt_f32_i32_e32 v113, v112
	v_cvt_f32_i32_e32 v112, v192
	;; [unrolled: 1-line block ×4, first 2 shown]
	v_cvt_f32_f16_e32 v12, v14
	v_cvt_f32_f16_sdwa v14, v14 dst_sel:DWORD dst_unused:UNUSED_PAD src0_sel:WORD_1
	v_mov_b32_e32 v200, 0
	v_pk_mul_f32 v[192:193], v[110:111], v[192:193] op_sel_hi:[0,1]
	v_pk_fma_f32 v[112:113], v[108:109], v[112:113], v[192:193] op_sel_hi:[0,1,1] neg_lo:[0,0,1] neg_hi:[0,0,1]
	v_pk_fma_f32 v[58:59], v[114:115], v[112:113], v[58:59]
	v_mov_b32_e32 v113, 0
	v_dot4c_i32_i8_e32 v113, v190, v4
	v_mov_b32_e32 v112, 0
	v_dot4c_i32_i8_e32 v113, v190, v5
	v_dot4c_i32_i8_e32 v112, v189, v4
	v_dot4c_i32_i8_e32 v113, v190, v6
	v_mov_b32_e32 v4, 0
	v_dot4c_i32_i8_e32 v112, v186, v5
	v_dot4c_i32_i8_e32 v113, v190, v7
	;; [unrolled: 1-line block ×9, first 2 shown]
	v_and_b32_sdwa v193, v201, v158 dst_sel:DWORD dst_unused:UNUSED_PAD src0_sel:BYTE_0 src1_sel:DWORD
	v_and_b32_sdwa v192, v201, v158 dst_sel:DWORD dst_unused:UNUSED_PAD src0_sel:BYTE_1 src1_sel:DWORD
	v_dot4c_i32_i8_e32 v113, v183, v2
	v_dot4c_i32_i8_e32 v4, v160, v3
	v_mul_lo_u32 v0, v192, v208
	v_mul_lo_u32 v2, v193, v112
                                        ; kill: def $vgpr1 killed $sgpr0 killed $exec
	v_dot4c_i32_i8_e32 v113, v183, v3
	v_mad_u64_u32 v[2:3], s[16:17], v192, v4, v[2:3]
	v_mad_u64_u32 v[0:1], s[16:17], v193, v205, v[0:1]
	v_cvt_f32_i32_e32 v1, v0
	v_cvt_f32_i32_e32 v0, v2
	;; [unrolled: 1-line block ×4, first 2 shown]
	v_mov_b32_e32 v206, 0
	v_mov_b32_e32 v208, 0
	;; [unrolled: 1-line block ×3, first 2 shown]
	v_pk_mul_f32 v[2:3], v[14:15], v[2:3] op_sel_hi:[0,1]
	v_pk_fma_f32 v[0:1], v[12:13], v[0:1], v[2:3] op_sel_hi:[0,1,1] neg_lo:[0,0,1] neg_hi:[0,0,1]
	v_pk_fma_f32 v[52:53], v[114:115], v[0:1], v[52:53]
	ds_read2_b32 v[112:113], v11 offset0:64 offset1:96
	ds_read_b128 v[4:7], v9 offset:2048
	ds_read_b128 v[0:3], v9 offset:2064
	v_mov_b32_e32 v114, 0
	v_mov_b32_e32 v204, 0
	;; [unrolled: 1-line block ×3, first 2 shown]
	s_waitcnt lgkmcnt(1)
	v_dot4c_i32_i8_e32 v206, v173, v4
	v_dot4c_i32_i8_e32 v208, v172, v4
	;; [unrolled: 1-line block ×14, first 2 shown]
	v_mov_b32_e32 v209, 0
	v_mov_b32_e32 v201, 0
	v_dot4c_i32_i8_e32 v200, v184, v7
	v_mov_b32_e32 v210, 0
	v_mov_b32_e32 v115, 0
	v_dot4c_i32_i8_e32 v114, v190, v7
	v_mov_b32_e32 v211, 0
	v_dot4c_i32_i8_e32 v203, v163, v4
	s_waitcnt lgkmcnt(0)
	v_dot4c_i32_i8_e32 v204, v13, v0
	v_dot4c_i32_i8_e32 v206, v174, v0
	;; [unrolled: 1-line block ×47, first 2 shown]
	ds_read_b128 v[4:7], v9 offset:3072
	ds_read_b128 v[0:3], v9 offset:3088
	v_mov_b32_e32 v212, 0
	v_mov_b32_e32 v202, 0
	;; [unrolled: 1-line block ×3, first 2 shown]
	s_waitcnt lgkmcnt(1)
	v_dot4c_i32_i8_e32 v212, v173, v4
	v_dot4c_i32_i8_e32 v212, v173, v5
	;; [unrolled: 1-line block ×6, first 2 shown]
	s_waitcnt lgkmcnt(0)
	v_dot4c_i32_i8_e32 v213, v13, v0
	v_dot4c_i32_i8_e32 v202, v161, v6
	;; [unrolled: 1-line block ×7, first 2 shown]
	v_mul_lo_u32 v204, v204, v194
                                        ; kill: def $vgpr205 killed $sgpr0 killed $exec
	v_dot4c_i32_i8_e32 v212, v174, v2
	v_dot4c_i32_i8_e32 v213, v118, v3
	v_mul_lo_u32 v202, v202, v195
	v_mad_u64_u32 v[204:205], s[16:17], v203, v195, v[204:205]
                                        ; kill: def $vgpr203 killed $sgpr0 killed $exec
	v_dot4c_i32_i8_e32 v212, v174, v3
	v_mad_u64_u32 v[202:203], s[16:17], v213, v194, v[202:203]
	v_cvt_f32_i32_e32 v203, v202
	v_cvt_f32_i32_e32 v202, v204
	;; [unrolled: 1-line block ×4, first 2 shown]
	v_mov_b32_e32 v206, 0
	v_dot4c_i32_i8_e32 v206, v172, v4
	v_dot4c_i32_i8_e32 v206, v172, v5
	v_pk_mul_f32 v[204:205], v[10:11], v[204:205] op_sel_hi:[0,1]
	v_pk_fma_f32 v[202:203], v[8:9], v[202:203], v[204:205] op_sel_hi:[0,1,1] neg_lo:[0,0,1] neg_hi:[0,0,1]
	v_pk_fma_f32 v[38:39], v[112:113], v[202:203], v[38:39]
	v_mov_b32_e32 v202, 0
	v_dot4c_i32_i8_e32 v202, v171, v4
	v_dot4c_i32_i8_e32 v206, v172, v6
	v_mov_b32_e32 v203, 0
	v_dot4c_i32_i8_e32 v202, v168, v5
	v_dot4c_i32_i8_e32 v206, v172, v7
	;; [unrolled: 1-line block ×11, first 2 shown]
	v_mul_lo_u32 v202, v202, v197
	v_mul_lo_u32 v204, v209, v196
                                        ; kill: def $vgpr205 killed $sgpr0 killed $exec
	v_dot4c_i32_i8_e32 v206, v185, v3
	v_mad_u64_u32 v[204:205], s[16:17], v207, v197, v[204:205]
	v_mad_u64_u32 v[202:203], s[16:17], v203, v196, v[202:203]
	v_cvt_f32_i32_e32 v203, v202
	v_cvt_f32_i32_e32 v202, v204
	;; [unrolled: 1-line block ×4, first 2 shown]
	v_mov_b32_e32 v206, 0
	v_dot4c_i32_i8_e32 v206, v184, v4
	v_dot4c_i32_i8_e32 v206, v184, v5
	v_pk_mul_f32 v[204:205], v[106:107], v[204:205] op_sel_hi:[0,1]
	v_pk_fma_f32 v[202:203], v[104:105], v[202:203], v[204:205] op_sel_hi:[0,1,1] neg_lo:[0,0,1] neg_hi:[0,0,1]
	v_pk_fma_f32 v[36:37], v[112:113], v[202:203], v[36:37]
	v_mov_b32_e32 v202, 0
	v_dot4c_i32_i8_e32 v206, v184, v6
	v_dot4c_i32_i8_e32 v202, v182, v4
	;; [unrolled: 1-line block ×3, first 2 shown]
	v_mov_b32_e32 v203, 0
	v_dot4c_i32_i8_e32 v202, v179, v5
	v_dot4c_i32_i8_e32 v203, v175, v0
	;; [unrolled: 1-line block ×11, first 2 shown]
	v_mul_lo_u32 v202, v202, v199
	v_mul_lo_u32 v204, v210, v198
                                        ; kill: def $vgpr205 killed $sgpr0 killed $exec
	v_mad_u64_u32 v[202:203], s[16:17], v203, v198, v[202:203]
	v_mad_u64_u32 v[204:205], s[16:17], v201, v199, v[204:205]
	v_cvt_f32_i32_e32 v201, v206
	v_cvt_f32_i32_e32 v200, v200
	;; [unrolled: 1-line block ×4, first 2 shown]
	v_mov_b32_e32 v206, 0
	v_pk_mul_f32 v[200:201], v[110:111], v[200:201] op_sel_hi:[0,1]
	v_mov_b32_e32 v208, 0
	v_pk_fma_f32 v[200:201], v[108:109], v[202:203], v[200:201] op_sel_hi:[0,1,1] neg_lo:[0,0,1] neg_hi:[0,0,1]
	v_pk_fma_f32 v[34:35], v[112:113], v[200:201], v[34:35]
	v_mov_b32_e32 v201, 0
	v_dot4c_i32_i8_e32 v201, v190, v4
	v_mov_b32_e32 v200, 0
	v_dot4c_i32_i8_e32 v201, v190, v5
	v_dot4c_i32_i8_e32 v200, v189, v4
	;; [unrolled: 1-line block ×3, first 2 shown]
	v_mov_b32_e32 v4, 0
	v_dot4c_i32_i8_e32 v200, v186, v5
	v_dot4c_i32_i8_e32 v201, v190, v7
	v_dot4c_i32_i8_e32 v4, v120, v0
	v_dot4c_i32_i8_e32 v200, v187, v6
	v_dot4c_i32_i8_e32 v201, v183, v0
	v_dot4c_i32_i8_e32 v4, v121, v1
	v_dot4c_i32_i8_e32 v200, v188, v7
	v_dot4c_i32_i8_e32 v201, v183, v1
	v_dot4c_i32_i8_e32 v4, v123, v2
	v_dot4c_i32_i8_e32 v201, v183, v2
	v_dot4c_i32_i8_e32 v4, v160, v3
	v_mul_lo_u32 v0, v200, v193
	v_mul_lo_u32 v2, v211, v192
                                        ; kill: def $vgpr1 killed $sgpr0 killed $exec
	v_dot4c_i32_i8_e32 v201, v183, v3
	v_mad_u64_u32 v[2:3], s[16:17], v115, v193, v[2:3]
	v_mad_u64_u32 v[0:1], s[16:17], v4, v192, v[0:1]
	v_cvt_f32_i32_e32 v1, v0
	v_cvt_f32_i32_e32 v0, v2
	;; [unrolled: 1-line block ×4, first 2 shown]
	v_mov_b32_e32 v200, 0
	v_mov_b32_e32 v114, 0
	;; [unrolled: 1-line block ×3, first 2 shown]
	v_pk_mul_f32 v[2:3], v[14:15], v[2:3] op_sel_hi:[0,1]
	v_pk_fma_f32 v[0:1], v[12:13], v[0:1], v[2:3] op_sel_hi:[0,1,1] neg_lo:[0,0,1] neg_hi:[0,0,1]
	v_pk_fma_f32 v[32:33], v[112:113], v[0:1], v[32:33]
	ds_read2_b32 v[112:113], v11 offset0:128 offset1:160
	ds_read_b128 v[4:7], v9 offset:4096
	ds_read_b128 v[0:3], v9 offset:4112
	v_mov_b32_e32 v204, 0
	v_mov_b32_e32 v207, 0
	;; [unrolled: 1-line block ×3, first 2 shown]
	s_waitcnt lgkmcnt(1)
	v_dot4c_i32_i8_e32 v206, v173, v4
	v_dot4c_i32_i8_e32 v208, v172, v4
	v_dot4c_i32_i8_e32 v200, v184, v4
	v_dot4c_i32_i8_e32 v114, v190, v4
	v_dot4c_i32_i8_e32 v206, v173, v5
	v_dot4c_i32_i8_e32 v208, v172, v5
	v_dot4c_i32_i8_e32 v200, v184, v5
	v_dot4c_i32_i8_e32 v114, v190, v5
	v_dot4c_i32_i8_e32 v206, v173, v6
	v_dot4c_i32_i8_e32 v208, v172, v6
	v_dot4c_i32_i8_e32 v200, v184, v6
	v_dot4c_i32_i8_e32 v114, v190, v6
	v_dot4c_i32_i8_e32 v206, v173, v7
	v_dot4c_i32_i8_e32 v208, v172, v7
	v_mov_b32_e32 v201, 0
	v_dot4c_i32_i8_e32 v200, v184, v7
	v_mov_b32_e32 v210, 0
	v_mov_b32_e32 v115, 0
	v_dot4c_i32_i8_e32 v114, v190, v7
	v_mov_b32_e32 v211, 0
	v_dot4c_i32_i8_e32 v203, v163, v4
	s_waitcnt lgkmcnt(0)
	v_dot4c_i32_i8_e32 v204, v13, v0
	v_dot4c_i32_i8_e32 v206, v174, v0
	;; [unrolled: 1-line block ×47, first 2 shown]
	ds_read_b128 v[4:7], v9 offset:5120
	ds_read_b128 v[0:3], v9 offset:5136
	v_mov_b32_e32 v212, 0
	v_mov_b32_e32 v202, 0
	v_mov_b32_e32 v213, 0
	s_waitcnt lgkmcnt(1)
	v_dot4c_i32_i8_e32 v212, v173, v4
	v_dot4c_i32_i8_e32 v212, v173, v5
	;; [unrolled: 1-line block ×6, first 2 shown]
	s_waitcnt lgkmcnt(0)
	v_dot4c_i32_i8_e32 v213, v13, v0
	v_dot4c_i32_i8_e32 v202, v161, v6
	;; [unrolled: 1-line block ×7, first 2 shown]
	v_mul_lo_u32 v204, v204, v194
                                        ; kill: def $vgpr205 killed $sgpr0 killed $exec
	v_dot4c_i32_i8_e32 v212, v174, v2
	v_dot4c_i32_i8_e32 v213, v118, v3
	v_mul_lo_u32 v202, v202, v195
	v_mad_u64_u32 v[204:205], s[16:17], v203, v195, v[204:205]
                                        ; kill: def $vgpr203 killed $sgpr0 killed $exec
	v_dot4c_i32_i8_e32 v212, v174, v3
	v_mad_u64_u32 v[202:203], s[16:17], v213, v194, v[202:203]
	v_cvt_f32_i32_e32 v203, v202
	v_cvt_f32_i32_e32 v202, v204
	;; [unrolled: 1-line block ×4, first 2 shown]
	v_mov_b32_e32 v206, 0
	v_dot4c_i32_i8_e32 v206, v172, v4
	v_dot4c_i32_i8_e32 v206, v172, v5
	v_pk_mul_f32 v[204:205], v[10:11], v[204:205] op_sel_hi:[0,1]
	v_pk_fma_f32 v[202:203], v[8:9], v[202:203], v[204:205] op_sel_hi:[0,1,1] neg_lo:[0,0,1] neg_hi:[0,0,1]
	v_pk_fma_f32 v[30:31], v[112:113], v[202:203], v[30:31]
	v_mov_b32_e32 v202, 0
	v_dot4c_i32_i8_e32 v202, v171, v4
	v_dot4c_i32_i8_e32 v206, v172, v6
	v_mov_b32_e32 v203, 0
	v_dot4c_i32_i8_e32 v202, v168, v5
	v_dot4c_i32_i8_e32 v206, v172, v7
	;; [unrolled: 1-line block ×11, first 2 shown]
	v_mul_lo_u32 v202, v202, v197
	v_mul_lo_u32 v204, v209, v196
                                        ; kill: def $vgpr205 killed $sgpr0 killed $exec
	v_dot4c_i32_i8_e32 v206, v185, v3
	v_mad_u64_u32 v[204:205], s[16:17], v207, v197, v[204:205]
	v_mad_u64_u32 v[202:203], s[16:17], v203, v196, v[202:203]
	v_cvt_f32_i32_e32 v203, v202
	v_cvt_f32_i32_e32 v202, v204
	v_cvt_f32_i32_e32 v205, v206
	v_cvt_f32_i32_e32 v204, v208
	v_mov_b32_e32 v206, 0
	v_dot4c_i32_i8_e32 v206, v184, v4
	v_dot4c_i32_i8_e32 v206, v184, v5
	v_pk_mul_f32 v[204:205], v[106:107], v[204:205] op_sel_hi:[0,1]
	v_pk_fma_f32 v[202:203], v[104:105], v[202:203], v[204:205] op_sel_hi:[0,1,1] neg_lo:[0,0,1] neg_hi:[0,0,1]
	v_pk_fma_f32 v[28:29], v[112:113], v[202:203], v[28:29]
	v_mov_b32_e32 v202, 0
	v_dot4c_i32_i8_e32 v206, v184, v6
	v_dot4c_i32_i8_e32 v202, v182, v4
	;; [unrolled: 1-line block ×3, first 2 shown]
	v_mov_b32_e32 v203, 0
	v_dot4c_i32_i8_e32 v202, v179, v5
	v_dot4c_i32_i8_e32 v203, v175, v0
	;; [unrolled: 1-line block ×11, first 2 shown]
	v_mul_lo_u32 v202, v202, v199
	v_mul_lo_u32 v204, v210, v198
                                        ; kill: def $vgpr205 killed $sgpr0 killed $exec
	v_mad_u64_u32 v[202:203], s[16:17], v203, v198, v[202:203]
	v_mad_u64_u32 v[204:205], s[16:17], v201, v199, v[204:205]
	v_cvt_f32_i32_e32 v201, v206
	v_cvt_f32_i32_e32 v200, v200
	;; [unrolled: 1-line block ×4, first 2 shown]
	v_mov_b32_e32 v204, 0
	v_pk_mul_f32 v[200:201], v[110:111], v[200:201] op_sel_hi:[0,1]
	v_mov_b32_e32 v207, 0
	v_pk_fma_f32 v[200:201], v[108:109], v[202:203], v[200:201] op_sel_hi:[0,1,1] neg_lo:[0,0,1] neg_hi:[0,0,1]
	v_pk_fma_f32 v[26:27], v[112:113], v[200:201], v[26:27]
	v_mov_b32_e32 v201, 0
	v_dot4c_i32_i8_e32 v201, v190, v4
	v_mov_b32_e32 v200, 0
	v_dot4c_i32_i8_e32 v201, v190, v5
	v_dot4c_i32_i8_e32 v200, v189, v4
	;; [unrolled: 1-line block ×3, first 2 shown]
	v_mov_b32_e32 v4, 0
	v_dot4c_i32_i8_e32 v200, v186, v5
	v_dot4c_i32_i8_e32 v201, v190, v7
	;; [unrolled: 1-line block ×11, first 2 shown]
	v_mul_lo_u32 v0, v200, v193
	v_mul_lo_u32 v2, v211, v192
                                        ; kill: def $vgpr1 killed $sgpr0 killed $exec
	v_dot4c_i32_i8_e32 v201, v183, v3
	v_mad_u64_u32 v[2:3], s[16:17], v115, v193, v[2:3]
	v_mad_u64_u32 v[0:1], s[16:17], v4, v192, v[0:1]
	v_cvt_f32_i32_e32 v1, v0
	v_cvt_f32_i32_e32 v0, v2
	;; [unrolled: 1-line block ×4, first 2 shown]
	v_mov_b32_e32 v201, 0
	v_mov_b32_e32 v114, 0
	;; [unrolled: 1-line block ×3, first 2 shown]
	v_pk_mul_f32 v[2:3], v[14:15], v[2:3] op_sel_hi:[0,1]
	v_pk_fma_f32 v[0:1], v[12:13], v[0:1], v[2:3] op_sel_hi:[0,1,1] neg_lo:[0,0,1] neg_hi:[0,0,1]
	v_pk_fma_f32 v[24:25], v[112:113], v[0:1], v[24:25]
	ds_read2_b32 v[112:113], v11 offset0:192 offset1:224
	ds_read_b128 v[4:7], v9 offset:6144
	ds_read_b128 v[0:3], v9 offset:6160
	v_mov_b32_e32 v205, 0
	v_mov_b32_e32 v206, 0
	;; [unrolled: 1-line block ×3, first 2 shown]
	s_waitcnt lgkmcnt(1)
	v_dot4c_i32_i8_e32 v204, v173, v4
	v_dot4c_i32_i8_e32 v207, v172, v4
	;; [unrolled: 1-line block ×14, first 2 shown]
	v_mov_b32_e32 v202, 0
	v_dot4c_i32_i8_e32 v201, v184, v7
	v_mov_b32_e32 v209, 0
	v_mov_b32_e32 v115, 0
	v_dot4c_i32_i8_e32 v114, v190, v7
	v_mov_b32_e32 v200, 0
	v_dot4c_i32_i8_e32 v203, v163, v4
	s_waitcnt lgkmcnt(0)
	v_dot4c_i32_i8_e32 v205, v13, v0
	v_dot4c_i32_i8_e32 v204, v174, v0
	;; [unrolled: 1-line block ×47, first 2 shown]
	ds_read_b128 v[4:7], v9 offset:7168
	ds_read_b128 v[0:3], v9 offset:7184
	v_mov_b32_e32 v211, 0
	v_mov_b32_e32 v210, 0
	s_waitcnt lgkmcnt(1)
	v_dot4c_i32_i8_e32 v211, v173, v4
	v_dot4c_i32_i8_e32 v210, v163, v4
	;; [unrolled: 1-line block ×5, first 2 shown]
	v_mov_b32_e32 v122, 0
	v_dot4c_i32_i8_e32 v211, v173, v7
	s_waitcnt lgkmcnt(0)
	v_dot4c_i32_i8_e32 v122, v13, v0
	v_dot4c_i32_i8_e32 v210, v161, v6
	;; [unrolled: 1-line block ×9, first 2 shown]
	v_mul_lo_u32 v116, v210, v195
	v_mul_lo_u32 v118, v205, v194
	v_dot4c_i32_i8_e32 v211, v174, v3
	v_mad_u64_u32 v[162:163], s[16:17], v203, v195, v[118:119]
	v_mad_u64_u32 v[194:195], s[16:17], v122, v194, v[116:117]
	v_cvt_f32_i32_e32 v163, v194
	v_cvt_f32_i32_e32 v195, v211
	v_cvt_f32_i32_e32 v194, v204
	v_cvt_f32_i32_e32 v162, v162
	v_mov_b32_e32 v13, 0
	v_dot4c_i32_i8_e32 v13, v172, v4
	v_pk_mul_f32 v[194:195], v[10:11], v[194:195] op_sel_hi:[0,1]
	v_pk_fma_f32 v[162:163], v[8:9], v[162:163], v[194:195] op_sel_hi:[0,1,1] neg_lo:[0,0,1] neg_hi:[0,0,1]
	v_mov_b32_e32 v8, 0
	v_dot4c_i32_i8_e32 v13, v172, v5
	v_dot4c_i32_i8_e32 v8, v171, v4
	v_dot4c_i32_i8_e32 v13, v172, v6
	v_mov_b32_e32 v15, 0
	v_dot4c_i32_i8_e32 v8, v168, v5
	v_dot4c_i32_i8_e32 v13, v172, v7
	v_dot4c_i32_i8_e32 v15, v164, v0
	v_dot4c_i32_i8_e32 v8, v169, v6
	v_dot4c_i32_i8_e32 v13, v185, v0
	v_dot4c_i32_i8_e32 v15, v165, v1
	v_dot4c_i32_i8_e32 v8, v170, v7
	v_dot4c_i32_i8_e32 v13, v185, v1
	v_dot4c_i32_i8_e32 v15, v166, v2
	v_dot4c_i32_i8_e32 v13, v185, v2
	v_dot4c_i32_i8_e32 v15, v167, v3
	v_mul_lo_u32 v8, v8, v197
	v_mul_lo_u32 v10, v208, v196
	v_pk_fma_f32 v[22:23], v[112:113], v[162:163], v[22:23]
	v_dot4c_i32_i8_e32 v13, v185, v3
	v_mad_u64_u32 v[162:163], s[16:17], v206, v197, v[10:11]
	v_mad_u64_u32 v[164:165], s[16:17], v15, v196, v[8:9]
	v_cvt_f32_i32_e32 v163, v164
	v_cvt_f32_i32_e32 v165, v13
	;; [unrolled: 1-line block ×4, first 2 shown]
	v_mov_b32_e32 v8, 0
	v_dot4c_i32_i8_e32 v8, v182, v4
	v_mov_b32_e32 v15, 0
	v_pk_mul_f32 v[164:165], v[106:107], v[164:165] op_sel_hi:[0,1]
	v_dot4c_i32_i8_e32 v8, v179, v5
	v_dot4c_i32_i8_e32 v15, v175, v0
	v_pk_fma_f32 v[162:163], v[104:105], v[162:163], v[164:165] op_sel_hi:[0,1,1] neg_lo:[0,0,1] neg_hi:[0,0,1]
	v_dot4c_i32_i8_e32 v8, v180, v6
	v_dot4c_i32_i8_e32 v15, v176, v1
	v_mul_lo_u32 v10, v209, v198
	v_pk_fma_f32 v[20:21], v[112:113], v[162:163], v[20:21]
	v_mov_b32_e32 v13, 0
	v_dot4c_i32_i8_e32 v8, v181, v7
	v_dot4c_i32_i8_e32 v15, v177, v2
	v_mad_u64_u32 v[162:163], s[16:17], v202, v199, v[10:11]
	v_mov_b32_e32 v10, 0
	v_dot4c_i32_i8_e32 v13, v184, v4
	v_dot4c_i32_i8_e32 v15, v178, v3
	v_mul_lo_u32 v8, v8, v199
	v_dot4c_i32_i8_e32 v10, v190, v4
	v_dot4c_i32_i8_e32 v13, v184, v5
	v_mad_u64_u32 v[164:165], s[16:17], v15, v198, v[8:9]
	v_mov_b32_e32 v8, 0
	v_dot4c_i32_i8_e32 v10, v190, v5
	v_dot4c_i32_i8_e32 v13, v184, v6
	;; [unrolled: 1-line block ×4, first 2 shown]
	v_mov_b32_e32 v4, 0
	v_dot4c_i32_i8_e32 v13, v184, v7
	v_dot4c_i32_i8_e32 v8, v186, v5
	;; [unrolled: 1-line block ×15, first 2 shown]
	v_mul_lo_u32 v0, v8, v193
	v_mul_lo_u32 v2, v200, v192
                                        ; kill: def $vgpr1 killed $sgpr0 killed $exec
	v_dot4c_i32_i8_e32 v13, v191, v3
	v_dot4c_i32_i8_e32 v10, v183, v3
	v_mad_u64_u32 v[2:3], s[16:17], v115, v193, v[2:3]
	v_mad_u64_u32 v[0:1], s[16:17], v4, v192, v[0:1]
	v_cvt_f32_i32_e32 v163, v164
	v_cvt_f32_i32_e32 v165, v13
	;; [unrolled: 1-line block ×8, first 2 shown]
	v_pk_mul_f32 v[164:165], v[110:111], v[164:165] op_sel_hi:[0,1]
	s_add_i32 s16, s15, 2
	v_pk_mul_f32 v[2:3], v[14:15], v[2:3] op_sel_hi:[0,1]
	v_pk_fma_f32 v[162:163], v[108:109], v[162:163], v[164:165] op_sel_hi:[0,1,1] neg_lo:[0,0,1] neg_hi:[0,0,1]
	v_pk_fma_f32 v[0:1], v[12:13], v[0:1], v[2:3] op_sel_hi:[0,1,1] neg_lo:[0,0,1] neg_hi:[0,0,1]
	v_pk_fma_f32 v[18:19], v[112:113], v[162:163], v[18:19]
	v_pk_fma_f32 v[16:17], v[112:113], v[0:1], v[16:17]
	v_add_u32_e32 v11, 4, v11
	v_add_u32_e32 v9, 32, v9
	s_cmp_lt_u32 s15, 22
	s_mov_b32 s15, s16
	s_cbranch_scc1 .LBB167_12
; %bb.13:                               ;   in Loop: Header=BB167_6 Depth=1
	v_add_u32_e32 v14, s14, v125
	v_add_u32_e32 v0, v14, v99
	;; [unrolled: 1-line block ×6, first 2 shown]
	v_mad_i64_i32 v[0:1], s[14:15], v0, 36, v[70:71]
	v_mad_i64_i32 v[2:3], s[14:15], v2, 36, v[70:71]
	;; [unrolled: 1-line block ×4, first 2 shown]
	v_add_u32_e32 v8, v14, v107
	v_add_u32_e32 v10, v14, v109
	;; [unrolled: 1-line block ×4, first 2 shown]
	v_mad_u64_u32 v[112:113], s[14:15], v104, 36, s[2:3]
	s_barrier
	v_mad_i64_i32 v[8:9], s[14:15], v8, 36, v[70:71]
	v_mad_i64_i32 v[10:11], s[14:15], v10, 36, v[70:71]
	;; [unrolled: 1-line block ×4, first 2 shown]
	global_load_dword v104, v[112:113], off
	s_nop 0
	global_load_dword v0, v[0:1], off offset:4
	s_nop 0
	global_load_dword v1, v[2:3], off offset:4
	;; [unrolled: 2-line block ×3, first 2 shown]
	global_load_dword v3, v[6:7], off offset:4
	s_nop 0
	global_load_dword v4, v[8:9], off offset:4
	global_load_dword v5, v[10:11], off offset:4
	;; [unrolled: 1-line block ×4, first 2 shown]
	s_mov_b32 s14, 24
	v_mov_b32_e32 v113, v128
	v_mov_b32_e32 v115, v127
	s_waitcnt vmcnt(8)
	v_cvt_f32_f16_e32 v8, v104
	s_waitcnt vmcnt(7)
	ds_write_b32 v141, v0
	s_waitcnt vmcnt(6)
	ds_write_b32 v142, v1
	;; [unrolled: 2-line block ×8, first 2 shown]
	ds_write_b32 v69, v8
	s_waitcnt lgkmcnt(0)
	s_barrier
.LBB167_14:                             ;   Parent Loop BB167_6 Depth=1
                                        ; =>  This Inner Loop Header: Depth=2
	s_and_b32 s17, s14, 0x3ffffff8
	v_lshl_add_u32 v10, s17, 2, v126
	ds_read2_b32 v[120:121], v115 offset1:32
	ds_read_b128 v[4:7], v113
	ds_read_b128 v[0:3], v113 offset:16
	ds_read2_b32 v[8:9], v10 offset1:1
	s_sub_i32 s15, s14, 24
	s_lshr_b32 s17, s14, 2
	s_and_b32 s17, s17, 0x3ffffffc
	s_addk_i32 s17, 0x7280
	s_waitcnt lgkmcnt(0)
	v_ashrrev_i32_e32 v8, s15, v8
	v_and_b32_e32 v177, 0x3030303, v8
	v_ashrrev_i32_e32 v8, s15, v9
	v_and_b32_e32 v171, 0x3030303, v8
	ds_read2_b32 v[8:9], v10 offset0:2 offset1:3
	s_and_b32 s16, s14, -16
	s_add_i32 s16, s14, s16
	v_add_u32_e32 v123, s16, v129
	v_mov_b32_e32 v210, 0
	s_waitcnt lgkmcnt(0)
	v_ashrrev_i32_e32 v8, s15, v8
	v_and_b32_e32 v172, 0x3030303, v8
	v_ashrrev_i32_e32 v8, s15, v9
	v_and_b32_e32 v173, 0x3030303, v8
	ds_read2_b32 v[8:9], v10 offset0:4 offset1:5
	v_mov_b32_e32 v211, 0
	v_mov_b32_e32 v197, 0
	;; [unrolled: 1-line block ×4, first 2 shown]
	s_waitcnt lgkmcnt(0)
	v_ashrrev_i32_e32 v8, s15, v8
	v_and_b32_e32 v163, 0x3030303, v8
	v_ashrrev_i32_e32 v8, s15, v9
	v_and_b32_e32 v164, 0x3030303, v8
	ds_read2_b32 v[8:9], v10 offset0:6 offset1:7
	v_dot4c_i32_i8_e32 v197, v163, v0
	v_mov_b32_e32 v203, 0
	v_dot4c_i32_i8_e32 v122, v177, v4
	v_dot4c_i32_i8_e32 v197, v164, v1
	s_waitcnt lgkmcnt(0)
	v_ashrrev_i32_e32 v8, s15, v8
	v_and_b32_e32 v165, 0x3030303, v8
	v_ashrrev_i32_e32 v8, s15, v9
	v_and_b32_e32 v166, 0x3030303, v8
	v_add3_u32 v8, s17, v149, v150
	ds_read_b32 v8, v8
	v_dot4c_i32_i8_e32 v122, v171, v5
	v_dot4c_i32_i8_e32 v197, v165, v2
	;; [unrolled: 1-line block ×4, first 2 shown]
	s_waitcnt lgkmcnt(0)
	v_cvt_f32_f16_e32 v108, v8
	v_cvt_f32_f16_sdwa v110, v8 dst_sel:DWORD dst_unused:UNUSED_PAD src0_sel:WORD_1
	v_add_u32_e32 v8, 0x1080, v10
	ds_read2_b32 v[8:9], v8 offset1:1
	v_dot4c_i32_i8_e32 v122, v173, v7
	v_add_u32_e32 v195, s16, v131
	v_add_u32_e32 v200, s16, v133
	;; [unrolled: 1-line block ×3, first 2 shown]
	s_waitcnt lgkmcnt(0)
	v_ashrrev_i32_e32 v8, s15, v8
	v_and_b32_e32 v182, 0x3030303, v8
	v_ashrrev_i32_e32 v8, s15, v9
	v_and_b32_e32 v174, 0x3030303, v8
	v_add_u32_e32 v8, 0x1088, v10
	ds_read2_b32 v[8:9], v8 offset1:1
	v_mov_b32_e32 v202, 0
	v_mov_b32_e32 v201, 0
	v_dot4c_i32_i8_e32 v201, v182, v4
	v_dot4c_i32_i8_e32 v201, v174, v5
	s_waitcnt lgkmcnt(0)
	v_ashrrev_i32_e32 v8, s15, v8
	v_and_b32_e32 v178, 0x3030303, v8
	v_ashrrev_i32_e32 v8, s15, v9
	v_and_b32_e32 v179, 0x3030303, v8
	v_add_u32_e32 v8, 0x1090, v10
	ds_read2_b32 v[8:9], v8 offset1:1
	v_dot4c_i32_i8_e32 v201, v178, v6
	v_dot4c_i32_i8_e32 v201, v179, v7
	v_mov_b32_e32 v207, 0
	v_mov_b32_e32 v204, 0
	s_waitcnt lgkmcnt(0)
	v_ashrrev_i32_e32 v8, s15, v8
	v_and_b32_e32 v167, 0x3030303, v8
	v_ashrrev_i32_e32 v8, s15, v9
	v_and_b32_e32 v168, 0x3030303, v8
	v_add_u32_e32 v8, 0x1098, v10
	ds_read2_b32 v[8:9], v8 offset1:1
	v_dot4c_i32_i8_e32 v202, v167, v0
	v_dot4c_i32_i8_e32 v202, v168, v1
	v_mov_b32_e32 v205, 0
	v_mov_b32_e32 v206, 0
	s_waitcnt lgkmcnt(0)
	v_ashrrev_i32_e32 v8, s15, v8
	v_and_b32_e32 v169, 0x3030303, v8
	v_ashrrev_i32_e32 v8, s15, v9
	v_and_b32_e32 v170, 0x3030303, v8
	v_add3_u32 v8, s17, v151, v152
	ds_read_b32 v8, v8
	v_dot4c_i32_i8_e32 v202, v169, v2
	v_dot4c_i32_i8_e32 v202, v170, v3
	v_mov_b32_e32 v212, 0
	s_waitcnt lgkmcnt(0)
	v_cvt_f32_f16_e32 v112, v8
	v_cvt_f32_f16_sdwa v114, v8 dst_sel:DWORD dst_unused:UNUSED_PAD src0_sel:WORD_1
	v_add_u32_e32 v8, 0x2100, v10
	ds_read2_b32 v[8:9], v8 offset1:1
	s_waitcnt lgkmcnt(0)
	v_ashrrev_i32_e32 v8, s15, v8
	v_and_b32_e32 v186, 0x3030303, v8
	v_ashrrev_i32_e32 v8, s15, v9
	v_and_b32_e32 v183, 0x3030303, v8
	v_add_u32_e32 v8, 0x2108, v10
	ds_read2_b32 v[8:9], v8 offset1:1
	v_dot4c_i32_i8_e32 v204, v186, v4
	v_dot4c_i32_i8_e32 v204, v183, v5
	s_waitcnt lgkmcnt(0)
	v_ashrrev_i32_e32 v8, s15, v8
	v_and_b32_e32 v184, 0x3030303, v8
	v_ashrrev_i32_e32 v8, s15, v9
	v_and_b32_e32 v185, 0x3030303, v8
	v_add_u32_e32 v8, 0x2110, v10
	ds_read2_b32 v[8:9], v8 offset1:1
	v_dot4c_i32_i8_e32 v204, v184, v6
	v_dot4c_i32_i8_e32 v204, v185, v7
	;; [unrolled: 9-line block ×3, first 2 shown]
	s_waitcnt lgkmcnt(0)
	v_ashrrev_i32_e32 v8, s15, v8
	v_and_b32_e32 v180, 0x3030303, v8
	v_ashrrev_i32_e32 v8, s15, v9
	v_and_b32_e32 v181, 0x3030303, v8
	v_add3_u32 v8, s17, v153, v154
	ds_read_b32 v8, v8
	v_dot4c_i32_i8_e32 v207, v180, v2
	v_dot4c_i32_i8_e32 v207, v181, v3
	s_waitcnt lgkmcnt(0)
	v_cvt_f32_f16_e32 v116, v8
	v_cvt_f32_f16_sdwa v118, v8 dst_sel:DWORD dst_unused:UNUSED_PAD src0_sel:WORD_1
	v_add_u32_e32 v8, 0x3180, v10
	ds_read2_b32 v[8:9], v8 offset1:1
	s_waitcnt lgkmcnt(0)
	v_ashrrev_i32_e32 v8, s15, v8
	v_and_b32_e32 v190, 0x3030303, v8
	v_ashrrev_i32_e32 v8, s15, v9
	v_and_b32_e32 v187, 0x3030303, v8
	v_add_u32_e32 v8, 0x3188, v10
	ds_read2_b32 v[8:9], v8 offset1:1
	v_dot4c_i32_i8_e32 v205, v190, v4
	v_dot4c_i32_i8_e32 v205, v187, v5
	s_waitcnt lgkmcnt(0)
	v_ashrrev_i32_e32 v8, s15, v8
	v_and_b32_e32 v188, 0x3030303, v8
	v_ashrrev_i32_e32 v8, s15, v9
	v_and_b32_e32 v189, 0x3030303, v8
	v_add_u32_e32 v8, 0x3190, v10
	ds_read2_b32 v[8:9], v8 offset1:1
	v_dot4c_i32_i8_e32 v205, v188, v6
	v_dot4c_i32_i8_e32 v205, v189, v7
	;; [unrolled: 9-line block ×3, first 2 shown]
	s_waitcnt lgkmcnt(0)
	v_ashrrev_i32_e32 v8, s15, v8
	v_and_b32_e32 v161, 0x3030303, v8
	v_ashrrev_i32_e32 v8, s15, v9
	v_and_b32_e32 v162, 0x3030303, v8
	v_add3_u32 v8, s17, v155, v156
	ds_read_b32 v8, v8
	v_dot4c_i32_i8_e32 v206, v161, v2
	v_dot4c_i32_i8_e32 v206, v162, v3
	s_add_i32 s15, s14, 2
	s_cmp_lt_u32 s14, 30
	s_waitcnt lgkmcnt(0)
	v_cvt_f32_f16_e32 v104, v8
	v_cvt_f32_f16_sdwa v106, v8 dst_sel:DWORD dst_unused:UNUSED_PAD src0_sel:WORD_1
	ds_read_b128 v[12:15], v113 offset:1024
	ds_read_b128 v[8:11], v113 offset:1040
	ds_read_u16 v123, v123 offset:25072
	s_mov_b32 s14, s15
	s_waitcnt lgkmcnt(2)
	v_dot4c_i32_i8_e32 v199, v177, v12
	v_dot4c_i32_i8_e32 v199, v171, v13
	s_waitcnt lgkmcnt(0)
	v_bfe_u32 v191, v123, 4, 4
	v_mul_lo_u32 v194, v191, s9
	v_dot4c_i32_i8_e32 v210, v194, v4
	v_dot4c_i32_i8_e32 v211, v194, v12
	;; [unrolled: 1-line block ×5, first 2 shown]
	v_lshrrev_b32_sdwa v191, v157, v123 dst_sel:DWORD dst_unused:UNUSED_PAD src0_sel:DWORD src1_sel:BYTE_1
	v_dot4c_i32_i8_e32 v211, v194, v14
	v_dot4c_i32_i8_e32 v210, v194, v7
	v_mul_lo_u32 v193, v191, s9
	v_dot4c_i32_i8_e32 v211, v194, v15
	v_dot4c_i32_i8_e32 v203, v163, v8
	;; [unrolled: 1-line block ×7, first 2 shown]
	v_and_b32_sdwa v191, v123, v158 dst_sel:DWORD dst_unused:UNUSED_PAD src0_sel:BYTE_1 src1_sel:DWORD
	v_and_b32_e32 v123, 15, v123
	v_dot4c_i32_i8_e32 v211, v193, v9
	v_dot4c_i32_i8_e32 v199, v173, v15
	v_dot4c_i32_i8_e32 v203, v165, v10
	v_dot4c_i32_i8_e32 v210, v193, v2
	v_and_b32_e32 v192, 0xffff, v123
	v_and_b32_e32 v191, 0xffff, v191
	v_dot4c_i32_i8_e32 v211, v193, v10
	v_dot4c_i32_i8_e32 v203, v166, v11
	;; [unrolled: 1-line block ×3, first 2 shown]
	v_mul_lo_u32 v198, v197, v191
	v_mul_lo_u32 v208, v199, v192
	v_dot4c_i32_i8_e32 v211, v193, v11
	v_mad_u64_u32 v[208:209], s[16:17], v203, v191, v[208:209]
	v_mad_u64_u32 v[122:123], s[16:17], v122, v192, v[198:199]
	v_cvt_f32_i32_e32 v199, v210
	v_cvt_f32_i32_e32 v198, v211
	;; [unrolled: 1-line block ×4, first 2 shown]
	v_mov_b32_e32 v208, 0
	v_pk_mul_f32 v[198:199], v[110:111], v[198:199] op_sel_hi:[0,1]
	v_mov_b32_e32 v209, 0
	v_pk_fma_f32 v[198:199], v[108:109], v[122:123], v[198:199] op_sel_hi:[0,1,1] neg_lo:[0,0,1] neg_hi:[0,0,1]
	v_mov_b32_e32 v123, v120
	ds_read_u16 v120, v195 offset:26096
	v_mov_b32_e32 v122, v121
	v_pk_fma_f32 v[50:51], v[122:123], v[198:199], v[50:51]
	v_mov_b32_e32 v121, 0
	v_dot4c_i32_i8_e32 v121, v182, v12
	s_waitcnt lgkmcnt(0)
	v_bfe_u32 v195, v120, 4, 4
	v_mul_lo_u32 v199, v195, s9
	v_dot4c_i32_i8_e32 v208, v199, v4
	v_dot4c_i32_i8_e32 v209, v199, v12
	;; [unrolled: 1-line block ×4, first 2 shown]
	v_mov_b32_e32 v203, 0
	v_dot4c_i32_i8_e32 v208, v199, v6
	v_lshrrev_b32_sdwa v195, v157, v120 dst_sel:DWORD dst_unused:UNUSED_PAD src0_sel:DWORD src1_sel:BYTE_1
	v_dot4c_i32_i8_e32 v209, v199, v14
	v_dot4c_i32_i8_e32 v121, v174, v13
	;; [unrolled: 1-line block ×4, first 2 shown]
	v_mul_lo_u32 v198, v195, s9
	v_dot4c_i32_i8_e32 v209, v199, v15
	v_dot4c_i32_i8_e32 v121, v178, v14
	;; [unrolled: 1-line block ×4, first 2 shown]
	v_and_b32_sdwa v195, v120, v158 dst_sel:DWORD dst_unused:UNUSED_PAD src0_sel:BYTE_1 src1_sel:DWORD
	v_and_b32_e32 v120, 15, v120
	v_dot4c_i32_i8_e32 v209, v198, v8
	v_dot4c_i32_i8_e32 v121, v179, v15
	;; [unrolled: 1-line block ×4, first 2 shown]
	v_and_b32_e32 v197, 0xffff, v120
	v_and_b32_e32 v195, 0xffff, v195
	v_dot4c_i32_i8_e32 v209, v198, v9
	v_dot4c_i32_i8_e32 v203, v170, v11
	;; [unrolled: 1-line block ×3, first 2 shown]
	v_mul_lo_u32 v120, v202, v195
	v_mul_lo_u32 v202, v121, v197
	v_dot4c_i32_i8_e32 v209, v198, v10
                                        ; kill: def $vgpr121 killed $sgpr0 killed $exec
	v_dot4c_i32_i8_e32 v208, v198, v3
	v_dot4c_i32_i8_e32 v209, v198, v11
	v_mad_u64_u32 v[202:203], s[16:17], v203, v195, v[202:203]
	v_mad_u64_u32 v[120:121], s[16:17], v201, v197, v[120:121]
	v_cvt_f32_i32_e32 v121, v120
	v_cvt_f32_i32_e32 v120, v202
	;; [unrolled: 1-line block ×4, first 2 shown]
	v_mov_b32_e32 v210, 0
	v_mov_b32_e32 v211, 0
	;; [unrolled: 1-line block ×3, first 2 shown]
	v_pk_mul_f32 v[202:203], v[114:115], v[202:203] op_sel_hi:[0,1]
	v_pk_fma_f32 v[120:121], v[112:113], v[120:121], v[202:203] op_sel_hi:[0,1,1] neg_lo:[0,0,1] neg_hi:[0,0,1]
	v_pk_fma_f32 v[66:67], v[122:123], v[120:121], v[66:67]
	ds_read_u16 v120, v200 offset:27120
	v_mov_b32_e32 v121, 0
	v_dot4c_i32_i8_e32 v121, v186, v12
	v_dot4c_i32_i8_e32 v121, v183, v13
	;; [unrolled: 1-line block ×3, first 2 shown]
	s_waitcnt lgkmcnt(0)
	v_bfe_u32 v200, v120, 4, 4
	v_mul_lo_u32 v203, v200, s9
	v_dot4c_i32_i8_e32 v210, v203, v4
	v_dot4c_i32_i8_e32 v211, v203, v12
	;; [unrolled: 1-line block ×5, first 2 shown]
	v_lshrrev_b32_sdwa v200, v157, v120 dst_sel:DWORD dst_unused:UNUSED_PAD src0_sel:DWORD src1_sel:BYTE_1
	v_dot4c_i32_i8_e32 v211, v203, v14
	v_dot4c_i32_i8_e32 v210, v203, v7
	v_mul_lo_u32 v202, v200, s9
	v_dot4c_i32_i8_e32 v211, v203, v15
	v_dot4c_i32_i8_e32 v121, v184, v14
	;; [unrolled: 1-line block ×4, first 2 shown]
	v_and_b32_sdwa v200, v120, v158 dst_sel:DWORD dst_unused:UNUSED_PAD src0_sel:BYTE_1 src1_sel:DWORD
	v_and_b32_e32 v120, 15, v120
	v_dot4c_i32_i8_e32 v211, v202, v8
	v_dot4c_i32_i8_e32 v121, v185, v15
	;; [unrolled: 1-line block ×4, first 2 shown]
	v_and_b32_e32 v201, 0xffff, v120
	v_and_b32_e32 v200, 0xffff, v200
	v_dot4c_i32_i8_e32 v211, v202, v9
	v_dot4c_i32_i8_e32 v209, v181, v11
	v_dot4c_i32_i8_e32 v210, v202, v2
	v_mul_lo_u32 v120, v207, v200
	v_mul_lo_u32 v208, v121, v201
	v_dot4c_i32_i8_e32 v211, v202, v10
                                        ; kill: def $vgpr121 killed $sgpr0 killed $exec
	v_dot4c_i32_i8_e32 v210, v202, v3
	v_dot4c_i32_i8_e32 v211, v202, v11
	v_mad_u64_u32 v[208:209], s[16:17], v209, v200, v[208:209]
	v_mad_u64_u32 v[120:121], s[16:17], v204, v201, v[120:121]
	v_cvt_f32_i32_e32 v121, v120
	v_cvt_f32_i32_e32 v120, v208
	;; [unrolled: 1-line block ×4, first 2 shown]
	v_mov_b32_e32 v207, 0
	v_dot4c_i32_i8_e32 v207, v190, v12
	v_dot4c_i32_i8_e32 v207, v187, v13
	v_pk_mul_f32 v[208:209], v[118:119], v[208:209] op_sel_hi:[0,1]
	v_pk_fma_f32 v[120:121], v[116:117], v[120:121], v[208:209] op_sel_hi:[0,1,1] neg_lo:[0,0,1] neg_hi:[0,0,1]
	v_pk_fma_f32 v[58:59], v[122:123], v[120:121], v[58:59]
	ds_read_u16 v120, v196 offset:28144
	v_mov_b32_e32 v209, 0
	v_mov_b32_e32 v208, 0
	v_dot4c_i32_i8_e32 v208, v159, v8
	v_dot4c_i32_i8_e32 v207, v188, v14
	s_waitcnt lgkmcnt(0)
	v_bfe_u32 v121, v120, 4, 4
	v_mul_lo_u32 v204, v121, s9
	v_dot4c_i32_i8_e32 v209, v204, v4
	v_lshrrev_b32_sdwa v4, v157, v120 dst_sel:DWORD dst_unused:UNUSED_PAD src0_sel:DWORD src1_sel:BYTE_1
	v_mul_lo_u32 v196, v4, s9
	v_mov_b32_e32 v4, 0
	v_dot4c_i32_i8_e32 v209, v204, v5
	v_dot4c_i32_i8_e32 v4, v204, v12
	;; [unrolled: 1-line block ×10, first 2 shown]
	v_and_b32_sdwa v0, v120, v158 dst_sel:DWORD dst_unused:UNUSED_PAD src0_sel:BYTE_1 src1_sel:DWORD
	v_and_b32_e32 v1, 15, v120
	v_dot4c_i32_i8_e32 v4, v196, v8
	v_dot4c_i32_i8_e32 v207, v189, v15
	v_dot4c_i32_i8_e32 v208, v161, v10
	v_and_b32_e32 v121, 0xffff, v1
	v_and_b32_e32 v120, 0xffff, v0
	v_dot4c_i32_i8_e32 v4, v196, v9
	v_dot4c_i32_i8_e32 v208, v162, v11
	;; [unrolled: 1-line block ×3, first 2 shown]
	v_mul_lo_u32 v0, v206, v120
	v_mul_lo_u32 v2, v207, v121
	v_dot4c_i32_i8_e32 v4, v196, v10
                                        ; kill: def $vgpr1 killed $sgpr0 killed $exec
	v_dot4c_i32_i8_e32 v209, v196, v3
	v_dot4c_i32_i8_e32 v4, v196, v11
	v_mad_u64_u32 v[2:3], s[16:17], v208, v120, v[2:3]
	v_mad_u64_u32 v[0:1], s[16:17], v205, v121, v[0:1]
	v_cvt_f32_i32_e32 v1, v0
	v_cvt_f32_i32_e32 v0, v2
	;; [unrolled: 1-line block ×4, first 2 shown]
	v_mov_b32_e32 v205, 0
	v_mov_b32_e32 v207, 0
	;; [unrolled: 1-line block ×3, first 2 shown]
	v_pk_mul_f32 v[2:3], v[106:107], v[2:3] op_sel_hi:[0,1]
	v_pk_fma_f32 v[0:1], v[104:105], v[0:1], v[2:3] op_sel_hi:[0,1,1] neg_lo:[0,0,1] neg_hi:[0,0,1]
	v_pk_fma_f32 v[52:53], v[122:123], v[0:1], v[52:53]
	ds_read2_b32 v[8:9], v115 offset0:64 offset1:96
	ds_read_b128 v[4:7], v113 offset:2048
	ds_read_b128 v[0:3], v113 offset:2064
	v_mov_b32_e32 v10, 0
	v_mov_b32_e32 v15, 0
	;; [unrolled: 1-line block ×3, first 2 shown]
	s_waitcnt lgkmcnt(1)
	v_dot4c_i32_i8_e32 v205, v194, v4
	v_dot4c_i32_i8_e32 v207, v199, v4
	;; [unrolled: 1-line block ×13, first 2 shown]
	v_mov_b32_e32 v206, 0
	v_dot4c_i32_i8_e32 v207, v199, v7
	v_mov_b32_e32 v208, 0
	v_mov_b32_e32 v13, 0
	v_dot4c_i32_i8_e32 v12, v203, v7
	v_mov_b32_e32 v209, 0
	;; [unrolled: 3-line block ×3, first 2 shown]
	v_dot4c_i32_i8_e32 v15, v177, v4
	s_waitcnt lgkmcnt(0)
	v_dot4c_i32_i8_e32 v122, v163, v0
	v_dot4c_i32_i8_e32 v205, v193, v0
	v_dot4c_i32_i8_e32 v206, v182, v4
	v_dot4c_i32_i8_e32 v208, v167, v0
	v_dot4c_i32_i8_e32 v207, v198, v0
	v_dot4c_i32_i8_e32 v13, v186, v4
	v_dot4c_i32_i8_e32 v209, v175, v0
	v_dot4c_i32_i8_e32 v12, v202, v0
	v_dot4c_i32_i8_e32 v11, v190, v4
	v_dot4c_i32_i8_e32 v210, v159, v0
	v_dot4c_i32_i8_e32 v10, v196, v0
	v_dot4c_i32_i8_e32 v15, v171, v5
	v_dot4c_i32_i8_e32 v122, v164, v1
	v_dot4c_i32_i8_e32 v205, v193, v1
	v_dot4c_i32_i8_e32 v206, v174, v5
	v_dot4c_i32_i8_e32 v208, v168, v1
	v_dot4c_i32_i8_e32 v207, v198, v1
	v_dot4c_i32_i8_e32 v13, v183, v5
	v_dot4c_i32_i8_e32 v209, v176, v1
	v_dot4c_i32_i8_e32 v12, v202, v1
	v_dot4c_i32_i8_e32 v11, v187, v5
	v_dot4c_i32_i8_e32 v210, v160, v1
	v_dot4c_i32_i8_e32 v10, v196, v1
	v_dot4c_i32_i8_e32 v15, v172, v6
	v_dot4c_i32_i8_e32 v122, v165, v2
	v_dot4c_i32_i8_e32 v205, v193, v2
	v_dot4c_i32_i8_e32 v206, v178, v6
	v_dot4c_i32_i8_e32 v208, v169, v2
	v_dot4c_i32_i8_e32 v207, v198, v2
	v_dot4c_i32_i8_e32 v13, v184, v6
	v_dot4c_i32_i8_e32 v209, v180, v2
	v_dot4c_i32_i8_e32 v12, v202, v2
	v_dot4c_i32_i8_e32 v11, v188, v6
	v_dot4c_i32_i8_e32 v210, v161, v2
	v_dot4c_i32_i8_e32 v10, v196, v2
	v_dot4c_i32_i8_e32 v15, v173, v7
	v_dot4c_i32_i8_e32 v122, v166, v3
	v_dot4c_i32_i8_e32 v205, v193, v3
	v_dot4c_i32_i8_e32 v206, v179, v7
	v_dot4c_i32_i8_e32 v208, v170, v3
	v_dot4c_i32_i8_e32 v207, v198, v3
	v_dot4c_i32_i8_e32 v13, v185, v7
	v_dot4c_i32_i8_e32 v209, v181, v3
	v_dot4c_i32_i8_e32 v12, v202, v3
	v_dot4c_i32_i8_e32 v11, v189, v7
	v_dot4c_i32_i8_e32 v210, v162, v3
	v_dot4c_i32_i8_e32 v10, v196, v3
	ds_read_b128 v[4:7], v113 offset:3072
	ds_read_b128 v[0:3], v113 offset:3088
	v_mov_b32_e32 v211, 0
	v_mov_b32_e32 v14, 0
	v_mul_lo_u32 v122, v122, v191
	s_waitcnt lgkmcnt(1)
	v_dot4c_i32_i8_e32 v211, v194, v4
	v_dot4c_i32_i8_e32 v211, v194, v5
	;; [unrolled: 1-line block ×6, first 2 shown]
	s_waitcnt lgkmcnt(0)
	v_dot4c_i32_i8_e32 v212, v163, v0
	v_dot4c_i32_i8_e32 v14, v172, v6
	;; [unrolled: 1-line block ×7, first 2 shown]
                                        ; kill: def $vgpr123 killed $sgpr0 killed $exec
	v_dot4c_i32_i8_e32 v211, v193, v2
	v_dot4c_i32_i8_e32 v212, v166, v3
	v_mul_lo_u32 v14, v14, v192
	v_mad_u64_u32 v[122:123], s[16:17], v15, v192, v[122:123]
                                        ; kill: def $vgpr15 killed $sgpr0 killed $exec
	v_dot4c_i32_i8_e32 v211, v193, v3
	v_mad_u64_u32 v[14:15], s[16:17], v212, v191, v[14:15]
	v_cvt_f32_i32_e32 v15, v14
	v_cvt_f32_i32_e32 v14, v122
	;; [unrolled: 1-line block ×4, first 2 shown]
	v_mov_b32_e32 v205, 0
	v_dot4c_i32_i8_e32 v205, v199, v4
	v_dot4c_i32_i8_e32 v205, v199, v5
	v_pk_mul_f32 v[122:123], v[110:111], v[122:123] op_sel_hi:[0,1]
	v_pk_fma_f32 v[14:15], v[108:109], v[14:15], v[122:123] op_sel_hi:[0,1,1] neg_lo:[0,0,1] neg_hi:[0,0,1]
	v_pk_fma_f32 v[38:39], v[8:9], v[14:15], v[38:39]
	v_mov_b32_e32 v14, 0
	v_dot4c_i32_i8_e32 v14, v182, v4
	v_dot4c_i32_i8_e32 v205, v199, v6
	v_mov_b32_e32 v15, 0
	v_dot4c_i32_i8_e32 v14, v174, v5
	v_dot4c_i32_i8_e32 v205, v199, v7
	v_dot4c_i32_i8_e32 v15, v167, v0
	v_dot4c_i32_i8_e32 v14, v178, v6
	v_dot4c_i32_i8_e32 v205, v198, v0
	v_dot4c_i32_i8_e32 v15, v168, v1
	v_dot4c_i32_i8_e32 v14, v179, v7
	v_dot4c_i32_i8_e32 v205, v198, v1
	v_dot4c_i32_i8_e32 v15, v169, v2
	v_dot4c_i32_i8_e32 v205, v198, v2
	v_dot4c_i32_i8_e32 v15, v170, v3
	v_mul_lo_u32 v14, v14, v197
	v_mul_lo_u32 v122, v208, v195
                                        ; kill: def $vgpr123 killed $sgpr0 killed $exec
	v_dot4c_i32_i8_e32 v205, v198, v3
	v_mad_u64_u32 v[122:123], s[16:17], v206, v197, v[122:123]
	v_mad_u64_u32 v[14:15], s[16:17], v15, v195, v[14:15]
	v_cvt_f32_i32_e32 v15, v14
	v_cvt_f32_i32_e32 v14, v122
	;; [unrolled: 1-line block ×4, first 2 shown]
	v_mov_b32_e32 v205, 0
	v_dot4c_i32_i8_e32 v205, v203, v4
	v_dot4c_i32_i8_e32 v205, v203, v5
	v_pk_mul_f32 v[122:123], v[114:115], v[122:123] op_sel_hi:[0,1]
	v_pk_fma_f32 v[14:15], v[112:113], v[14:15], v[122:123] op_sel_hi:[0,1,1] neg_lo:[0,0,1] neg_hi:[0,0,1]
	v_pk_fma_f32 v[36:37], v[8:9], v[14:15], v[36:37]
	v_mov_b32_e32 v14, 0
	v_dot4c_i32_i8_e32 v205, v203, v6
	v_dot4c_i32_i8_e32 v14, v186, v4
	;; [unrolled: 1-line block ×3, first 2 shown]
	v_mov_b32_e32 v15, 0
	v_dot4c_i32_i8_e32 v14, v183, v5
	v_dot4c_i32_i8_e32 v15, v175, v0
	;; [unrolled: 1-line block ×11, first 2 shown]
	v_mul_lo_u32 v14, v14, v201
	v_mul_lo_u32 v122, v209, v200
                                        ; kill: def $vgpr123 killed $sgpr0 killed $exec
	v_mad_u64_u32 v[14:15], s[16:17], v15, v200, v[14:15]
	v_mad_u64_u32 v[122:123], s[16:17], v13, v201, v[122:123]
	v_cvt_f32_i32_e32 v13, v205
	v_cvt_f32_i32_e32 v12, v12
	;; [unrolled: 1-line block ×4, first 2 shown]
	v_mov_b32_e32 v205, 0
	v_pk_mul_f32 v[12:13], v[118:119], v[12:13] op_sel_hi:[0,1]
	v_mov_b32_e32 v207, 0
	v_pk_fma_f32 v[12:13], v[116:117], v[14:15], v[12:13] op_sel_hi:[0,1,1] neg_lo:[0,0,1] neg_hi:[0,0,1]
	v_pk_fma_f32 v[34:35], v[8:9], v[12:13], v[34:35]
	v_mov_b32_e32 v13, 0
	v_dot4c_i32_i8_e32 v13, v204, v4
	v_mov_b32_e32 v12, 0
	v_dot4c_i32_i8_e32 v13, v204, v5
	v_dot4c_i32_i8_e32 v12, v190, v4
	v_dot4c_i32_i8_e32 v13, v204, v6
	v_mov_b32_e32 v4, 0
	v_dot4c_i32_i8_e32 v12, v187, v5
	v_dot4c_i32_i8_e32 v13, v204, v7
	;; [unrolled: 1-line block ×11, first 2 shown]
	v_mul_lo_u32 v0, v12, v121
	v_mul_lo_u32 v2, v210, v120
                                        ; kill: def $vgpr1 killed $sgpr0 killed $exec
	v_dot4c_i32_i8_e32 v13, v196, v3
	v_mad_u64_u32 v[2:3], s[16:17], v11, v121, v[2:3]
	v_mad_u64_u32 v[0:1], s[16:17], v4, v120, v[0:1]
	v_cvt_f32_i32_e32 v1, v0
	v_cvt_f32_i32_e32 v0, v2
	;; [unrolled: 1-line block ×4, first 2 shown]
	v_mov_b32_e32 v12, 0
	v_mov_b32_e32 v10, 0
	;; [unrolled: 1-line block ×3, first 2 shown]
	v_pk_mul_f32 v[2:3], v[106:107], v[2:3] op_sel_hi:[0,1]
	v_pk_fma_f32 v[0:1], v[104:105], v[0:1], v[2:3] op_sel_hi:[0,1,1] neg_lo:[0,0,1] neg_hi:[0,0,1]
	v_pk_fma_f32 v[32:33], v[8:9], v[0:1], v[32:33]
	ds_read2_b32 v[8:9], v115 offset0:128 offset1:160
	ds_read_b128 v[4:7], v113 offset:4096
	ds_read_b128 v[0:3], v113 offset:4112
	v_mov_b32_e32 v122, 0
	v_mov_b32_e32 v206, 0
	;; [unrolled: 1-line block ×3, first 2 shown]
	s_waitcnt lgkmcnt(1)
	v_dot4c_i32_i8_e32 v205, v194, v4
	v_dot4c_i32_i8_e32 v207, v199, v4
	;; [unrolled: 1-line block ×14, first 2 shown]
	v_mov_b32_e32 v13, 0
	v_dot4c_i32_i8_e32 v12, v203, v7
	v_mov_b32_e32 v209, 0
	v_mov_b32_e32 v11, 0
	v_dot4c_i32_i8_e32 v10, v204, v7
	v_mov_b32_e32 v210, 0
	v_dot4c_i32_i8_e32 v15, v177, v4
	s_waitcnt lgkmcnt(0)
	v_dot4c_i32_i8_e32 v122, v163, v0
	v_dot4c_i32_i8_e32 v205, v193, v0
	;; [unrolled: 1-line block ×47, first 2 shown]
	ds_read_b128 v[4:7], v113 offset:5120
	ds_read_b128 v[0:3], v113 offset:5136
	v_mov_b32_e32 v211, 0
	v_mov_b32_e32 v14, 0
	;; [unrolled: 1-line block ×3, first 2 shown]
	s_waitcnt lgkmcnt(1)
	v_dot4c_i32_i8_e32 v211, v194, v4
	v_dot4c_i32_i8_e32 v211, v194, v5
	;; [unrolled: 1-line block ×6, first 2 shown]
	s_waitcnt lgkmcnt(0)
	v_dot4c_i32_i8_e32 v212, v163, v0
	v_dot4c_i32_i8_e32 v14, v172, v6
	;; [unrolled: 1-line block ×7, first 2 shown]
	v_mul_lo_u32 v122, v122, v191
                                        ; kill: def $vgpr123 killed $sgpr0 killed $exec
	v_dot4c_i32_i8_e32 v211, v193, v2
	v_dot4c_i32_i8_e32 v212, v166, v3
	v_mul_lo_u32 v14, v14, v192
	v_mad_u64_u32 v[122:123], s[16:17], v15, v192, v[122:123]
                                        ; kill: def $vgpr15 killed $sgpr0 killed $exec
	v_dot4c_i32_i8_e32 v211, v193, v3
	v_mad_u64_u32 v[14:15], s[16:17], v212, v191, v[14:15]
	v_cvt_f32_i32_e32 v15, v14
	v_cvt_f32_i32_e32 v14, v122
	;; [unrolled: 1-line block ×4, first 2 shown]
	v_mov_b32_e32 v205, 0
	v_dot4c_i32_i8_e32 v205, v199, v4
	v_dot4c_i32_i8_e32 v205, v199, v5
	v_pk_mul_f32 v[122:123], v[110:111], v[122:123] op_sel_hi:[0,1]
	v_pk_fma_f32 v[14:15], v[108:109], v[14:15], v[122:123] op_sel_hi:[0,1,1] neg_lo:[0,0,1] neg_hi:[0,0,1]
	v_pk_fma_f32 v[30:31], v[8:9], v[14:15], v[30:31]
	v_mov_b32_e32 v14, 0
	v_dot4c_i32_i8_e32 v14, v182, v4
	v_dot4c_i32_i8_e32 v205, v199, v6
	v_mov_b32_e32 v15, 0
	v_dot4c_i32_i8_e32 v14, v174, v5
	v_dot4c_i32_i8_e32 v205, v199, v7
	;; [unrolled: 1-line block ×11, first 2 shown]
	v_mul_lo_u32 v14, v14, v197
	v_mul_lo_u32 v122, v208, v195
                                        ; kill: def $vgpr123 killed $sgpr0 killed $exec
	v_dot4c_i32_i8_e32 v205, v198, v3
	v_mad_u64_u32 v[122:123], s[16:17], v206, v197, v[122:123]
	v_mad_u64_u32 v[14:15], s[16:17], v15, v195, v[14:15]
	v_cvt_f32_i32_e32 v15, v14
	v_cvt_f32_i32_e32 v14, v122
	v_cvt_f32_i32_e32 v123, v205
	v_cvt_f32_i32_e32 v122, v207
	v_mov_b32_e32 v205, 0
	v_dot4c_i32_i8_e32 v205, v203, v4
	v_dot4c_i32_i8_e32 v205, v203, v5
	v_pk_mul_f32 v[122:123], v[114:115], v[122:123] op_sel_hi:[0,1]
	v_pk_fma_f32 v[14:15], v[112:113], v[14:15], v[122:123] op_sel_hi:[0,1,1] neg_lo:[0,0,1] neg_hi:[0,0,1]
	v_pk_fma_f32 v[28:29], v[8:9], v[14:15], v[28:29]
	v_mov_b32_e32 v14, 0
	v_dot4c_i32_i8_e32 v205, v203, v6
	v_dot4c_i32_i8_e32 v14, v186, v4
	;; [unrolled: 1-line block ×3, first 2 shown]
	v_mov_b32_e32 v15, 0
	v_dot4c_i32_i8_e32 v14, v183, v5
	v_dot4c_i32_i8_e32 v15, v175, v0
	;; [unrolled: 1-line block ×11, first 2 shown]
	v_mul_lo_u32 v14, v14, v201
	v_mul_lo_u32 v122, v209, v200
                                        ; kill: def $vgpr123 killed $sgpr0 killed $exec
	v_mad_u64_u32 v[14:15], s[16:17], v15, v200, v[14:15]
	v_mad_u64_u32 v[122:123], s[16:17], v13, v201, v[122:123]
	v_cvt_f32_i32_e32 v13, v205
	v_cvt_f32_i32_e32 v12, v12
	;; [unrolled: 1-line block ×4, first 2 shown]
	v_mov_b32_e32 v205, 0
	v_pk_mul_f32 v[12:13], v[118:119], v[12:13] op_sel_hi:[0,1]
	v_mov_b32_e32 v207, 0
	v_pk_fma_f32 v[12:13], v[116:117], v[14:15], v[12:13] op_sel_hi:[0,1,1] neg_lo:[0,0,1] neg_hi:[0,0,1]
	v_pk_fma_f32 v[26:27], v[8:9], v[12:13], v[26:27]
	v_mov_b32_e32 v13, 0
	v_dot4c_i32_i8_e32 v13, v204, v4
	v_mov_b32_e32 v12, 0
	v_dot4c_i32_i8_e32 v13, v204, v5
	v_dot4c_i32_i8_e32 v12, v190, v4
	v_dot4c_i32_i8_e32 v13, v204, v6
	v_mov_b32_e32 v4, 0
	v_dot4c_i32_i8_e32 v12, v187, v5
	v_dot4c_i32_i8_e32 v13, v204, v7
	;; [unrolled: 1-line block ×11, first 2 shown]
	v_mul_lo_u32 v0, v12, v121
	v_mul_lo_u32 v2, v210, v120
                                        ; kill: def $vgpr1 killed $sgpr0 killed $exec
	v_dot4c_i32_i8_e32 v13, v196, v3
	v_mad_u64_u32 v[2:3], s[16:17], v11, v121, v[2:3]
	v_mad_u64_u32 v[0:1], s[16:17], v4, v120, v[0:1]
	v_cvt_f32_i32_e32 v1, v0
	v_cvt_f32_i32_e32 v0, v2
	;; [unrolled: 1-line block ×4, first 2 shown]
	v_mov_b32_e32 v13, 0
	v_mov_b32_e32 v10, 0
	;; [unrolled: 1-line block ×3, first 2 shown]
	v_pk_mul_f32 v[2:3], v[106:107], v[2:3] op_sel_hi:[0,1]
	v_pk_fma_f32 v[0:1], v[104:105], v[0:1], v[2:3] op_sel_hi:[0,1,1] neg_lo:[0,0,1] neg_hi:[0,0,1]
	v_pk_fma_f32 v[24:25], v[8:9], v[0:1], v[24:25]
	ds_read2_b32 v[8:9], v115 offset0:192 offset1:224
	ds_read_b128 v[4:7], v113 offset:6144
	ds_read_b128 v[0:3], v113 offset:6160
	v_mov_b32_e32 v123, 0
	v_mov_b32_e32 v206, 0
	v_mov_b32_e32 v208, 0
	s_waitcnt lgkmcnt(1)
	v_dot4c_i32_i8_e32 v205, v194, v4
	v_dot4c_i32_i8_e32 v207, v199, v4
	;; [unrolled: 1-line block ×14, first 2 shown]
	v_mov_b32_e32 v14, 0
	v_dot4c_i32_i8_e32 v13, v203, v7
	v_mov_b32_e32 v209, 0
	v_mov_b32_e32 v11, 0
	v_dot4c_i32_i8_e32 v10, v204, v7
	v_mov_b32_e32 v12, 0
	v_dot4c_i32_i8_e32 v15, v177, v4
	s_waitcnt lgkmcnt(0)
	v_dot4c_i32_i8_e32 v123, v163, v0
	v_dot4c_i32_i8_e32 v205, v193, v0
	;; [unrolled: 1-line block ×47, first 2 shown]
	ds_read_b128 v[4:7], v113 offset:7168
	ds_read_b128 v[0:3], v113 offset:7184
	v_mov_b32_e32 v122, 0
	s_waitcnt lgkmcnt(1)
	v_dot4c_i32_i8_e32 v122, v177, v4
	v_mov_b32_e32 v177, 0
	v_dot4c_i32_i8_e32 v177, v194, v4
	v_dot4c_i32_i8_e32 v177, v194, v5
	;; [unrolled: 1-line block ×4, first 2 shown]
	v_mov_b32_e32 v171, 0
	v_dot4c_i32_i8_e32 v177, v194, v7
	s_waitcnt lgkmcnt(0)
	v_dot4c_i32_i8_e32 v171, v163, v0
	v_dot4c_i32_i8_e32 v122, v172, v6
	;; [unrolled: 1-line block ×9, first 2 shown]
	v_mul_lo_u32 v122, v122, v192
	v_mul_lo_u32 v164, v123, v191
                                        ; kill: def $vgpr123 killed $sgpr0 killed $exec
	v_dot4c_i32_i8_e32 v177, v193, v3
	v_mad_u64_u32 v[164:165], s[16:17], v15, v192, v[164:165]
	v_mad_u64_u32 v[122:123], s[16:17], v171, v191, v[122:123]
	v_cvt_f32_i32_e32 v123, v122
	v_cvt_f32_i32_e32 v122, v164
	;; [unrolled: 1-line block ×4, first 2 shown]
	v_mov_b32_e32 v163, 0
	v_dot4c_i32_i8_e32 v163, v199, v4
	v_mov_b32_e32 v15, 0
	v_pk_mul_f32 v[164:165], v[110:111], v[164:165] op_sel_hi:[0,1]
	v_dot4c_i32_i8_e32 v163, v199, v5
	v_pk_fma_f32 v[122:123], v[108:109], v[122:123], v[164:165] op_sel_hi:[0,1,1] neg_lo:[0,0,1] neg_hi:[0,0,1]
	v_dot4c_i32_i8_e32 v15, v182, v4
	v_dot4c_i32_i8_e32 v163, v199, v6
	v_mov_b32_e32 v164, 0
	v_dot4c_i32_i8_e32 v15, v174, v5
	v_dot4c_i32_i8_e32 v163, v199, v7
	;; [unrolled: 1-line block ×11, first 2 shown]
	v_mul_lo_u32 v108, v15, v197
	v_mul_lo_u32 v110, v208, v195
	v_pk_fma_f32 v[22:23], v[8:9], v[122:123], v[22:23]
	v_dot4c_i32_i8_e32 v163, v198, v3
	v_mad_u64_u32 v[122:123], s[16:17], v206, v197, v[110:111]
	v_mad_u64_u32 v[164:165], s[16:17], v164, v195, v[108:109]
	v_cvt_f32_i32_e32 v123, v164
	v_cvt_f32_i32_e32 v165, v163
	;; [unrolled: 1-line block ×4, first 2 shown]
	v_mov_b32_e32 v15, 0
	v_dot4c_i32_i8_e32 v15, v186, v4
	v_pk_mul_f32 v[164:165], v[114:115], v[164:165] op_sel_hi:[0,1]
	v_pk_fma_f32 v[122:123], v[112:113], v[122:123], v[164:165] op_sel_hi:[0,1,1] neg_lo:[0,0,1] neg_hi:[0,0,1]
	v_mov_b32_e32 v112, 0
	v_dot4c_i32_i8_e32 v112, v203, v4
	v_dot4c_i32_i8_e32 v112, v203, v5
	;; [unrolled: 1-line block ×3, first 2 shown]
	v_mov_b32_e32 v114, 0
	v_dot4c_i32_i8_e32 v15, v183, v5
	v_dot4c_i32_i8_e32 v112, v203, v7
	;; [unrolled: 1-line block ×11, first 2 shown]
	v_mul_lo_u32 v108, v15, v201
	v_mul_lo_u32 v110, v209, v200
	v_pk_fma_f32 v[20:21], v[8:9], v[122:123], v[20:21]
	v_dot4c_i32_i8_e32 v112, v202, v3
	v_mad_u64_u32 v[14:15], s[16:17], v14, v201, v[110:111]
	v_mad_u64_u32 v[122:123], s[16:17], v114, v200, v[108:109]
	v_cvt_f32_i32_e32 v15, v122
	v_cvt_f32_i32_e32 v123, v112
	;; [unrolled: 1-line block ×4, first 2 shown]
	v_mov_b32_e32 v13, 0
	v_dot4c_i32_i8_e32 v13, v190, v4
	v_pk_mul_f32 v[122:123], v[118:119], v[122:123] op_sel_hi:[0,1]
	v_pk_fma_f32 v[14:15], v[116:117], v[14:15], v[122:123] op_sel_hi:[0,1,1] neg_lo:[0,0,1] neg_hi:[0,0,1]
	v_pk_fma_f32 v[18:19], v[8:9], v[14:15], v[18:19]
	v_mov_b32_e32 v14, 0
	v_dot4c_i32_i8_e32 v14, v204, v4
	v_dot4c_i32_i8_e32 v14, v204, v5
	;; [unrolled: 1-line block ×3, first 2 shown]
	v_mov_b32_e32 v4, 0
	v_dot4c_i32_i8_e32 v13, v187, v5
	v_dot4c_i32_i8_e32 v14, v204, v7
	;; [unrolled: 1-line block ×11, first 2 shown]
	v_mul_lo_u32 v0, v13, v121
	v_mul_lo_u32 v2, v12, v120
                                        ; kill: def $vgpr1 killed $sgpr0 killed $exec
	v_dot4c_i32_i8_e32 v14, v196, v3
	v_mad_u64_u32 v[2:3], s[16:17], v11, v121, v[2:3]
	v_mad_u64_u32 v[0:1], s[16:17], v4, v120, v[0:1]
	v_cvt_f32_i32_e32 v1, v0
	v_cvt_f32_i32_e32 v0, v2
	;; [unrolled: 1-line block ×4, first 2 shown]
	v_add_u32_e32 v115, 4, v115
	v_add_u32_e32 v113, 32, v113
	v_pk_mul_f32 v[2:3], v[106:107], v[2:3] op_sel_hi:[0,1]
	v_pk_fma_f32 v[0:1], v[104:105], v[0:1], v[2:3] op_sel_hi:[0,1,1] neg_lo:[0,0,1] neg_hi:[0,0,1]
	v_pk_fma_f32 v[16:17], v[8:9], v[0:1], v[16:17]
	s_cbranch_scc1 .LBB167_14
; %bb.15:                               ;   in Loop: Header=BB167_6 Depth=1
	s_barrier
	s_branch .LBB167_5
.LBB167_16:
	v_mov_b32_e32 v16, 0
	v_mov_b32_e32 v17, v16
	v_mov_b64_e32 v[24:25], v[16:17]
	v_mov_b64_e32 v[32:33], v[16:17]
	;; [unrolled: 1-line block ×15, first 2 shown]
	v_cmp_gt_u32_e32 vcc, s8, v49
	s_and_saveexec_b64 s[0:1], vcc
	s_cbranch_execnz .LBB167_19
.LBB167_17:
	s_endpgm
.LBB167_18:
	v_mov_b32_e32 v1, v45
	v_cmp_gt_u32_e32 vcc, s8, v49
	s_and_saveexec_b64 s[0:1], vcc
	s_cbranch_execz .LBB167_17
.LBB167_19:
	v_add_u32_e32 v0, s6, v41
	v_mul_lo_u32 v5, v49, s10
	v_cmp_gt_u32_e64 s[0:1], s10, v0
	s_and_saveexec_b64 s[2:3], s[0:1]
	s_cbranch_execz .LBB167_21
; %bb.20:
	v_bfe_u32 v2, v51, 16, 1
	s_movk_i32 s4, 0x7fff
	v_add3_u32 v2, v51, v2, s4
	v_cmp_o_f32_e32 vcc, v51, v51
	v_mov_b32_e32 v3, 0x7fc0
	s_nop 0
	v_cndmask_b32_sdwa v4, v3, v2, vcc dst_sel:DWORD dst_unused:UNUSED_PAD src0_sel:DWORD src1_sel:WORD_1
	v_add_u32_e32 v2, v0, v5
	v_mov_b32_e32 v3, 0
	s_waitcnt lgkmcnt(0)
	v_lshl_add_u64 v[2:3], v[2:3], 1, s[12:13]
	global_store_short v[2:3], v4, off
.LBB167_21:
	s_or_b64 exec, exec, s[2:3]
	v_add_u32_e32 v2, 32, v0
	v_cmp_gt_u32_e64 s[2:3], s10, v2
	s_and_saveexec_b64 s[4:5], s[2:3]
	s_cbranch_execz .LBB167_23
; %bb.22:
	v_bfe_u32 v3, v67, 16, 1
	s_movk_i32 s6, 0x7fff
	v_add3_u32 v3, v67, v3, s6
	v_cmp_o_f32_e32 vcc, v67, v67
	v_mov_b32_e32 v4, 0x7fc0
	v_add_u32_e32 v6, v2, v5
	v_mov_b32_e32 v7, 0
	v_cndmask_b32_sdwa v3, v4, v3, vcc dst_sel:DWORD dst_unused:UNUSED_PAD src0_sel:DWORD src1_sel:WORD_1
	s_waitcnt lgkmcnt(0)
	v_lshl_add_u64 v[6:7], v[6:7], 1, s[12:13]
	global_store_short v[6:7], v3, off
.LBB167_23:
	s_or_b64 exec, exec, s[4:5]
	v_add_u32_e32 v3, 64, v0
	v_cmp_gt_u32_e64 s[4:5], s10, v3
	s_and_saveexec_b64 s[6:7], s[4:5]
	s_cbranch_execz .LBB167_25
; %bb.24:
	v_bfe_u32 v4, v59, 16, 1
	s_movk_i32 s9, 0x7fff
	v_add3_u32 v4, v59, v4, s9
	v_cmp_o_f32_e32 vcc, v59, v59
	v_mov_b32_e32 v6, 0x7fc0
	v_mov_b32_e32 v7, 0
	v_cndmask_b32_sdwa v4, v6, v4, vcc dst_sel:DWORD dst_unused:UNUSED_PAD src0_sel:DWORD src1_sel:WORD_1
	v_add_u32_e32 v6, v3, v5
	s_waitcnt lgkmcnt(0)
	v_lshl_add_u64 v[6:7], v[6:7], 1, s[12:13]
	global_store_short v[6:7], v4, off
.LBB167_25:
	s_or_b64 exec, exec, s[6:7]
	v_add_u32_e32 v4, 0x60, v0
	v_cmp_gt_u32_e64 s[6:7], s10, v4
	s_and_saveexec_b64 s[14:15], s[6:7]
	s_cbranch_execz .LBB167_27
; %bb.26:
	v_bfe_u32 v6, v53, 16, 1
	s_movk_i32 s9, 0x7fff
	v_add3_u32 v6, v53, v6, s9
	v_cmp_o_f32_e32 vcc, v53, v53
	v_mov_b32_e32 v7, 0x7fc0
	s_nop 0
	v_cndmask_b32_sdwa v8, v7, v6, vcc dst_sel:DWORD dst_unused:UNUSED_PAD src0_sel:DWORD src1_sel:WORD_1
	v_add_u32_e32 v6, v4, v5
	v_mov_b32_e32 v7, 0
	s_waitcnt lgkmcnt(0)
	v_lshl_add_u64 v[6:7], v[6:7], 1, s[12:13]
	global_store_short v[6:7], v8, off
.LBB167_27:
	s_or_b64 exec, exec, s[14:15]
	v_add3_u32 v5, v1, s11, 8
	v_cmp_gt_u32_e32 vcc, s8, v5
	s_and_b64 exec, exec, vcc
	s_cbranch_execz .LBB167_17
; %bb.28:
	v_mul_lo_u32 v5, v5, s10
	s_and_saveexec_b64 s[14:15], s[0:1]
	s_cbranch_execnz .LBB167_68
; %bb.29:
	s_or_b64 exec, exec, s[14:15]
	s_and_saveexec_b64 s[14:15], s[2:3]
	s_cbranch_execnz .LBB167_69
.LBB167_30:
	s_or_b64 exec, exec, s[14:15]
	s_and_saveexec_b64 s[14:15], s[4:5]
	s_cbranch_execnz .LBB167_70
.LBB167_31:
	s_or_b64 exec, exec, s[14:15]
	s_and_saveexec_b64 s[14:15], s[6:7]
	s_cbranch_execz .LBB167_33
.LBB167_32:
	v_bfe_u32 v6, v52, 16, 1
	s_movk_i32 s9, 0x7fff
	v_add3_u32 v6, v52, v6, s9
	v_cmp_o_f32_e32 vcc, v52, v52
	v_mov_b32_e32 v7, 0x7fc0
	s_nop 0
	v_cndmask_b32_sdwa v8, v7, v6, vcc dst_sel:DWORD dst_unused:UNUSED_PAD src0_sel:DWORD src1_sel:WORD_1
	v_add_u32_e32 v6, v5, v4
	v_mov_b32_e32 v7, 0
	s_waitcnt lgkmcnt(0)
	v_lshl_add_u64 v[6:7], v[6:7], 1, s[12:13]
	global_store_short v[6:7], v8, off
.LBB167_33:
	s_or_b64 exec, exec, s[14:15]
	v_add3_u32 v5, v1, s11, 16
	v_cmp_gt_u32_e32 vcc, s8, v5
	s_and_b64 exec, exec, vcc
	s_cbranch_execz .LBB167_17
; %bb.34:
	v_mul_lo_u32 v5, v5, s10
	s_and_saveexec_b64 s[14:15], s[0:1]
	s_cbranch_execnz .LBB167_71
; %bb.35:
	s_or_b64 exec, exec, s[14:15]
	s_and_saveexec_b64 s[14:15], s[2:3]
	s_cbranch_execnz .LBB167_72
.LBB167_36:
	s_or_b64 exec, exec, s[14:15]
	s_and_saveexec_b64 s[14:15], s[4:5]
	s_cbranch_execnz .LBB167_73
.LBB167_37:
	s_or_b64 exec, exec, s[14:15]
	s_and_saveexec_b64 s[14:15], s[6:7]
	s_cbranch_execz .LBB167_39
.LBB167_38:
	v_bfe_u32 v6, v32, 16, 1
	s_movk_i32 s9, 0x7fff
	v_add3_u32 v6, v32, v6, s9
	v_cmp_o_f32_e32 vcc, v32, v32
	v_mov_b32_e32 v7, 0x7fc0
	s_nop 0
	v_cndmask_b32_sdwa v8, v7, v6, vcc dst_sel:DWORD dst_unused:UNUSED_PAD src0_sel:DWORD src1_sel:WORD_1
	v_add_u32_e32 v6, v5, v4
	v_mov_b32_e32 v7, 0
	s_waitcnt lgkmcnt(0)
	v_lshl_add_u64 v[6:7], v[6:7], 1, s[12:13]
	global_store_short v[6:7], v8, off
.LBB167_39:
	s_or_b64 exec, exec, s[14:15]
	v_add3_u32 v5, v1, s11, 24
	v_cmp_gt_u32_e32 vcc, s8, v5
	s_and_b64 exec, exec, vcc
	s_cbranch_execz .LBB167_17
; %bb.40:
	v_mul_lo_u32 v5, v5, s10
	s_and_saveexec_b64 s[14:15], s[0:1]
	s_cbranch_execnz .LBB167_74
; %bb.41:
	s_or_b64 exec, exec, s[14:15]
	s_and_saveexec_b64 s[14:15], s[2:3]
	s_cbranch_execnz .LBB167_75
.LBB167_42:
	s_or_b64 exec, exec, s[14:15]
	s_and_saveexec_b64 s[14:15], s[4:5]
	s_cbranch_execnz .LBB167_76
.LBB167_43:
	s_or_b64 exec, exec, s[14:15]
	s_and_saveexec_b64 s[14:15], s[6:7]
	s_cbranch_execz .LBB167_45
.LBB167_44:
	v_bfe_u32 v6, v33, 16, 1
	s_movk_i32 s9, 0x7fff
	v_add3_u32 v6, v33, v6, s9
	v_cmp_o_f32_e32 vcc, v33, v33
	v_mov_b32_e32 v7, 0x7fc0
	s_nop 0
	v_cndmask_b32_sdwa v8, v7, v6, vcc dst_sel:DWORD dst_unused:UNUSED_PAD src0_sel:DWORD src1_sel:WORD_1
	v_add_u32_e32 v6, v5, v4
	v_mov_b32_e32 v7, 0
	s_waitcnt lgkmcnt(0)
	v_lshl_add_u64 v[6:7], v[6:7], 1, s[12:13]
	global_store_short v[6:7], v8, off
.LBB167_45:
	s_or_b64 exec, exec, s[14:15]
	v_add3_u32 v5, v1, s11, 32
	v_cmp_gt_u32_e32 vcc, s8, v5
	s_and_b64 exec, exec, vcc
	s_cbranch_execz .LBB167_17
; %bb.46:
	v_mul_lo_u32 v5, v5, s10
	s_and_saveexec_b64 s[14:15], s[0:1]
	s_cbranch_execnz .LBB167_77
; %bb.47:
	s_or_b64 exec, exec, s[14:15]
	s_and_saveexec_b64 s[14:15], s[2:3]
	s_cbranch_execnz .LBB167_78
.LBB167_48:
	s_or_b64 exec, exec, s[14:15]
	s_and_saveexec_b64 s[14:15], s[4:5]
	s_cbranch_execnz .LBB167_79
.LBB167_49:
	s_or_b64 exec, exec, s[14:15]
	s_and_saveexec_b64 s[14:15], s[6:7]
	s_cbranch_execz .LBB167_51
.LBB167_50:
	v_bfe_u32 v6, v24, 16, 1
	s_movk_i32 s9, 0x7fff
	v_add3_u32 v6, v24, v6, s9
	v_cmp_o_f32_e32 vcc, v24, v24
	v_mov_b32_e32 v7, 0x7fc0
	s_nop 0
	v_cndmask_b32_sdwa v8, v7, v6, vcc dst_sel:DWORD dst_unused:UNUSED_PAD src0_sel:DWORD src1_sel:WORD_1
	v_add_u32_e32 v6, v5, v4
	v_mov_b32_e32 v7, 0
	s_waitcnt lgkmcnt(0)
	v_lshl_add_u64 v[6:7], v[6:7], 1, s[12:13]
	global_store_short v[6:7], v8, off
.LBB167_51:
	s_or_b64 exec, exec, s[14:15]
	v_add3_u32 v5, v1, s11, 40
	v_cmp_gt_u32_e32 vcc, s8, v5
	s_and_b64 exec, exec, vcc
	s_cbranch_execz .LBB167_17
; %bb.52:
	v_mul_lo_u32 v5, v5, s10
	s_and_saveexec_b64 s[14:15], s[0:1]
	s_cbranch_execnz .LBB167_80
; %bb.53:
	s_or_b64 exec, exec, s[14:15]
	s_and_saveexec_b64 s[14:15], s[2:3]
	s_cbranch_execnz .LBB167_81
.LBB167_54:
	s_or_b64 exec, exec, s[14:15]
	s_and_saveexec_b64 s[14:15], s[4:5]
	s_cbranch_execnz .LBB167_82
.LBB167_55:
	s_or_b64 exec, exec, s[14:15]
	s_and_saveexec_b64 s[14:15], s[6:7]
	s_cbranch_execz .LBB167_57
.LBB167_56:
	v_bfe_u32 v6, v25, 16, 1
	s_movk_i32 s9, 0x7fff
	v_add3_u32 v6, v25, v6, s9
	v_cmp_o_f32_e32 vcc, v25, v25
	v_mov_b32_e32 v7, 0x7fc0
	s_nop 0
	v_cndmask_b32_sdwa v8, v7, v6, vcc dst_sel:DWORD dst_unused:UNUSED_PAD src0_sel:DWORD src1_sel:WORD_1
	v_add_u32_e32 v6, v5, v4
	v_mov_b32_e32 v7, 0
	s_waitcnt lgkmcnt(0)
	v_lshl_add_u64 v[6:7], v[6:7], 1, s[12:13]
	global_store_short v[6:7], v8, off
.LBB167_57:
	s_or_b64 exec, exec, s[14:15]
	v_add3_u32 v5, v1, s11, 48
	v_cmp_gt_u32_e32 vcc, s8, v5
	s_and_b64 exec, exec, vcc
	s_cbranch_execz .LBB167_17
; %bb.58:
	v_mul_lo_u32 v5, v5, s10
	s_and_saveexec_b64 s[14:15], s[0:1]
	s_cbranch_execnz .LBB167_83
; %bb.59:
	s_or_b64 exec, exec, s[14:15]
	s_and_saveexec_b64 s[14:15], s[2:3]
	s_cbranch_execnz .LBB167_84
.LBB167_60:
	s_or_b64 exec, exec, s[14:15]
	s_and_saveexec_b64 s[14:15], s[4:5]
	s_cbranch_execnz .LBB167_85
.LBB167_61:
	s_or_b64 exec, exec, s[14:15]
	s_and_saveexec_b64 s[14:15], s[6:7]
	s_cbranch_execz .LBB167_63
.LBB167_62:
	v_bfe_u32 v6, v16, 16, 1
	s_movk_i32 s9, 0x7fff
	v_add3_u32 v6, v16, v6, s9
	v_cmp_o_f32_e32 vcc, v16, v16
	v_mov_b32_e32 v7, 0x7fc0
	s_nop 0
	v_cndmask_b32_sdwa v8, v7, v6, vcc dst_sel:DWORD dst_unused:UNUSED_PAD src0_sel:DWORD src1_sel:WORD_1
	v_add_u32_e32 v6, v5, v4
	v_mov_b32_e32 v7, 0
	s_waitcnt lgkmcnt(0)
	v_lshl_add_u64 v[6:7], v[6:7], 1, s[12:13]
	global_store_short v[6:7], v8, off
.LBB167_63:
	s_or_b64 exec, exec, s[14:15]
	v_add3_u32 v1, v1, s11, 56
	v_cmp_gt_u32_e32 vcc, s8, v1
	s_and_b64 exec, exec, vcc
	s_cbranch_execz .LBB167_17
; %bb.64:
	v_mul_lo_u32 v1, v1, s10
	s_and_saveexec_b64 s[8:9], s[0:1]
	s_cbranch_execnz .LBB167_86
; %bb.65:
	s_or_b64 exec, exec, s[8:9]
	s_and_saveexec_b64 s[0:1], s[2:3]
	s_cbranch_execnz .LBB167_87
.LBB167_66:
	s_or_b64 exec, exec, s[0:1]
	s_and_saveexec_b64 s[0:1], s[4:5]
	s_cbranch_execnz .LBB167_88
.LBB167_67:
	s_or_b64 exec, exec, s[0:1]
	s_and_b64 exec, exec, s[6:7]
	s_cbranch_execz .LBB167_17
	s_branch .LBB167_89
.LBB167_68:
	v_bfe_u32 v6, v50, 16, 1
	s_movk_i32 s9, 0x7fff
	v_add3_u32 v6, v50, v6, s9
	v_cmp_o_f32_e32 vcc, v50, v50
	v_mov_b32_e32 v7, 0x7fc0
	s_nop 0
	v_cndmask_b32_sdwa v8, v7, v6, vcc dst_sel:DWORD dst_unused:UNUSED_PAD src0_sel:DWORD src1_sel:WORD_1
	v_add_u32_e32 v6, v5, v0
	v_mov_b32_e32 v7, 0
	s_waitcnt lgkmcnt(0)
	v_lshl_add_u64 v[6:7], v[6:7], 1, s[12:13]
	global_store_short v[6:7], v8, off
	s_or_b64 exec, exec, s[14:15]
	s_and_saveexec_b64 s[14:15], s[2:3]
	s_cbranch_execz .LBB167_30
.LBB167_69:
	v_bfe_u32 v6, v66, 16, 1
	s_movk_i32 s9, 0x7fff
	v_add3_u32 v6, v66, v6, s9
	v_cmp_o_f32_e32 vcc, v66, v66
	v_mov_b32_e32 v7, 0x7fc0
	s_nop 0
	v_cndmask_b32_sdwa v8, v7, v6, vcc dst_sel:DWORD dst_unused:UNUSED_PAD src0_sel:DWORD src1_sel:WORD_1
	v_add_u32_e32 v6, v5, v2
	v_mov_b32_e32 v7, 0
	s_waitcnt lgkmcnt(0)
	v_lshl_add_u64 v[6:7], v[6:7], 1, s[12:13]
	global_store_short v[6:7], v8, off
	s_or_b64 exec, exec, s[14:15]
	s_and_saveexec_b64 s[14:15], s[4:5]
	s_cbranch_execz .LBB167_31
.LBB167_70:
	v_bfe_u32 v6, v58, 16, 1
	s_movk_i32 s9, 0x7fff
	v_add3_u32 v6, v58, v6, s9
	v_cmp_o_f32_e32 vcc, v58, v58
	v_mov_b32_e32 v7, 0x7fc0
	s_nop 0
	v_cndmask_b32_sdwa v8, v7, v6, vcc dst_sel:DWORD dst_unused:UNUSED_PAD src0_sel:DWORD src1_sel:WORD_1
	v_add_u32_e32 v6, v5, v3
	v_mov_b32_e32 v7, 0
	s_waitcnt lgkmcnt(0)
	v_lshl_add_u64 v[6:7], v[6:7], 1, s[12:13]
	global_store_short v[6:7], v8, off
	s_or_b64 exec, exec, s[14:15]
	s_and_saveexec_b64 s[14:15], s[6:7]
	s_cbranch_execnz .LBB167_32
	s_branch .LBB167_33
.LBB167_71:
	v_bfe_u32 v6, v38, 16, 1
	s_movk_i32 s9, 0x7fff
	v_add3_u32 v6, v38, v6, s9
	v_cmp_o_f32_e32 vcc, v38, v38
	v_mov_b32_e32 v7, 0x7fc0
	s_nop 0
	v_cndmask_b32_sdwa v8, v7, v6, vcc dst_sel:DWORD dst_unused:UNUSED_PAD src0_sel:DWORD src1_sel:WORD_1
	v_add_u32_e32 v6, v5, v0
	v_mov_b32_e32 v7, 0
	s_waitcnt lgkmcnt(0)
	v_lshl_add_u64 v[6:7], v[6:7], 1, s[12:13]
	global_store_short v[6:7], v8, off
	s_or_b64 exec, exec, s[14:15]
	s_and_saveexec_b64 s[14:15], s[2:3]
	s_cbranch_execz .LBB167_36
.LBB167_72:
	v_bfe_u32 v6, v36, 16, 1
	s_movk_i32 s9, 0x7fff
	v_add3_u32 v6, v36, v6, s9
	v_cmp_o_f32_e32 vcc, v36, v36
	v_mov_b32_e32 v7, 0x7fc0
	s_nop 0
	v_cndmask_b32_sdwa v8, v7, v6, vcc dst_sel:DWORD dst_unused:UNUSED_PAD src0_sel:DWORD src1_sel:WORD_1
	v_add_u32_e32 v6, v5, v2
	v_mov_b32_e32 v7, 0
	s_waitcnt lgkmcnt(0)
	v_lshl_add_u64 v[6:7], v[6:7], 1, s[12:13]
	global_store_short v[6:7], v8, off
	s_or_b64 exec, exec, s[14:15]
	s_and_saveexec_b64 s[14:15], s[4:5]
	s_cbranch_execz .LBB167_37
.LBB167_73:
	v_bfe_u32 v6, v34, 16, 1
	s_movk_i32 s9, 0x7fff
	v_add3_u32 v6, v34, v6, s9
	v_cmp_o_f32_e32 vcc, v34, v34
	v_mov_b32_e32 v7, 0x7fc0
	s_nop 0
	v_cndmask_b32_sdwa v8, v7, v6, vcc dst_sel:DWORD dst_unused:UNUSED_PAD src0_sel:DWORD src1_sel:WORD_1
	v_add_u32_e32 v6, v5, v3
	v_mov_b32_e32 v7, 0
	s_waitcnt lgkmcnt(0)
	v_lshl_add_u64 v[6:7], v[6:7], 1, s[12:13]
	global_store_short v[6:7], v8, off
	s_or_b64 exec, exec, s[14:15]
	s_and_saveexec_b64 s[14:15], s[6:7]
	s_cbranch_execnz .LBB167_38
	s_branch .LBB167_39
.LBB167_74:
	v_bfe_u32 v6, v39, 16, 1
	s_movk_i32 s9, 0x7fff
	v_add3_u32 v6, v39, v6, s9
	v_cmp_o_f32_e32 vcc, v39, v39
	v_mov_b32_e32 v7, 0x7fc0
	s_nop 0
	v_cndmask_b32_sdwa v8, v7, v6, vcc dst_sel:DWORD dst_unused:UNUSED_PAD src0_sel:DWORD src1_sel:WORD_1
	v_add_u32_e32 v6, v5, v0
	v_mov_b32_e32 v7, 0
	s_waitcnt lgkmcnt(0)
	v_lshl_add_u64 v[6:7], v[6:7], 1, s[12:13]
	global_store_short v[6:7], v8, off
	s_or_b64 exec, exec, s[14:15]
	s_and_saveexec_b64 s[14:15], s[2:3]
	s_cbranch_execz .LBB167_42
.LBB167_75:
	v_bfe_u32 v6, v37, 16, 1
	s_movk_i32 s9, 0x7fff
	v_add3_u32 v6, v37, v6, s9
	v_cmp_o_f32_e32 vcc, v37, v37
	v_mov_b32_e32 v7, 0x7fc0
	s_nop 0
	v_cndmask_b32_sdwa v8, v7, v6, vcc dst_sel:DWORD dst_unused:UNUSED_PAD src0_sel:DWORD src1_sel:WORD_1
	v_add_u32_e32 v6, v5, v2
	v_mov_b32_e32 v7, 0
	s_waitcnt lgkmcnt(0)
	v_lshl_add_u64 v[6:7], v[6:7], 1, s[12:13]
	global_store_short v[6:7], v8, off
	s_or_b64 exec, exec, s[14:15]
	s_and_saveexec_b64 s[14:15], s[4:5]
	s_cbranch_execz .LBB167_43
.LBB167_76:
	v_bfe_u32 v6, v35, 16, 1
	s_movk_i32 s9, 0x7fff
	v_add3_u32 v6, v35, v6, s9
	v_cmp_o_f32_e32 vcc, v35, v35
	v_mov_b32_e32 v7, 0x7fc0
	s_nop 0
	v_cndmask_b32_sdwa v8, v7, v6, vcc dst_sel:DWORD dst_unused:UNUSED_PAD src0_sel:DWORD src1_sel:WORD_1
	v_add_u32_e32 v6, v5, v3
	v_mov_b32_e32 v7, 0
	s_waitcnt lgkmcnt(0)
	v_lshl_add_u64 v[6:7], v[6:7], 1, s[12:13]
	global_store_short v[6:7], v8, off
	s_or_b64 exec, exec, s[14:15]
	s_and_saveexec_b64 s[14:15], s[6:7]
	s_cbranch_execnz .LBB167_44
	s_branch .LBB167_45
.LBB167_77:
	v_bfe_u32 v6, v30, 16, 1
	s_movk_i32 s9, 0x7fff
	v_add3_u32 v6, v30, v6, s9
	v_cmp_o_f32_e32 vcc, v30, v30
	v_mov_b32_e32 v7, 0x7fc0
	s_nop 0
	v_cndmask_b32_sdwa v8, v7, v6, vcc dst_sel:DWORD dst_unused:UNUSED_PAD src0_sel:DWORD src1_sel:WORD_1
	v_add_u32_e32 v6, v5, v0
	v_mov_b32_e32 v7, 0
	s_waitcnt lgkmcnt(0)
	v_lshl_add_u64 v[6:7], v[6:7], 1, s[12:13]
	global_store_short v[6:7], v8, off
	s_or_b64 exec, exec, s[14:15]
	s_and_saveexec_b64 s[14:15], s[2:3]
	s_cbranch_execz .LBB167_48
.LBB167_78:
	v_bfe_u32 v6, v28, 16, 1
	s_movk_i32 s9, 0x7fff
	v_add3_u32 v6, v28, v6, s9
	v_cmp_o_f32_e32 vcc, v28, v28
	v_mov_b32_e32 v7, 0x7fc0
	s_nop 0
	v_cndmask_b32_sdwa v8, v7, v6, vcc dst_sel:DWORD dst_unused:UNUSED_PAD src0_sel:DWORD src1_sel:WORD_1
	v_add_u32_e32 v6, v5, v2
	v_mov_b32_e32 v7, 0
	s_waitcnt lgkmcnt(0)
	v_lshl_add_u64 v[6:7], v[6:7], 1, s[12:13]
	global_store_short v[6:7], v8, off
	s_or_b64 exec, exec, s[14:15]
	s_and_saveexec_b64 s[14:15], s[4:5]
	s_cbranch_execz .LBB167_49
.LBB167_79:
	v_bfe_u32 v6, v26, 16, 1
	s_movk_i32 s9, 0x7fff
	v_add3_u32 v6, v26, v6, s9
	v_cmp_o_f32_e32 vcc, v26, v26
	v_mov_b32_e32 v7, 0x7fc0
	s_nop 0
	v_cndmask_b32_sdwa v8, v7, v6, vcc dst_sel:DWORD dst_unused:UNUSED_PAD src0_sel:DWORD src1_sel:WORD_1
	v_add_u32_e32 v6, v5, v3
	v_mov_b32_e32 v7, 0
	s_waitcnt lgkmcnt(0)
	v_lshl_add_u64 v[6:7], v[6:7], 1, s[12:13]
	global_store_short v[6:7], v8, off
	s_or_b64 exec, exec, s[14:15]
	s_and_saveexec_b64 s[14:15], s[6:7]
	s_cbranch_execnz .LBB167_50
	s_branch .LBB167_51
.LBB167_80:
	v_bfe_u32 v6, v31, 16, 1
	s_movk_i32 s9, 0x7fff
	v_add3_u32 v6, v31, v6, s9
	v_cmp_o_f32_e32 vcc, v31, v31
	v_mov_b32_e32 v7, 0x7fc0
	s_nop 0
	v_cndmask_b32_sdwa v8, v7, v6, vcc dst_sel:DWORD dst_unused:UNUSED_PAD src0_sel:DWORD src1_sel:WORD_1
	v_add_u32_e32 v6, v5, v0
	v_mov_b32_e32 v7, 0
	s_waitcnt lgkmcnt(0)
	v_lshl_add_u64 v[6:7], v[6:7], 1, s[12:13]
	global_store_short v[6:7], v8, off
	s_or_b64 exec, exec, s[14:15]
	s_and_saveexec_b64 s[14:15], s[2:3]
	s_cbranch_execz .LBB167_54
.LBB167_81:
	v_bfe_u32 v6, v29, 16, 1
	s_movk_i32 s9, 0x7fff
	v_add3_u32 v6, v29, v6, s9
	v_cmp_o_f32_e32 vcc, v29, v29
	v_mov_b32_e32 v7, 0x7fc0
	s_nop 0
	v_cndmask_b32_sdwa v8, v7, v6, vcc dst_sel:DWORD dst_unused:UNUSED_PAD src0_sel:DWORD src1_sel:WORD_1
	v_add_u32_e32 v6, v5, v2
	v_mov_b32_e32 v7, 0
	s_waitcnt lgkmcnt(0)
	v_lshl_add_u64 v[6:7], v[6:7], 1, s[12:13]
	global_store_short v[6:7], v8, off
	s_or_b64 exec, exec, s[14:15]
	s_and_saveexec_b64 s[14:15], s[4:5]
	s_cbranch_execz .LBB167_55
.LBB167_82:
	v_bfe_u32 v6, v27, 16, 1
	s_movk_i32 s9, 0x7fff
	v_add3_u32 v6, v27, v6, s9
	v_cmp_o_f32_e32 vcc, v27, v27
	v_mov_b32_e32 v7, 0x7fc0
	s_nop 0
	v_cndmask_b32_sdwa v8, v7, v6, vcc dst_sel:DWORD dst_unused:UNUSED_PAD src0_sel:DWORD src1_sel:WORD_1
	v_add_u32_e32 v6, v5, v3
	v_mov_b32_e32 v7, 0
	s_waitcnt lgkmcnt(0)
	v_lshl_add_u64 v[6:7], v[6:7], 1, s[12:13]
	global_store_short v[6:7], v8, off
	s_or_b64 exec, exec, s[14:15]
	s_and_saveexec_b64 s[14:15], s[6:7]
	s_cbranch_execnz .LBB167_56
	s_branch .LBB167_57
.LBB167_83:
	v_bfe_u32 v6, v22, 16, 1
	s_movk_i32 s9, 0x7fff
	v_add3_u32 v6, v22, v6, s9
	v_cmp_o_f32_e32 vcc, v22, v22
	v_mov_b32_e32 v7, 0x7fc0
	s_nop 0
	v_cndmask_b32_sdwa v8, v7, v6, vcc dst_sel:DWORD dst_unused:UNUSED_PAD src0_sel:DWORD src1_sel:WORD_1
	v_add_u32_e32 v6, v5, v0
	v_mov_b32_e32 v7, 0
	s_waitcnt lgkmcnt(0)
	v_lshl_add_u64 v[6:7], v[6:7], 1, s[12:13]
	global_store_short v[6:7], v8, off
	s_or_b64 exec, exec, s[14:15]
	s_and_saveexec_b64 s[14:15], s[2:3]
	s_cbranch_execz .LBB167_60
.LBB167_84:
	v_bfe_u32 v6, v20, 16, 1
	s_movk_i32 s9, 0x7fff
	v_add3_u32 v6, v20, v6, s9
	v_cmp_o_f32_e32 vcc, v20, v20
	v_mov_b32_e32 v7, 0x7fc0
	s_nop 0
	v_cndmask_b32_sdwa v8, v7, v6, vcc dst_sel:DWORD dst_unused:UNUSED_PAD src0_sel:DWORD src1_sel:WORD_1
	v_add_u32_e32 v6, v5, v2
	v_mov_b32_e32 v7, 0
	s_waitcnt lgkmcnt(0)
	v_lshl_add_u64 v[6:7], v[6:7], 1, s[12:13]
	global_store_short v[6:7], v8, off
	s_or_b64 exec, exec, s[14:15]
	s_and_saveexec_b64 s[14:15], s[4:5]
	s_cbranch_execz .LBB167_61
.LBB167_85:
	v_bfe_u32 v6, v18, 16, 1
	s_movk_i32 s9, 0x7fff
	v_add3_u32 v6, v18, v6, s9
	v_cmp_o_f32_e32 vcc, v18, v18
	v_mov_b32_e32 v7, 0x7fc0
	s_nop 0
	v_cndmask_b32_sdwa v8, v7, v6, vcc dst_sel:DWORD dst_unused:UNUSED_PAD src0_sel:DWORD src1_sel:WORD_1
	v_add_u32_e32 v6, v5, v3
	v_mov_b32_e32 v7, 0
	s_waitcnt lgkmcnt(0)
	v_lshl_add_u64 v[6:7], v[6:7], 1, s[12:13]
	global_store_short v[6:7], v8, off
	s_or_b64 exec, exec, s[14:15]
	s_and_saveexec_b64 s[14:15], s[6:7]
	s_cbranch_execnz .LBB167_62
	s_branch .LBB167_63
.LBB167_86:
	v_bfe_u32 v5, v23, 16, 1
	s_movk_i32 s0, 0x7fff
	v_add3_u32 v5, v23, v5, s0
	v_cmp_o_f32_e32 vcc, v23, v23
	v_mov_b32_e32 v6, 0x7fc0
	v_mov_b32_e32 v7, 0
	v_cndmask_b32_sdwa v5, v6, v5, vcc dst_sel:DWORD dst_unused:UNUSED_PAD src0_sel:DWORD src1_sel:WORD_1
	v_add_u32_e32 v6, v1, v0
	s_waitcnt lgkmcnt(0)
	v_lshl_add_u64 v[6:7], v[6:7], 1, s[12:13]
	global_store_short v[6:7], v5, off
	s_or_b64 exec, exec, s[8:9]
	s_and_saveexec_b64 s[0:1], s[2:3]
	s_cbranch_execz .LBB167_66
.LBB167_87:
	v_bfe_u32 v0, v21, 16, 1
	s_movk_i32 s2, 0x7fff
	v_add3_u32 v0, v21, v0, s2
	v_cmp_o_f32_e32 vcc, v21, v21
	v_mov_b32_e32 v5, 0x7fc0
	v_add_u32_e32 v6, v1, v2
	v_mov_b32_e32 v7, 0
	v_cndmask_b32_sdwa v0, v5, v0, vcc dst_sel:DWORD dst_unused:UNUSED_PAD src0_sel:DWORD src1_sel:WORD_1
	s_waitcnt lgkmcnt(0)
	v_lshl_add_u64 v[6:7], v[6:7], 1, s[12:13]
	global_store_short v[6:7], v0, off
	s_or_b64 exec, exec, s[0:1]
	s_and_saveexec_b64 s[0:1], s[4:5]
	s_cbranch_execz .LBB167_67
.LBB167_88:
	v_bfe_u32 v0, v19, 16, 1
	s_movk_i32 s2, 0x7fff
	v_add3_u32 v0, v19, v0, s2
	v_cmp_o_f32_e32 vcc, v19, v19
	v_mov_b32_e32 v2, 0x7fc0
	s_nop 0
	v_cndmask_b32_sdwa v0, v2, v0, vcc dst_sel:DWORD dst_unused:UNUSED_PAD src0_sel:DWORD src1_sel:WORD_1
	v_add_u32_e32 v2, v1, v3
	v_mov_b32_e32 v3, 0
	s_waitcnt lgkmcnt(0)
	v_lshl_add_u64 v[2:3], v[2:3], 1, s[12:13]
	global_store_short v[2:3], v0, off
	s_or_b64 exec, exec, s[0:1]
	s_and_b64 exec, exec, s[6:7]
	s_cbranch_execz .LBB167_17
.LBB167_89:
	v_bfe_u32 v0, v17, 16, 1
	s_movk_i32 s0, 0x7fff
	v_add3_u32 v0, v17, v0, s0
	v_cmp_o_f32_e32 vcc, v17, v17
	v_mov_b32_e32 v2, 0x7fc0
	s_nop 0
	v_cndmask_b32_sdwa v2, v2, v0, vcc dst_sel:DWORD dst_unused:UNUSED_PAD src0_sel:DWORD src1_sel:WORD_1
	v_add_u32_e32 v0, v1, v4
	v_mov_b32_e32 v1, 0
	s_waitcnt lgkmcnt(0)
	v_lshl_add_u64 v[0:1], v[0:1], 1, s[12:13]
	global_store_short v[0:1], v2, off
	s_endpgm
	.section	.rodata,"a",@progbits
	.p2align	6, 0x0
	.amdhsa_kernel _ZL12mul_mat_q2_KIN3c108BFloat16ELb0EEvPKvS3_PT_iiiii
		.amdhsa_group_segment_fixed_size 31392
		.amdhsa_private_segment_fixed_size 0
		.amdhsa_kernarg_size 44
		.amdhsa_user_sgpr_count 2
		.amdhsa_user_sgpr_dispatch_ptr 0
		.amdhsa_user_sgpr_queue_ptr 0
		.amdhsa_user_sgpr_kernarg_segment_ptr 1
		.amdhsa_user_sgpr_dispatch_id 0
		.amdhsa_user_sgpr_kernarg_preload_length 0
		.amdhsa_user_sgpr_kernarg_preload_offset 0
		.amdhsa_user_sgpr_private_segment_size 0
		.amdhsa_uses_dynamic_stack 0
		.amdhsa_enable_private_segment 0
		.amdhsa_system_sgpr_workgroup_id_x 1
		.amdhsa_system_sgpr_workgroup_id_y 1
		.amdhsa_system_sgpr_workgroup_id_z 0
		.amdhsa_system_sgpr_workgroup_info 0
		.amdhsa_system_vgpr_workitem_id 1
		.amdhsa_next_free_vgpr 215
		.amdhsa_next_free_sgpr 96
		.amdhsa_accum_offset 216
		.amdhsa_reserve_vcc 1
		.amdhsa_float_round_mode_32 0
		.amdhsa_float_round_mode_16_64 0
		.amdhsa_float_denorm_mode_32 3
		.amdhsa_float_denorm_mode_16_64 3
		.amdhsa_dx10_clamp 1
		.amdhsa_ieee_mode 1
		.amdhsa_fp16_overflow 0
		.amdhsa_tg_split 0
		.amdhsa_exception_fp_ieee_invalid_op 0
		.amdhsa_exception_fp_denorm_src 0
		.amdhsa_exception_fp_ieee_div_zero 0
		.amdhsa_exception_fp_ieee_overflow 0
		.amdhsa_exception_fp_ieee_underflow 0
		.amdhsa_exception_fp_ieee_inexact 0
		.amdhsa_exception_int_div_zero 0
	.end_amdhsa_kernel
	.section	.text._ZL12mul_mat_q2_KIN3c108BFloat16ELb0EEvPKvS3_PT_iiiii,"axG",@progbits,_ZL12mul_mat_q2_KIN3c108BFloat16ELb0EEvPKvS3_PT_iiiii,comdat
.Lfunc_end167:
	.size	_ZL12mul_mat_q2_KIN3c108BFloat16ELb0EEvPKvS3_PT_iiiii, .Lfunc_end167-_ZL12mul_mat_q2_KIN3c108BFloat16ELb0EEvPKvS3_PT_iiiii
                                        ; -- End function
	.set _ZL12mul_mat_q2_KIN3c108BFloat16ELb0EEvPKvS3_PT_iiiii.num_vgpr, 215
	.set _ZL12mul_mat_q2_KIN3c108BFloat16ELb0EEvPKvS3_PT_iiiii.num_agpr, 0
	.set _ZL12mul_mat_q2_KIN3c108BFloat16ELb0EEvPKvS3_PT_iiiii.numbered_sgpr, 19
	.set _ZL12mul_mat_q2_KIN3c108BFloat16ELb0EEvPKvS3_PT_iiiii.num_named_barrier, 0
	.set _ZL12mul_mat_q2_KIN3c108BFloat16ELb0EEvPKvS3_PT_iiiii.private_seg_size, 0
	.set _ZL12mul_mat_q2_KIN3c108BFloat16ELb0EEvPKvS3_PT_iiiii.uses_vcc, 1
	.set _ZL12mul_mat_q2_KIN3c108BFloat16ELb0EEvPKvS3_PT_iiiii.uses_flat_scratch, 0
	.set _ZL12mul_mat_q2_KIN3c108BFloat16ELb0EEvPKvS3_PT_iiiii.has_dyn_sized_stack, 0
	.set _ZL12mul_mat_q2_KIN3c108BFloat16ELb0EEvPKvS3_PT_iiiii.has_recursion, 0
	.set _ZL12mul_mat_q2_KIN3c108BFloat16ELb0EEvPKvS3_PT_iiiii.has_indirect_call, 0
	.section	.AMDGPU.csdata,"",@progbits
; Kernel info:
; codeLenInByte = 26700
; TotalNumSgprs: 25
; NumVgprs: 215
; NumAgprs: 0
; TotalNumVgprs: 215
; ScratchSize: 0
; MemoryBound: 0
; FloatMode: 240
; IeeeMode: 1
; LDSByteSize: 31392 bytes/workgroup (compile time only)
; SGPRBlocks: 12
; VGPRBlocks: 26
; NumSGPRsForWavesPerEU: 102
; NumVGPRsForWavesPerEU: 215
; AccumOffset: 216
; Occupancy: 2
; WaveLimiterHint : 0
; COMPUTE_PGM_RSRC2:SCRATCH_EN: 0
; COMPUTE_PGM_RSRC2:USER_SGPR: 2
; COMPUTE_PGM_RSRC2:TRAP_HANDLER: 0
; COMPUTE_PGM_RSRC2:TGID_X_EN: 1
; COMPUTE_PGM_RSRC2:TGID_Y_EN: 1
; COMPUTE_PGM_RSRC2:TGID_Z_EN: 0
; COMPUTE_PGM_RSRC2:TIDIG_COMP_CNT: 1
; COMPUTE_PGM_RSRC3_GFX90A:ACCUM_OFFSET: 53
; COMPUTE_PGM_RSRC3_GFX90A:TG_SPLIT: 0
	.section	.text._ZL12mul_mat_q2_KIN3c108BFloat16ELb1EEvPKvS3_PT_iiiii,"axG",@progbits,_ZL12mul_mat_q2_KIN3c108BFloat16ELb1EEvPKvS3_PT_iiiii,comdat
	.globl	_ZL12mul_mat_q2_KIN3c108BFloat16ELb1EEvPKvS3_PT_iiiii ; -- Begin function _ZL12mul_mat_q2_KIN3c108BFloat16ELb1EEvPKvS3_PT_iiiii
	.p2align	8
	.type	_ZL12mul_mat_q2_KIN3c108BFloat16ELb1EEvPKvS3_PT_iiiii,@function
_ZL12mul_mat_q2_KIN3c108BFloat16ELb1EEvPKvS3_PT_iiiii: ; @_ZL12mul_mat_q2_KIN3c108BFloat16ELb1EEvPKvS3_PT_iiiii
; %bb.0:
	s_load_dwordx4 s[8:11], s[0:1], 0x18
	s_load_dword s14, s[0:1], 0x28
	s_lshl_b32 s15, s3, 6
	v_bfe_u32 v91, v0, 10, 10
	s_waitcnt lgkmcnt(0)
	s_cmpk_gt_i32 s8, 0xff
	s_cbranch_scc1 .LBB168_2
; %bb.1:
	v_bfe_u32 v1, v0, 10, 10
	v_and_b32_e32 v69, 0x3ff, v0
	v_add_u32_e32 v39, s15, v1
	s_mov_b64 s[4:5], 0
	s_branch .LBB168_3
.LBB168_2:
	s_mov_b64 s[4:5], -1
                                        ; implicit-def: $vgpr1
                                        ; implicit-def: $vgpr69
                                        ; implicit-def: $vgpr39
.LBB168_3:
	s_load_dwordx2 s[12:13], s[0:1], 0x10
	s_lshl_b32 s6, s2, 7
	s_andn2_b64 vcc, exec, s[4:5]
	s_mov_b32 s4, 0
	s_cbranch_vccnz .LBB168_16
; %bb.4:
	s_ashr_i32 s5, s8, 31
	s_load_dwordx4 s[0:3], s[0:1], 0x0
	s_lshr_b32 s5, s5, 24
	s_add_i32 s5, s8, s5
	s_ashr_i32 s7, s11, 31
	s_ashr_i32 s5, s5, 8
	s_lshr_b32 s7, s7, 27
	s_add_i32 s7, s11, s7
	s_mul_i32 s11, s5, s6
	s_ashr_i32 s8, s7, 5
	s_mul_hi_i32 s16, s11, 0x54
	s_mulk_i32 s11, 0x54
	s_waitcnt lgkmcnt(0)
	s_add_u32 s0, s0, s11
	s_addc_u32 s1, s1, s16
	s_not_b32 s11, s6
	s_add_i32 s11, s9, s11
	v_and_b32_e32 v69, 0x3ff, v0
	v_add_u32_e32 v8, 8, v91
	v_add_u32_e32 v10, 16, v91
	;; [unrolled: 1-line block ×7, first 2 shown]
	v_lshlrev_b32_e32 v2, 2, v69
	v_min_i32_e32 v1, s11, v91
                                        ; kill: def $vgpr3 killed $sgpr0 killed $exec
	s_movk_i32 s9, 0x84
	v_min_i32_e32 v9, s11, v8
	v_min_i32_e32 v11, s11, v10
	;; [unrolled: 1-line block ×7, first 2 shown]
	v_mad_u64_u32 v[38:39], s[16:17], v1, s9, v[2:3]
	v_mad_u64_u32 v[42:43], s[16:17], v9, s9, v[2:3]
	;; [unrolled: 1-line block ×8, first 2 shown]
	v_add_u32_e32 v3, 64, v91
	v_min_i32_e32 v22, s11, v3
	v_mad_u64_u32 v[58:59], s[16:17], v22, s9, v[2:3]
	v_add_u32_e32 v3, 0x48, v91
	v_min_i32_e32 v23, s11, v3
	v_mad_u64_u32 v[60:61], s[16:17], v23, s9, v[2:3]
	;; [unrolled: 3-line block ×5, first 2 shown]
	v_add_u32_e32 v3, 0x68, v91
	v_min_i32_e32 v27, s11, v3
	v_add_u32_e32 v3, 0x70, v91
	v_min_i32_e32 v28, s11, v3
	;; [unrolled: 2-line block ×3, first 2 shown]
	v_lshlrev_b32_e32 v30, 4, v91
	v_bfe_u32 v3, v0, 1, 9
	v_add_u32_e32 v3, v3, v30
	v_and_b32_e32 v3, 0x7f, v3
	v_min_i32_e32 v31, s11, v3
	v_ashrrev_i32_e32 v3, 31, v31
	v_lshrrev_b32_e32 v3, 28, v3
	v_add_u32_e32 v3, v31, v3
	v_and_b32_e32 v68, 1, v0
	v_ashrrev_i32_e32 v3, 4, v3
	v_lshlrev_b32_e32 v3, 2, v3
	v_lshlrev_b32_e32 v4, 2, v68
	s_movk_i32 s16, 0x7280
	v_bfe_u32 v43, v0, 3, 7
	v_add3_u32 v3, v3, v4, s16
	v_lshl_add_u32 v4, v91, 2, v43
	v_min_i32_e32 v34, s11, v4
	v_ashrrev_i32_e32 v5, 31, v34
	v_lshrrev_b32_e32 v5, 30, v5
	v_and_b32_e32 v33, 7, v0
	v_add_u32_e32 v5, v34, v5
	v_and_b32_e32 v5, -4, v5
	v_lshlrev_b32_e32 v6, 2, v33
	s_movk_i32 s16, 0x6200
	v_add3_u32 v35, v5, v6, s16
	v_add_u32_e32 v5, 32, v4
	v_min_i32_e32 v40, s11, v5
	v_ashrrev_i32_e32 v5, 31, v40
	v_lshrrev_b32_e32 v5, 30, v5
	v_add_u32_e32 v5, v40, v5
	v_and_b32_e32 v5, -4, v5
	v_add3_u32 v41, v5, v6, s16
	v_add_u32_e32 v5, 64, v4
	v_add_u32_e32 v4, 0x60, v4
	v_min_i32_e32 v50, s11, v5
	v_min_i32_e32 v72, s11, v4
	v_ashrrev_i32_e32 v5, 31, v50
	v_ashrrev_i32_e32 v4, 31, v72
	v_lshrrev_b32_e32 v5, 30, v5
	v_lshrrev_b32_e32 v4, 30, v4
	v_add_u32_e32 v5, v50, v5
	v_add_u32_e32 v4, v72, v4
	v_and_b32_e32 v5, -4, v5
	v_and_b32_e32 v4, -4, v4
	v_add3_u32 v51, v5, v6, s16
	v_add3_u32 v63, v4, v6, s16
	v_and_b32_e32 v6, 31, v0
	v_mov_b32_e32 v7, 0x4200
	v_lshl_or_b32 v70, v6, 2, v7
	v_bfe_u32 v6, v0, 2, 8
	v_lshl_add_u32 v6, v91, 3, v6
	v_and_b32_e32 v7, 63, v6
	s_add_i32 s11, s10, -1
	v_or_b32_e32 v45, s15, v7
	v_and_b32_e32 v6, 3, v0
	v_min_i32_e32 v45, s11, v45
	v_add_u32_e32 v39, s15, v91
	v_mad_u64_u32 v[74:75], s[16:17], v45, s8, v[6:7]
	v_lshlrev_b32_e32 v6, 2, v6
	v_cvt_f64_i32_e32 v[4:5], s11
	v_lshl_or_b32 v65, v7, 4, v6
	v_cvt_f64_u32_e32 v[6:7], v39
	v_min_f64 v[6:7], v[6:7], v[4:5]
	v_cvt_i32_f64_e32 v67, v[6:7]
	v_add_u32_e32 v6, 8, v39
	v_cvt_f64_u32_e32 v[6:7], v6
	v_min_f64 v[6:7], v[6:7], v[4:5]
	v_cvt_i32_f64_e32 v71, v[6:7]
	v_add_u32_e32 v6, 16, v39
	;; [unrolled: 4-line block ×8, first 2 shown]
	v_add_u32_e32 v6, 64, v69
	v_add_u32_e32 v7, 0x60, v69
	v_lshlrev_b32_e32 v32, 3, v31
	v_lshlrev_b32_e32 v53, 5, v69
	v_and_b32_e32 v45, 0xfc, v0
	v_and_b32_e32 v47, 0x1fc, v5
	v_and_b32_e32 v49, 0x1fc, v6
	v_and_b32_e32 v55, 0x1fc, v7
	v_add_u32_e32 v45, v53, v45
	v_add_u32_e32 v47, v53, v47
	;; [unrolled: 1-line block ×5, first 2 shown]
	v_lshlrev_b32_e32 v3, 5, v40
	v_mov_b32_e32 v37, 0
	v_add_u32_e32 v59, v41, v3
	v_lshlrev_b32_e32 v3, 5, v72
	v_and_b32_e32 v36, 60, v2
	v_add_u32_e32 v63, v63, v3
	v_and_b32_e32 v80, 12, v2
	v_mad_u64_u32 v[82:83], s[16:17], v27, s9, v[2:3]
	v_mad_u64_u32 v[84:85], s[16:17], v28, s9, v[2:3]
	;; [unrolled: 1-line block ×3, first 2 shown]
	v_and_b32_e32 v2, 28, v2
	v_mov_b32_e32 v3, v37
	v_lshl_add_u64 v[88:89], s[2:3], 0, v[2:3]
	v_mul_u32_u24_e32 v2, 33, v69
	v_lshlrev_b32_e32 v57, 5, v34
	v_lshlrev_b32_e32 v32, 5, v50
	;; [unrolled: 1-line block ×8, first 2 shown]
	v_mul_lo_u32 v97, s8, v4
	v_lshlrev_b32_e32 v4, 7, v20
	v_lshlrev_b32_e32 v105, 2, v2
	;; [unrolled: 1-line block ×3, first 2 shown]
	v_add_u32_e32 v57, v35, v57
	v_add_u32_e32 v61, v51, v32
	v_mul_lo_u32 v75, s8, v71
	v_lshlrev_b32_e32 v20, 1, v5
	v_lshrrev_b32_e32 v32, 4, v5
	v_lshrrev_b32_e32 v99, 3, v5
	v_lshlrev_b32_e32 v5, 1, v6
	v_lshrrev_b32_e32 v35, 4, v6
	v_lshrrev_b32_e32 v101, 3, v6
	v_lshlrev_b32_e32 v6, 1, v7
	v_lshrrev_b32_e32 v41, 4, v7
	v_add_u32_e32 v109, v70, v8
	v_add_u32_e32 v111, v70, v10
	;; [unrolled: 1-line block ×9, first 2 shown]
	v_mov_b32_e32 v70, v37
	v_mov_b32_e32 v71, v37
	v_lshlrev_b32_e32 v2, 1, v69
	v_bfe_u32 v90, v0, 4, 6
	v_cmp_lt_u32_e32 vcc, 3, v33
	s_movk_i32 s7, 0x54
	v_mov_b32_e32 v81, v37
	v_add_u32_e32 v65, 0x76a0, v65
	v_mul_lo_u32 v67, s8, v67
	v_mul_lo_u32 v83, s8, v73
	;; [unrolled: 1-line block ×6, first 2 shown]
	v_lshrrev_b32_e32 v103, 3, v7
	v_add_u32_e32 v107, 0x76a0, v30
	v_lshlrev_b32_e32 v127, 2, v2
	v_lshlrev_b32_e32 v129, 2, v32
	;; [unrolled: 1-line block ×7, first 2 shown]
	s_mov_b32 s8, 0x1010101
	v_mul_lo_u32 v92, v1, s5
	v_mul_lo_u32 v94, v9, s5
	;; [unrolled: 1-line block ×21, first 2 shown]
	v_add_u32_e32 v141, 0x6200, v45
	v_add_u32_e32 v143, 0x6600, v47
	v_add_u32_e32 v149, 0x6a00, v49
	v_add_u32_e32 v151, 0x6e00, v53
	v_lshlrev_b32_e32 v156, 2, v90
	v_mov_b32_e32 v157, 4
	v_mov_b32_e32 v158, 15
	v_cndmask_b32_e64 v134, 0, 1, vcc
	v_mov_b64_e32 v[50:51], v[70:71]
	v_mov_b64_e32 v[30:31], v[70:71]
	;; [unrolled: 1-line block ×15, first 2 shown]
	s_branch .LBB168_6
.LBB168_5:                              ;   in Loop: Header=BB168_6 Depth=1
	s_add_i32 s4, s4, 2
	s_cmp_ge_i32 s4, s5
	s_cbranch_scc1 .LBB168_18
.LBB168_6:                              ; =>This Loop Header: Depth=1
                                        ;     Child Loop BB168_7 Depth 2
                                        ;     Child Loop BB168_9 Depth 2
	;; [unrolled: 1-line block ×4, first 2 shown]
	s_mul_i32 s11, s4, 0x54
	s_mul_hi_u32 s9, s4, 0x54
	s_add_u32 s16, s0, s11
	s_addc_u32 s17, s1, s9
	v_mov_b64_e32 v[0:1], s[16:17]
	v_mad_u64_u32 v[2:3], s[16:17], v90, s7, v[0:1]
	v_mad_i64_i32 v[4:5], s[16:17], v92, s7, v[2:3]
	v_mad_i64_i32 v[6:7], s[16:17], v94, s7, v[2:3]
	;; [unrolled: 1-line block ×8, first 2 shown]
	v_lshl_add_u64 v[4:5], v[4:5], 0, v[36:37]
	v_lshl_add_u64 v[6:7], v[6:7], 0, v[36:37]
	;; [unrolled: 1-line block ×8, first 2 shown]
	global_load_dword v136, v[4:5], off offset:16
	global_load_dword v138, v[6:7], off offset:16
	;; [unrolled: 1-line block ×7, first 2 shown]
	s_nop 0
	global_load_dword v146, v[146:147], off offset:16
	v_mad_i64_i32 v[4:5], s[16:17], v108, s7, v[2:3]
	v_mad_i64_i32 v[6:7], s[16:17], v110, s7, v[2:3]
	;; [unrolled: 1-line block ×8, first 2 shown]
	v_lshl_add_u64 v[4:5], v[4:5], 0, v[36:37]
	v_lshl_add_u64 v[10:11], v[10:11], 0, v[36:37]
	;; [unrolled: 1-line block ×8, first 2 shown]
	global_load_dword v147, v[4:5], off offset:16
	global_load_dword v153, v[6:7], off offset:16
	;; [unrolled: 1-line block ×3, first 2 shown]
	s_nop 0
	global_load_dword v10, v[10:11], off offset:16
	s_nop 0
	global_load_dword v11, v[12:13], off offset:16
	;; [unrolled: 2-line block ×3, first 2 shown]
	global_load_dword v13, v[144:145], off offset:16
	s_nop 0
	global_load_dword v14, v[2:3], off offset:16
	v_mad_i64_i32 v[2:3], s[16:17], v124, s7, v[0:1]
	v_mad_u64_u32 v[0:1], s[16:17], v134, s7, v[0:1]
	v_lshl_add_u64 v[0:1], v[0:1], 0, v[80:81]
	s_lshl_b32 s9, s4, 3
	v_mad_u64_u32 v[2:3], s[16:17], v68, s7, v[2:3]
	v_mad_i64_i32 v[4:5], s[16:17], v126, s7, v[0:1]
	v_mad_i64_i32 v[6:7], s[16:17], v128, s7, v[0:1]
	;; [unrolled: 1-line block ×4, first 2 shown]
	v_add_u32_e32 v161, s9, v43
	global_load_dword v15, v[2:3], off offset:80
	global_load_dword v144, v[4:5], off
	global_load_dword v145, v[6:7], off
	;; [unrolled: 1-line block ×4, first 2 shown]
	v_add_u32_e32 v0, v161, v67
	v_add_u32_e32 v2, v161, v75
	;; [unrolled: 1-line block ×3, first 2 shown]
	v_mad_i64_i32 v[0:1], s[16:17], v0, 36, v[88:89]
	v_mad_i64_i32 v[2:3], s[16:17], v2, 36, v[88:89]
	v_add_u32_e32 v4, v161, v83
	v_add_u32_e32 v6, v161, v85
	v_mad_i64_i32 v[8:9], s[16:17], v8, 36, v[88:89]
	v_add_u32_e32 v159, s9, v74
	v_mad_i64_i32 v[4:5], s[16:17], v4, 36, v[88:89]
	v_mad_i64_i32 v[6:7], s[16:17], v6, 36, v[88:89]
	global_load_dword v162, v[0:1], off offset:4
	global_load_dword v163, v[2:3], off offset:4
	;; [unrolled: 1-line block ×4, first 2 shown]
	s_nop 0
	global_load_dword v8, v[8:9], off offset:4
	v_add_u32_e32 v0, v161, v93
	v_add_u32_e32 v2, v161, v95
	v_mad_i64_i32 v[0:1], s[16:17], v0, 36, v[88:89]
	v_mad_i64_i32 v[2:3], s[16:17], v2, 36, v[88:89]
	v_add_u32_e32 v4, v161, v97
	v_mad_u64_u32 v[6:7], s[16:17], v159, 36, s[2:3]
	v_mad_i64_i32 v[4:5], s[16:17], v4, 36, v[88:89]
	global_load_dword v6, v[6:7], off
	s_nop 0
	global_load_dword v0, v[0:1], off offset:4
	s_nop 0
	global_load_dword v1, v[2:3], off offset:4
	s_nop 0
	global_load_dword v2, v[4:5], off offset:4
	s_waitcnt vmcnt(29)
	ds_write_b32 v38, v136
	s_waitcnt vmcnt(28)
	ds_write_b32 v42, v138
	;; [unrolled: 2-line block ×26, first 2 shown]
	v_mov_b32_e32 v145, v125
	v_mov_b32_e32 v147, v107
	s_mov_b32 s11, 0
	s_waitcnt vmcnt(3)
	v_cvt_f32_f16_e32 v3, v6
	s_waitcnt vmcnt(2)
	ds_write_b32 v117, v0
	s_waitcnt vmcnt(1)
	ds_write_b32 v119, v1
	;; [unrolled: 2-line block ×3, first 2 shown]
	ds_write_b32 v65, v3
	s_waitcnt lgkmcnt(0)
	s_barrier
.LBB168_7:                              ;   Parent Loop BB168_6 Depth=1
                                        ; =>  This Inner Loop Header: Depth=2
	s_and_b32 s17, s11, 0x3ffffff8
	v_lshl_add_u32 v10, s17, 2, v105
	ds_read2_b32 v[152:153], v147 offset1:32
	ds_read_b128 v[4:7], v145
	ds_read_b128 v[0:3], v145 offset:16
	ds_read2_b32 v[8:9], v10 offset1:1
	s_lshr_b32 s17, s11, 2
	s_and_b32 s17, s17, 0x3ffffffc
	s_addk_i32 s17, 0x7280
	s_and_b32 s16, s11, -16
	s_waitcnt lgkmcnt(0)
	v_ashrrev_i32_e32 v8, s11, v8
	v_and_b32_e32 v171, 0x3030303, v8
	v_ashrrev_i32_e32 v8, s11, v9
	v_and_b32_e32 v168, 0x3030303, v8
	ds_read2_b32 v[8:9], v10 offset0:2 offset1:3
	s_add_i32 s16, s11, s16
	v_add_u32_e32 v193, s16, v141
	v_mov_b32_e32 v200, 0
	v_mov_b32_e32 v204, 0
	s_waitcnt lgkmcnt(0)
	v_ashrrev_i32_e32 v8, s11, v8
	v_and_b32_e32 v169, 0x3030303, v8
	v_ashrrev_i32_e32 v8, s11, v9
	v_and_b32_e32 v170, 0x3030303, v8
	ds_read2_b32 v[8:9], v10 offset0:4 offset1:5
	v_mov_b32_e32 v154, 0
	v_mov_b32_e32 v198, 0
	v_dot4c_i32_i8_e32 v154, v171, v4
	v_mov_b32_e32 v155, 0
	s_waitcnt lgkmcnt(0)
	v_ashrrev_i32_e32 v8, s11, v8
	v_and_b32_e32 v164, 0x3030303, v8
	v_ashrrev_i32_e32 v8, s11, v9
	v_and_b32_e32 v165, 0x3030303, v8
	ds_read2_b32 v[8:9], v10 offset0:6 offset1:7
	v_mov_b32_e32 v199, 0
	v_dot4c_i32_i8_e32 v154, v168, v5
	v_dot4c_i32_i8_e32 v155, v164, v0
	;; [unrolled: 1-line block ×3, first 2 shown]
	s_waitcnt lgkmcnt(0)
	v_ashrrev_i32_e32 v8, s11, v8
	v_and_b32_e32 v166, 0x3030303, v8
	v_ashrrev_i32_e32 v8, s11, v9
	v_and_b32_e32 v167, 0x3030303, v8
	v_add3_u32 v8, s17, v156, v127
	ds_read_b32 v8, v8
	v_dot4c_i32_i8_e32 v155, v165, v1
	v_dot4c_i32_i8_e32 v154, v170, v7
	;; [unrolled: 1-line block ×4, first 2 shown]
	s_waitcnt lgkmcnt(0)
	v_cvt_f32_f16_e32 v140, v8
	v_cvt_f32_f16_sdwa v142, v8 dst_sel:DWORD dst_unused:UNUSED_PAD src0_sel:WORD_1
	v_add_u32_e32 v8, 0x1080, v10
	ds_read2_b32 v[8:9], v8 offset1:1
	v_add_u32_e32 v197, s16, v143
	v_add_u32_e32 v201, s16, v149
	;; [unrolled: 1-line block ×3, first 2 shown]
	v_mov_b32_e32 v209, 0
	s_waitcnt lgkmcnt(0)
	v_ashrrev_i32_e32 v8, s11, v8
	v_and_b32_e32 v191, 0x3030303, v8
	v_ashrrev_i32_e32 v8, s11, v9
	v_and_b32_e32 v185, 0x3030303, v8
	v_add_u32_e32 v8, 0x1088, v10
	ds_read2_b32 v[8:9], v8 offset1:1
	v_mov_b32_e32 v212, 0
	v_mov_b32_e32 v202, 0
	v_dot4c_i32_i8_e32 v202, v191, v4
	v_mov_b32_e32 v203, 0
	s_waitcnt lgkmcnt(0)
	v_ashrrev_i32_e32 v8, s11, v8
	v_and_b32_e32 v189, 0x3030303, v8
	v_ashrrev_i32_e32 v8, s11, v9
	v_and_b32_e32 v190, 0x3030303, v8
	v_add_u32_e32 v8, 0x1090, v10
	ds_read2_b32 v[8:9], v8 offset1:1
	v_dot4c_i32_i8_e32 v202, v185, v5
	v_dot4c_i32_i8_e32 v202, v189, v6
	;; [unrolled: 1-line block ×3, first 2 shown]
	v_mov_b32_e32 v213, 0
	s_waitcnt lgkmcnt(0)
	v_ashrrev_i32_e32 v8, s11, v8
	v_and_b32_e32 v180, 0x3030303, v8
	v_ashrrev_i32_e32 v8, s11, v9
	v_and_b32_e32 v181, 0x3030303, v8
	v_add_u32_e32 v8, 0x1098, v10
	ds_read2_b32 v[8:9], v8 offset1:1
	v_dot4c_i32_i8_e32 v203, v180, v0
	v_dot4c_i32_i8_e32 v203, v181, v1
	v_mov_b32_e32 v205, 0
	v_mov_b32_e32 v208, 0
	s_waitcnt lgkmcnt(0)
	v_ashrrev_i32_e32 v8, s11, v8
	v_and_b32_e32 v182, 0x3030303, v8
	v_ashrrev_i32_e32 v8, s11, v9
	v_and_b32_e32 v183, 0x3030303, v8
	v_add3_u32 v8, s17, v129, v131
	ds_read_b32 v8, v8
	v_dot4c_i32_i8_e32 v203, v182, v2
	v_dot4c_i32_i8_e32 v203, v183, v3
	v_mov_b32_e32 v206, 0
	v_mov_b32_e32 v207, 0
	s_waitcnt lgkmcnt(0)
	v_cvt_f32_f16_e32 v148, v8
	v_cvt_f32_f16_sdwa v150, v8 dst_sel:DWORD dst_unused:UNUSED_PAD src0_sel:WORD_1
	v_add_u32_e32 v8, 0x2100, v10
	ds_read2_b32 v[8:9], v8 offset1:1
	v_mov_b32_e32 v214, 0
	s_waitcnt lgkmcnt(0)
	v_ashrrev_i32_e32 v8, s11, v8
	v_and_b32_e32 v179, 0x3030303, v8
	v_ashrrev_i32_e32 v8, s11, v9
	v_and_b32_e32 v176, 0x3030303, v8
	v_add_u32_e32 v8, 0x2108, v10
	ds_read2_b32 v[8:9], v8 offset1:1
	v_dot4c_i32_i8_e32 v205, v179, v4
	v_dot4c_i32_i8_e32 v205, v176, v5
	s_waitcnt lgkmcnt(0)
	v_ashrrev_i32_e32 v8, s11, v8
	v_and_b32_e32 v177, 0x3030303, v8
	v_ashrrev_i32_e32 v8, s11, v9
	v_and_b32_e32 v178, 0x3030303, v8
	v_add_u32_e32 v8, 0x2110, v10
	ds_read2_b32 v[8:9], v8 offset1:1
	v_dot4c_i32_i8_e32 v205, v177, v6
	v_dot4c_i32_i8_e32 v205, v178, v7
	;; [unrolled: 9-line block ×3, first 2 shown]
	s_waitcnt lgkmcnt(0)
	v_ashrrev_i32_e32 v8, s11, v8
	v_and_b32_e32 v174, 0x3030303, v8
	v_ashrrev_i32_e32 v8, s11, v9
	v_and_b32_e32 v175, 0x3030303, v8
	v_add3_u32 v8, s17, v133, v135
	ds_read_b32 v8, v8
	v_dot4c_i32_i8_e32 v208, v174, v2
	v_dot4c_i32_i8_e32 v208, v175, v3
	s_waitcnt lgkmcnt(0)
	v_cvt_f32_f16_e32 v144, v8
	v_cvt_f32_f16_sdwa v146, v8 dst_sel:DWORD dst_unused:UNUSED_PAD src0_sel:WORD_1
	v_add_u32_e32 v8, 0x3180, v10
	ds_read2_b32 v[8:9], v8 offset1:1
	s_waitcnt lgkmcnt(0)
	v_ashrrev_i32_e32 v8, s11, v8
	v_and_b32_e32 v186, 0x3030303, v8
	v_ashrrev_i32_e32 v8, s11, v9
	v_and_b32_e32 v184, 0x3030303, v8
	v_add_u32_e32 v8, 0x3188, v10
	ds_read2_b32 v[8:9], v8 offset1:1
	v_dot4c_i32_i8_e32 v206, v186, v4
	v_dot4c_i32_i8_e32 v206, v184, v5
	s_waitcnt lgkmcnt(0)
	v_ashrrev_i32_e32 v8, s11, v8
	v_and_b32_e32 v187, 0x3030303, v8
	v_ashrrev_i32_e32 v8, s11, v9
	v_and_b32_e32 v188, 0x3030303, v8
	v_add_u32_e32 v8, 0x3190, v10
	ds_read2_b32 v[8:9], v8 offset1:1
	v_dot4c_i32_i8_e32 v206, v187, v6
	v_dot4c_i32_i8_e32 v206, v188, v7
	;; [unrolled: 9-line block ×3, first 2 shown]
	s_waitcnt lgkmcnt(0)
	v_ashrrev_i32_e32 v8, s11, v8
	v_and_b32_e32 v162, 0x3030303, v8
	v_ashrrev_i32_e32 v8, s11, v9
	v_and_b32_e32 v163, 0x3030303, v8
	v_add3_u32 v8, s17, v137, v139
	ds_read_b32 v8, v8
	v_dot4c_i32_i8_e32 v207, v162, v2
	v_dot4c_i32_i8_e32 v207, v163, v3
	s_waitcnt lgkmcnt(0)
	v_cvt_f32_f16_e32 v136, v8
	v_cvt_f32_f16_sdwa v138, v8 dst_sel:DWORD dst_unused:UNUSED_PAD src0_sel:WORD_1
	ds_read_b128 v[12:15], v145 offset:1024
	ds_read_b128 v[8:11], v145 offset:1040
	ds_read_u16 v195, v193
	s_waitcnt lgkmcnt(2)
	v_dot4c_i32_i8_e32 v199, v171, v12
	s_waitcnt lgkmcnt(1)
	v_dot4c_i32_i8_e32 v198, v164, v8
	s_waitcnt lgkmcnt(0)
	v_bfe_u32 v193, v195, 4, 4
	v_mul_lo_u32 v193, v193, s8
	v_dot4c_i32_i8_e32 v200, v193, v4
	v_dot4c_i32_i8_e32 v204, v193, v12
	;; [unrolled: 1-line block ×5, first 2 shown]
	v_lshrrev_b32_sdwa v194, v157, v195 dst_sel:DWORD dst_unused:UNUSED_PAD src0_sel:DWORD src1_sel:BYTE_1
	v_dot4c_i32_i8_e32 v204, v193, v14
	v_dot4c_i32_i8_e32 v198, v165, v9
	;; [unrolled: 1-line block ×3, first 2 shown]
	v_mul_lo_u32 v194, v194, s8
	v_dot4c_i32_i8_e32 v204, v193, v15
	v_dot4c_i32_i8_e32 v199, v168, v13
	;; [unrolled: 1-line block ×4, first 2 shown]
	v_and_b32_e32 v196, 15, v195
	v_and_b32_sdwa v195, v195, v158 dst_sel:DWORD dst_unused:UNUSED_PAD src0_sel:BYTE_1 src1_sel:DWORD
	v_dot4c_i32_i8_e32 v204, v194, v8
	v_dot4c_i32_i8_e32 v199, v169, v14
	;; [unrolled: 1-line block ×4, first 2 shown]
	v_and_b32_e32 v195, 0xffff, v195
	v_and_b32_e32 v196, 0xffff, v196
	v_dot4c_i32_i8_e32 v204, v194, v9
	v_dot4c_i32_i8_e32 v199, v170, v15
	;; [unrolled: 1-line block ×4, first 2 shown]
	v_mul_lo_u32 v154, v154, v196
	v_mul_lo_u32 v198, v198, v195
	v_dot4c_i32_i8_e32 v200, v194, v3
	v_dot4c_i32_i8_e32 v204, v194, v11
	v_mad_u64_u32 v[198:199], s[16:17], v199, v196, v[198:199]
	v_mad_u64_u32 v[154:155], s[16:17], v155, v195, v[154:155]
	v_cvt_f32_i32_e32 v155, v154
	v_cvt_f32_i32_e32 v154, v198
	;; [unrolled: 1-line block ×4, first 2 shown]
	v_mov_b32_e32 v204, 0
	v_dot4c_i32_i8_e32 v204, v180, v8
	v_dot4c_i32_i8_e32 v204, v181, v9
	v_pk_mul_f32 v[198:199], v[142:143], v[198:199] op_sel_hi:[0,1]
	v_pk_fma_f32 v[198:199], v[140:141], v[154:155], v[198:199] op_sel_hi:[0,1,1] neg_lo:[0,0,1] neg_hi:[0,0,1]
	v_mov_b32_e32 v155, v152
	ds_read_u16 v152, v197
	v_mov_b32_e32 v154, v153
	v_pk_fma_f32 v[70:71], v[154:155], v[198:199], v[70:71]
	v_mov_b32_e32 v153, 0
	v_dot4c_i32_i8_e32 v153, v191, v12
	s_waitcnt lgkmcnt(0)
	v_bfe_u32 v197, v152, 4, 4
	v_mul_lo_u32 v197, v197, s8
	v_dot4c_i32_i8_e32 v209, v197, v4
	v_dot4c_i32_i8_e32 v212, v197, v12
	;; [unrolled: 1-line block ×5, first 2 shown]
	v_lshrrev_b32_sdwa v198, v157, v152 dst_sel:DWORD dst_unused:UNUSED_PAD src0_sel:DWORD src1_sel:BYTE_1
	v_dot4c_i32_i8_e32 v212, v197, v14
	v_dot4c_i32_i8_e32 v209, v197, v7
	v_mul_lo_u32 v198, v198, s8
	v_dot4c_i32_i8_e32 v212, v197, v15
	v_dot4c_i32_i8_e32 v209, v198, v0
	v_dot4c_i32_i8_e32 v212, v198, v8
	v_dot4c_i32_i8_e32 v153, v185, v13
	v_dot4c_i32_i8_e32 v204, v182, v10
	v_dot4c_i32_i8_e32 v209, v198, v1
	v_and_b32_e32 v200, 15, v152
	v_and_b32_sdwa v152, v152, v158 dst_sel:DWORD dst_unused:UNUSED_PAD src0_sel:BYTE_1 src1_sel:DWORD
	v_dot4c_i32_i8_e32 v212, v198, v9
	v_dot4c_i32_i8_e32 v153, v189, v14
	;; [unrolled: 1-line block ×4, first 2 shown]
	v_and_b32_e32 v199, 0xffff, v152
	v_and_b32_e32 v200, 0xffff, v200
	v_dot4c_i32_i8_e32 v212, v198, v10
	v_dot4c_i32_i8_e32 v153, v190, v15
	;; [unrolled: 1-line block ×4, first 2 shown]
	v_mul_lo_u32 v152, v202, v200
	v_mul_lo_u32 v202, v204, v199
	v_mad_u64_u32 v[210:211], s[16:17], v153, v200, v[202:203]
	v_mad_u64_u32 v[152:153], s[16:17], v203, v199, v[152:153]
	v_cvt_f32_i32_e32 v203, v209
	v_cvt_f32_i32_e32 v202, v212
	;; [unrolled: 1-line block ×4, first 2 shown]
	v_mov_b32_e32 v212, 0
	v_pk_mul_f32 v[202:203], v[150:151], v[202:203] op_sel_hi:[0,1]
	v_mov_b32_e32 v209, 0
	v_pk_fma_f32 v[152:153], v[148:149], v[152:153], v[202:203] op_sel_hi:[0,1,1] neg_lo:[0,0,1] neg_hi:[0,0,1]
	v_pk_fma_f32 v[78:79], v[154:155], v[152:153], v[78:79]
	ds_read_u16 v152, v201
	v_mov_b32_e32 v153, 0
	v_dot4c_i32_i8_e32 v209, v172, v8
	v_dot4c_i32_i8_e32 v153, v179, v12
	;; [unrolled: 1-line block ×3, first 2 shown]
	s_waitcnt lgkmcnt(0)
	v_bfe_u32 v201, v152, 4, 4
	v_mul_lo_u32 v201, v201, s8
	v_dot4c_i32_i8_e32 v212, v201, v4
	v_dot4c_i32_i8_e32 v213, v201, v12
	;; [unrolled: 1-line block ×5, first 2 shown]
	v_lshrrev_b32_sdwa v202, v157, v152 dst_sel:DWORD dst_unused:UNUSED_PAD src0_sel:DWORD src1_sel:BYTE_1
	v_dot4c_i32_i8_e32 v213, v201, v14
	v_dot4c_i32_i8_e32 v212, v201, v7
	v_mul_lo_u32 v202, v202, s8
	v_dot4c_i32_i8_e32 v213, v201, v15
	v_dot4c_i32_i8_e32 v212, v202, v0
	;; [unrolled: 1-line block ×6, first 2 shown]
	v_and_b32_e32 v204, 15, v152
	v_and_b32_sdwa v152, v152, v158 dst_sel:DWORD dst_unused:UNUSED_PAD src0_sel:BYTE_1 src1_sel:DWORD
	v_dot4c_i32_i8_e32 v213, v202, v9
	v_dot4c_i32_i8_e32 v153, v177, v14
	;; [unrolled: 1-line block ×4, first 2 shown]
	v_and_b32_e32 v203, 0xffff, v152
	v_and_b32_e32 v204, 0xffff, v204
	v_dot4c_i32_i8_e32 v213, v202, v10
	v_dot4c_i32_i8_e32 v153, v178, v15
	;; [unrolled: 1-line block ×4, first 2 shown]
	v_mul_lo_u32 v152, v205, v204
	v_mul_lo_u32 v210, v209, v203
	v_mad_u64_u32 v[210:211], s[16:17], v153, v204, v[210:211]
	v_mad_u64_u32 v[152:153], s[16:17], v208, v203, v[152:153]
	v_cvt_f32_i32_e32 v209, v212
	v_cvt_f32_i32_e32 v208, v213
	;; [unrolled: 1-line block ×4, first 2 shown]
	v_mov_b32_e32 v210, 0
	v_pk_mul_f32 v[208:209], v[146:147], v[208:209] op_sel_hi:[0,1]
	v_mov_b32_e32 v211, 0
	v_pk_fma_f32 v[152:153], v[144:145], v[152:153], v[208:209] op_sel_hi:[0,1,1] neg_lo:[0,0,1] neg_hi:[0,0,1]
	v_pk_fma_f32 v[76:77], v[154:155], v[152:153], v[76:77]
	ds_read_u16 v153, v192
	v_mov_b32_e32 v209, 0
	v_mov_b32_e32 v208, 0
	v_dot4c_i32_i8_e32 v209, v160, v8
	v_dot4c_i32_i8_e32 v208, v186, v12
	s_waitcnt lgkmcnt(0)
	v_bfe_u32 v152, v153, 4, 4
	v_mul_lo_u32 v205, v152, s8
	v_dot4c_i32_i8_e32 v210, v205, v4
	v_lshrrev_b32_sdwa v4, v157, v153 dst_sel:DWORD dst_unused:UNUSED_PAD src0_sel:DWORD src1_sel:BYTE_1
	v_mul_lo_u32 v152, v4, s8
	v_mov_b32_e32 v4, 0
	v_dot4c_i32_i8_e32 v210, v205, v5
	v_dot4c_i32_i8_e32 v4, v205, v12
	;; [unrolled: 1-line block ×12, first 2 shown]
	v_and_b32_e32 v0, 15, v153
	v_and_b32_sdwa v1, v153, v158 dst_sel:DWORD dst_unused:UNUSED_PAD src0_sel:BYTE_1 src1_sel:DWORD
	v_dot4c_i32_i8_e32 v4, v152, v8
	v_dot4c_i32_i8_e32 v208, v187, v14
	;; [unrolled: 1-line block ×3, first 2 shown]
	v_and_b32_e32 v153, 0xffff, v1
	v_and_b32_e32 v192, 0xffff, v0
	v_dot4c_i32_i8_e32 v4, v152, v9
	v_dot4c_i32_i8_e32 v208, v188, v15
	;; [unrolled: 1-line block ×4, first 2 shown]
	v_mul_lo_u32 v0, v206, v192
	v_mul_lo_u32 v2, v209, v153
	v_dot4c_i32_i8_e32 v210, v152, v3
	v_dot4c_i32_i8_e32 v4, v152, v11
	v_mad_u64_u32 v[2:3], s[16:17], v208, v192, v[2:3]
	v_mad_u64_u32 v[0:1], s[16:17], v207, v153, v[0:1]
	v_cvt_f32_i32_e32 v1, v0
	v_cvt_f32_i32_e32 v0, v2
	v_cvt_f32_i32_e32 v3, v210
	v_cvt_f32_i32_e32 v2, v4
	v_mov_b32_e32 v206, 0
	v_mov_b32_e32 v209, 0
	;; [unrolled: 1-line block ×3, first 2 shown]
	v_pk_mul_f32 v[2:3], v[138:139], v[2:3] op_sel_hi:[0,1]
	v_pk_fma_f32 v[0:1], v[136:137], v[0:1], v[2:3] op_sel_hi:[0,1,1] neg_lo:[0,0,1] neg_hi:[0,0,1]
	v_pk_fma_f32 v[72:73], v[154:155], v[0:1], v[72:73]
	ds_read2_b32 v[8:9], v147 offset0:64 offset1:96
	ds_read_b128 v[4:7], v145 offset:2048
	ds_read_b128 v[0:3], v145 offset:2064
	v_mov_b32_e32 v154, 0
	v_mov_b32_e32 v13, 0
	v_mov_b32_e32 v14, 0
	s_waitcnt lgkmcnt(1)
	v_dot4c_i32_i8_e32 v154, v193, v4
	v_dot4c_i32_i8_e32 v206, v197, v4
	;; [unrolled: 1-line block ×13, first 2 shown]
	v_mov_b32_e32 v155, 0
	v_dot4c_i32_i8_e32 v206, v197, v7
	v_mov_b32_e32 v207, 0
	v_mov_b32_e32 v208, 0
	v_dot4c_i32_i8_e32 v209, v201, v7
	v_mov_b32_e32 v210, 0
	v_mov_b32_e32 v10, 0
	v_dot4c_i32_i8_e32 v11, v205, v7
	v_dot4c_i32_i8_e32 v13, v171, v4
	s_waitcnt lgkmcnt(0)
	v_dot4c_i32_i8_e32 v14, v164, v0
	v_dot4c_i32_i8_e32 v154, v194, v0
	;; [unrolled: 1-line block ×47, first 2 shown]
	ds_read_b128 v[4:7], v145 offset:3072
	ds_read_b128 v[0:3], v145 offset:3088
	v_mov_b32_e32 v212, 0
	v_mov_b32_e32 v12, 0
	;; [unrolled: 1-line block ×3, first 2 shown]
	s_waitcnt lgkmcnt(1)
	v_dot4c_i32_i8_e32 v212, v193, v4
	v_dot4c_i32_i8_e32 v212, v193, v5
	;; [unrolled: 1-line block ×6, first 2 shown]
	s_waitcnt lgkmcnt(0)
	v_dot4c_i32_i8_e32 v213, v164, v0
	v_dot4c_i32_i8_e32 v12, v169, v6
	;; [unrolled: 1-line block ×9, first 2 shown]
	v_mul_lo_u32 v12, v12, v196
	v_mul_lo_u32 v14, v14, v195
	v_dot4c_i32_i8_e32 v212, v194, v3
	v_mad_u64_u32 v[14:15], s[16:17], v13, v196, v[14:15]
	v_mad_u64_u32 v[12:13], s[16:17], v213, v195, v[12:13]
	v_cvt_f32_i32_e32 v13, v12
	v_cvt_f32_i32_e32 v12, v14
	;; [unrolled: 1-line block ×4, first 2 shown]
	v_mov_b32_e32 v154, 0
	v_dot4c_i32_i8_e32 v154, v197, v4
	v_dot4c_i32_i8_e32 v154, v197, v5
	v_pk_mul_f32 v[14:15], v[142:143], v[14:15] op_sel_hi:[0,1]
	v_pk_fma_f32 v[12:13], v[140:141], v[12:13], v[14:15] op_sel_hi:[0,1,1] neg_lo:[0,0,1] neg_hi:[0,0,1]
	v_pk_fma_f32 v[50:51], v[8:9], v[12:13], v[50:51]
	v_mov_b32_e32 v12, 0
	v_dot4c_i32_i8_e32 v12, v191, v4
	v_dot4c_i32_i8_e32 v154, v197, v6
	v_mov_b32_e32 v13, 0
	v_dot4c_i32_i8_e32 v12, v185, v5
	v_dot4c_i32_i8_e32 v154, v197, v7
	;; [unrolled: 1-line block ×11, first 2 shown]
	v_mul_lo_u32 v12, v12, v200
	v_mul_lo_u32 v14, v207, v199
	v_dot4c_i32_i8_e32 v154, v198, v3
	v_mad_u64_u32 v[14:15], s[16:17], v155, v200, v[14:15]
	v_mad_u64_u32 v[12:13], s[16:17], v13, v199, v[12:13]
	v_cvt_f32_i32_e32 v13, v12
	v_cvt_f32_i32_e32 v12, v14
	;; [unrolled: 1-line block ×4, first 2 shown]
	v_mov_b32_e32 v154, 0
	v_dot4c_i32_i8_e32 v154, v201, v4
	v_dot4c_i32_i8_e32 v154, v201, v5
	v_pk_mul_f32 v[14:15], v[150:151], v[14:15] op_sel_hi:[0,1]
	v_pk_fma_f32 v[12:13], v[148:149], v[12:13], v[14:15] op_sel_hi:[0,1,1] neg_lo:[0,0,1] neg_hi:[0,0,1]
	v_pk_fma_f32 v[40:41], v[8:9], v[12:13], v[40:41]
	v_mov_b32_e32 v12, 0
	v_dot4c_i32_i8_e32 v12, v179, v4
	v_dot4c_i32_i8_e32 v154, v201, v6
	v_mov_b32_e32 v13, 0
	v_dot4c_i32_i8_e32 v12, v176, v5
	v_dot4c_i32_i8_e32 v154, v201, v7
	;; [unrolled: 1-line block ×11, first 2 shown]
	v_mul_lo_u32 v12, v12, v204
	v_mul_lo_u32 v14, v210, v203
	v_dot4c_i32_i8_e32 v154, v202, v3
	v_mad_u64_u32 v[14:15], s[16:17], v208, v204, v[14:15]
	v_mad_u64_u32 v[12:13], s[16:17], v13, v203, v[12:13]
	v_cvt_f32_i32_e32 v13, v12
	v_cvt_f32_i32_e32 v12, v14
	;; [unrolled: 1-line block ×4, first 2 shown]
	v_mov_b32_e32 v212, 0
	v_mov_b32_e32 v155, 0
	;; [unrolled: 1-line block ×3, first 2 shown]
	v_pk_mul_f32 v[14:15], v[146:147], v[14:15] op_sel_hi:[0,1]
	v_pk_fma_f32 v[12:13], v[144:145], v[12:13], v[14:15] op_sel_hi:[0,1,1] neg_lo:[0,0,1] neg_hi:[0,0,1]
	v_pk_fma_f32 v[34:35], v[8:9], v[12:13], v[34:35]
	v_mov_b32_e32 v13, 0
	v_dot4c_i32_i8_e32 v13, v205, v4
	v_mov_b32_e32 v12, 0
	v_dot4c_i32_i8_e32 v13, v205, v5
	v_dot4c_i32_i8_e32 v12, v186, v4
	;; [unrolled: 1-line block ×3, first 2 shown]
	v_mov_b32_e32 v4, 0
	v_dot4c_i32_i8_e32 v12, v184, v5
	v_dot4c_i32_i8_e32 v13, v205, v7
	;; [unrolled: 1-line block ×11, first 2 shown]
	v_mul_lo_u32 v0, v12, v192
	v_mul_lo_u32 v2, v211, v153
	v_dot4c_i32_i8_e32 v13, v152, v3
	v_mad_u64_u32 v[2:3], s[16:17], v10, v192, v[2:3]
	v_mad_u64_u32 v[0:1], s[16:17], v4, v153, v[0:1]
	v_cvt_f32_i32_e32 v1, v0
	v_cvt_f32_i32_e32 v0, v2
	;; [unrolled: 1-line block ×4, first 2 shown]
	v_mov_b32_e32 v14, 0
	v_mov_b32_e32 v11, 0
	;; [unrolled: 1-line block ×3, first 2 shown]
	v_pk_mul_f32 v[2:3], v[138:139], v[2:3] op_sel_hi:[0,1]
	v_pk_fma_f32 v[0:1], v[136:137], v[0:1], v[2:3] op_sel_hi:[0,1,1] neg_lo:[0,0,1] neg_hi:[0,0,1]
	v_pk_fma_f32 v[32:33], v[8:9], v[0:1], v[32:33]
	ds_read2_b32 v[8:9], v147 offset0:128 offset1:160
	ds_read_b128 v[4:7], v145 offset:4096
	ds_read_b128 v[0:3], v145 offset:4112
	v_mov_b32_e32 v154, 0
	v_mov_b32_e32 v206, 0
	;; [unrolled: 1-line block ×3, first 2 shown]
	s_waitcnt lgkmcnt(1)
	v_dot4c_i32_i8_e32 v212, v193, v4
	v_dot4c_i32_i8_e32 v155, v197, v4
	v_dot4c_i32_i8_e32 v14, v201, v4
	v_dot4c_i32_i8_e32 v11, v205, v4
	v_dot4c_i32_i8_e32 v212, v193, v5
	v_dot4c_i32_i8_e32 v155, v197, v5
	v_dot4c_i32_i8_e32 v14, v201, v5
	v_dot4c_i32_i8_e32 v11, v205, v5
	v_dot4c_i32_i8_e32 v212, v193, v6
	v_dot4c_i32_i8_e32 v155, v197, v6
	v_dot4c_i32_i8_e32 v14, v201, v6
	v_dot4c_i32_i8_e32 v11, v205, v6
	v_dot4c_i32_i8_e32 v212, v193, v7
	v_dot4c_i32_i8_e32 v155, v197, v7
	v_dot4c_i32_i8_e32 v14, v201, v7
	v_mov_b32_e32 v15, 0
	v_mov_b32_e32 v10, 0
	v_dot4c_i32_i8_e32 v11, v205, v7
	v_mov_b32_e32 v12, 0
	v_dot4c_i32_i8_e32 v207, v171, v4
	s_waitcnt lgkmcnt(0)
	v_dot4c_i32_i8_e32 v209, v164, v0
	v_dot4c_i32_i8_e32 v212, v194, v0
	;; [unrolled: 1-line block ×47, first 2 shown]
	ds_read_b128 v[4:7], v145 offset:5120
	ds_read_b128 v[0:3], v145 offset:5136
	v_mov_b32_e32 v213, 0
	v_mov_b32_e32 v208, 0
	v_mul_lo_u32 v210, v209, v195
	s_waitcnt lgkmcnt(1)
	v_dot4c_i32_i8_e32 v213, v193, v4
	v_dot4c_i32_i8_e32 v213, v193, v5
	;; [unrolled: 1-line block ×6, first 2 shown]
	s_waitcnt lgkmcnt(0)
	v_dot4c_i32_i8_e32 v214, v164, v0
	v_dot4c_i32_i8_e32 v208, v169, v6
	;; [unrolled: 1-line block ×9, first 2 shown]
	v_mul_lo_u32 v208, v208, v196
	v_dot4c_i32_i8_e32 v213, v194, v3
	v_mad_u64_u32 v[210:211], s[16:17], v207, v196, v[210:211]
	v_mad_u64_u32 v[208:209], s[16:17], v214, v195, v[208:209]
	v_cvt_f32_i32_e32 v209, v208
	v_cvt_f32_i32_e32 v208, v210
	;; [unrolled: 1-line block ×4, first 2 shown]
	v_mov_b32_e32 v207, 0
	v_dot4c_i32_i8_e32 v207, v191, v4
	v_dot4c_i32_i8_e32 v207, v185, v5
	v_pk_mul_f32 v[210:211], v[142:143], v[210:211] op_sel_hi:[0,1]
	v_pk_fma_f32 v[208:209], v[140:141], v[208:209], v[210:211] op_sel_hi:[0,1,1] neg_lo:[0,0,1] neg_hi:[0,0,1]
	v_mov_b32_e32 v210, 0
	v_dot4c_i32_i8_e32 v210, v197, v4
	v_dot4c_i32_i8_e32 v210, v197, v5
	v_pk_fma_f32 v[30:31], v[8:9], v[208:209], v[30:31]
	v_dot4c_i32_i8_e32 v210, v197, v6
	v_mov_b32_e32 v209, 0
	v_dot4c_i32_i8_e32 v210, v197, v7
	v_dot4c_i32_i8_e32 v209, v180, v0
	;; [unrolled: 1-line block ×10, first 2 shown]
	v_mul_lo_u32 v208, v207, v200
	v_mul_lo_u32 v206, v206, v199
	v_dot4c_i32_i8_e32 v210, v198, v3
	v_mad_u64_u32 v[206:207], s[16:17], v154, v200, v[206:207]
	v_mad_u64_u32 v[208:209], s[16:17], v209, v199, v[208:209]
	v_cvt_f32_i32_e32 v207, v208
	v_cvt_f32_i32_e32 v209, v210
	;; [unrolled: 1-line block ×5, first 2 shown]
	v_mov_b32_e32 v210, 0
	v_pk_mul_f32 v[154:155], v[150:151], v[208:209] op_sel_hi:[0,1]
	v_mov_b32_e32 v208, 0
	v_dot4c_i32_i8_e32 v208, v201, v4
	v_pk_fma_f32 v[154:155], v[148:149], v[206:207], v[154:155] op_sel_hi:[0,1,1] neg_lo:[0,0,1] neg_hi:[0,0,1]
	v_dot4c_i32_i8_e32 v208, v201, v5
	v_pk_fma_f32 v[28:29], v[8:9], v[154:155], v[28:29]
	v_mov_b32_e32 v154, 0
	v_dot4c_i32_i8_e32 v208, v201, v6
	v_dot4c_i32_i8_e32 v154, v179, v4
	;; [unrolled: 1-line block ×3, first 2 shown]
	v_mov_b32_e32 v155, 0
	v_dot4c_i32_i8_e32 v154, v176, v5
	v_dot4c_i32_i8_e32 v155, v172, v0
	;; [unrolled: 1-line block ×11, first 2 shown]
	v_mul_lo_u32 v154, v154, v204
	v_mul_lo_u32 v206, v15, v203
	v_mad_u64_u32 v[206:207], s[16:17], v13, v204, v[206:207]
	v_mad_u64_u32 v[154:155], s[16:17], v155, v203, v[154:155]
	v_cvt_f32_i32_e32 v15, v208
	v_cvt_f32_i32_e32 v155, v154
	;; [unrolled: 1-line block ×3, first 2 shown]
	v_mov_b32_e32 v13, 0
	v_pk_mul_f32 v[14:15], v[146:147], v[14:15] op_sel_hi:[0,1]
	v_dot4c_i32_i8_e32 v13, v186, v4
	v_pk_fma_f32 v[14:15], v[144:145], v[154:155], v[14:15] op_sel_hi:[0,1,1] neg_lo:[0,0,1] neg_hi:[0,0,1]
	v_pk_fma_f32 v[26:27], v[8:9], v[14:15], v[26:27]
	v_mov_b32_e32 v14, 0
	v_dot4c_i32_i8_e32 v14, v205, v4
	v_dot4c_i32_i8_e32 v14, v205, v5
	;; [unrolled: 1-line block ×3, first 2 shown]
	v_mov_b32_e32 v4, 0
	v_dot4c_i32_i8_e32 v13, v184, v5
	v_dot4c_i32_i8_e32 v14, v205, v7
	;; [unrolled: 1-line block ×11, first 2 shown]
	v_mul_lo_u32 v0, v13, v192
	v_mul_lo_u32 v2, v12, v153
	v_dot4c_i32_i8_e32 v14, v152, v3
	v_mad_u64_u32 v[2:3], s[16:17], v10, v192, v[2:3]
	v_mad_u64_u32 v[0:1], s[16:17], v4, v153, v[0:1]
	v_cvt_f32_i32_e32 v1, v0
	v_cvt_f32_i32_e32 v0, v2
	;; [unrolled: 1-line block ×4, first 2 shown]
	v_mov_b32_e32 v207, 0
	v_mov_b32_e32 v155, 0
	;; [unrolled: 1-line block ×3, first 2 shown]
	v_pk_mul_f32 v[2:3], v[138:139], v[2:3] op_sel_hi:[0,1]
	v_pk_fma_f32 v[0:1], v[136:137], v[0:1], v[2:3] op_sel_hi:[0,1,1] neg_lo:[0,0,1] neg_hi:[0,0,1]
	v_pk_fma_f32 v[24:25], v[8:9], v[0:1], v[24:25]
	ds_read2_b32 v[8:9], v147 offset0:192 offset1:224
	ds_read_b128 v[4:7], v145 offset:6144
	ds_read_b128 v[0:3], v145 offset:6160
	v_mov_b32_e32 v11, 0
	v_mov_b32_e32 v206, 0
	;; [unrolled: 1-line block ×3, first 2 shown]
	s_waitcnt lgkmcnt(1)
	v_dot4c_i32_i8_e32 v207, v193, v4
	v_dot4c_i32_i8_e32 v155, v197, v4
	;; [unrolled: 1-line block ×13, first 2 shown]
	v_mov_b32_e32 v154, 0
	v_dot4c_i32_i8_e32 v155, v197, v7
	v_mov_b32_e32 v209, 0
	v_mov_b32_e32 v13, 0
	v_dot4c_i32_i8_e32 v14, v201, v7
	v_mov_b32_e32 v15, 0
	;; [unrolled: 3-line block ×3, first 2 shown]
	v_dot4c_i32_i8_e32 v206, v171, v4
	s_waitcnt lgkmcnt(0)
	v_dot4c_i32_i8_e32 v208, v164, v0
	v_dot4c_i32_i8_e32 v207, v194, v0
	;; [unrolled: 1-line block ×47, first 2 shown]
	ds_read_b128 v[4:7], v145 offset:7168
	ds_read_b128 v[0:3], v145 offset:7184
	v_cvt_f32_i32_e32 v14, v14
	s_waitcnt lgkmcnt(1)
	v_dot4c_i32_i8_e32 v210, v171, v4
	v_mov_b32_e32 v171, 0
	v_dot4c_i32_i8_e32 v171, v193, v4
	v_dot4c_i32_i8_e32 v171, v193, v5
	;; [unrolled: 1-line block ×4, first 2 shown]
	v_mov_b32_e32 v168, 0
	v_dot4c_i32_i8_e32 v171, v193, v7
	s_waitcnt lgkmcnt(0)
	v_dot4c_i32_i8_e32 v168, v164, v0
	v_dot4c_i32_i8_e32 v210, v169, v6
	;; [unrolled: 1-line block ×9, first 2 shown]
	v_mul_lo_u32 v164, v210, v196
	v_mul_lo_u32 v166, v208, v195
	v_dot4c_i32_i8_e32 v171, v194, v3
	v_mad_u64_u32 v[166:167], s[16:17], v206, v196, v[166:167]
	v_mad_u64_u32 v[164:165], s[16:17], v168, v195, v[164:165]
	v_cvt_f32_i32_e32 v165, v164
	v_cvt_f32_i32_e32 v164, v166
	;; [unrolled: 1-line block ×4, first 2 shown]
	v_mov_b32_e32 v168, 0
	v_dot4c_i32_i8_e32 v168, v197, v4
	v_dot4c_i32_i8_e32 v168, v197, v5
	v_pk_mul_f32 v[166:167], v[142:143], v[166:167] op_sel_hi:[0,1]
	v_pk_fma_f32 v[164:165], v[140:141], v[164:165], v[166:167] op_sel_hi:[0,1,1] neg_lo:[0,0,1] neg_hi:[0,0,1]
	v_mov_b32_e32 v140, 0
	v_dot4c_i32_i8_e32 v140, v191, v4
	v_dot4c_i32_i8_e32 v168, v197, v6
	v_mov_b32_e32 v166, 0
	v_dot4c_i32_i8_e32 v140, v185, v5
	v_dot4c_i32_i8_e32 v168, v197, v7
	;; [unrolled: 1-line block ×11, first 2 shown]
	v_mul_lo_u32 v140, v140, v200
	v_mul_lo_u32 v142, v209, v199
	v_pk_fma_f32 v[22:23], v[8:9], v[164:165], v[22:23]
	v_dot4c_i32_i8_e32 v168, v198, v3
	v_mad_u64_u32 v[164:165], s[16:17], v154, v200, v[142:143]
	v_mad_u64_u32 v[166:167], s[16:17], v166, v199, v[140:141]
	v_cvt_f32_i32_e32 v165, v166
	v_cvt_f32_i32_e32 v167, v168
	;; [unrolled: 1-line block ×4, first 2 shown]
	v_mov_b32_e32 v140, 0
	v_dot4c_i32_i8_e32 v140, v179, v4
	v_pk_mul_f32 v[154:155], v[150:151], v[166:167] op_sel_hi:[0,1]
	v_pk_fma_f32 v[154:155], v[148:149], v[164:165], v[154:155] op_sel_hi:[0,1,1] neg_lo:[0,0,1] neg_hi:[0,0,1]
	v_mov_b32_e32 v148, 0
	v_dot4c_i32_i8_e32 v148, v201, v4
	v_dot4c_i32_i8_e32 v148, v201, v5
	;; [unrolled: 1-line block ×4, first 2 shown]
	v_mov_b32_e32 v150, 0
	v_dot4c_i32_i8_e32 v140, v176, v5
	v_dot4c_i32_i8_e32 v150, v172, v0
	;; [unrolled: 1-line block ×11, first 2 shown]
	v_mul_lo_u32 v140, v140, v204
	v_mul_lo_u32 v142, v15, v203
	v_pk_fma_f32 v[20:21], v[8:9], v[154:155], v[20:21]
	v_mad_u64_u32 v[154:155], s[16:17], v13, v204, v[142:143]
	v_mad_u64_u32 v[164:165], s[16:17], v150, v203, v[140:141]
	v_cvt_f32_i32_e32 v15, v148
	v_cvt_f32_i32_e32 v155, v164
	;; [unrolled: 1-line block ×3, first 2 shown]
	v_mov_b32_e32 v13, 0
	v_pk_mul_f32 v[14:15], v[146:147], v[14:15] op_sel_hi:[0,1]
	v_dot4c_i32_i8_e32 v13, v205, v4
	v_pk_fma_f32 v[14:15], v[144:145], v[154:155], v[14:15] op_sel_hi:[0,1,1] neg_lo:[0,0,1] neg_hi:[0,0,1]
	v_pk_fma_f32 v[18:19], v[8:9], v[14:15], v[18:19]
	v_mov_b32_e32 v14, 0
	v_dot4c_i32_i8_e32 v13, v205, v5
	v_dot4c_i32_i8_e32 v14, v186, v4
	;; [unrolled: 1-line block ×3, first 2 shown]
	v_mov_b32_e32 v4, 0
	v_dot4c_i32_i8_e32 v14, v184, v5
	v_dot4c_i32_i8_e32 v13, v205, v7
	;; [unrolled: 1-line block ×11, first 2 shown]
	v_mul_lo_u32 v0, v14, v192
	v_mul_lo_u32 v2, v12, v153
	v_dot4c_i32_i8_e32 v13, v152, v3
	v_mad_u64_u32 v[2:3], s[16:17], v10, v192, v[2:3]
	v_mad_u64_u32 v[0:1], s[16:17], v4, v153, v[0:1]
	v_cvt_f32_i32_e32 v1, v0
	v_cvt_f32_i32_e32 v0, v2
	;; [unrolled: 1-line block ×4, first 2 shown]
	s_add_i32 s16, s11, 2
	v_add_u32_e32 v147, 4, v147
	v_add_u32_e32 v145, 32, v145
	v_pk_mul_f32 v[2:3], v[138:139], v[2:3] op_sel_hi:[0,1]
	v_pk_fma_f32 v[0:1], v[136:137], v[0:1], v[2:3] op_sel_hi:[0,1,1] neg_lo:[0,0,1] neg_hi:[0,0,1]
	v_pk_fma_f32 v[16:17], v[8:9], v[0:1], v[16:17]
	s_cmp_lt_u32 s11, 6
	s_mov_b32 s11, s16
	s_cbranch_scc1 .LBB168_7
; %bb.8:                                ;   in Loop: Header=BB168_6 Depth=1
	v_add_u32_e32 v14, s9, v99
	v_add_u32_e32 v0, v14, v67
	;; [unrolled: 1-line block ×6, first 2 shown]
	v_mad_i64_i32 v[0:1], s[16:17], v0, 36, v[88:89]
	v_mad_i64_i32 v[2:3], s[16:17], v2, 36, v[88:89]
	;; [unrolled: 1-line block ×4, first 2 shown]
	v_add_u32_e32 v8, v14, v87
	v_add_u32_e32 v10, v14, v93
	;; [unrolled: 1-line block ×4, first 2 shown]
	v_mad_u64_u32 v[144:145], s[16:17], v136, 36, s[2:3]
	s_barrier
	v_mad_i64_i32 v[8:9], s[16:17], v8, 36, v[88:89]
	v_mad_i64_i32 v[10:11], s[16:17], v10, 36, v[88:89]
	;; [unrolled: 1-line block ×4, first 2 shown]
	global_load_dword v136, v[144:145], off
	s_nop 0
	global_load_dword v0, v[0:1], off offset:4
	s_nop 0
	global_load_dword v1, v[2:3], off offset:4
	s_nop 0
	global_load_dword v2, v[4:5], off offset:4
	global_load_dword v3, v[6:7], off offset:4
	s_nop 0
	global_load_dword v4, v[8:9], off offset:4
	global_load_dword v5, v[10:11], off offset:4
	global_load_dword v6, v[12:13], off offset:4
	global_load_dword v7, v[14:15], off offset:4
	s_mov_b32 s11, 8
	v_mov_b32_e32 v145, v125
	v_mov_b32_e32 v147, v107
	s_waitcnt vmcnt(8)
	v_cvt_f32_f16_e32 v8, v136
	s_waitcnt vmcnt(7)
	ds_write_b32 v123, v0
	s_waitcnt vmcnt(6)
	ds_write_b32 v109, v1
	;; [unrolled: 2-line block ×8, first 2 shown]
	ds_write_b32 v65, v8
	s_waitcnt lgkmcnt(0)
	s_barrier
.LBB168_9:                              ;   Parent Loop BB168_6 Depth=1
                                        ; =>  This Inner Loop Header: Depth=2
	s_and_b32 s18, s11, 0x3ffffff8
	v_lshl_add_u32 v10, s18, 2, v105
	ds_read2_b32 v[152:153], v147 offset1:32
	ds_read_b128 v[4:7], v145
	ds_read_b128 v[0:3], v145 offset:16
	ds_read2_b32 v[8:9], v10 offset1:1
	s_add_i32 s16, s11, -8
	s_lshr_b32 s18, s11, 2
	s_and_b32 s18, s18, 0x3ffffffc
	s_addk_i32 s18, 0x7280
	s_waitcnt lgkmcnt(0)
	v_ashrrev_i32_e32 v8, s16, v8
	v_and_b32_e32 v175, 0x3030303, v8
	v_ashrrev_i32_e32 v8, s16, v9
	v_and_b32_e32 v172, 0x3030303, v8
	ds_read2_b32 v[8:9], v10 offset0:2 offset1:3
	s_and_b32 s17, s11, -16
	s_add_i32 s17, s11, s17
	v_add_u32_e32 v155, s17, v45
	v_mov_b32_e32 v205, 0
	s_waitcnt lgkmcnt(0)
	v_ashrrev_i32_e32 v8, s16, v8
	v_and_b32_e32 v173, 0x3030303, v8
	v_ashrrev_i32_e32 v8, s16, v9
	v_and_b32_e32 v174, 0x3030303, v8
	ds_read2_b32 v[8:9], v10 offset0:4 offset1:5
	v_mov_b32_e32 v209, 0
	v_mov_b32_e32 v198, 0
	;; [unrolled: 1-line block ×4, first 2 shown]
	s_waitcnt lgkmcnt(0)
	v_ashrrev_i32_e32 v8, s16, v8
	v_and_b32_e32 v164, 0x3030303, v8
	v_ashrrev_i32_e32 v8, s16, v9
	v_and_b32_e32 v165, 0x3030303, v8
	ds_read2_b32 v[8:9], v10 offset0:6 offset1:7
	v_dot4c_i32_i8_e32 v198, v164, v0
	v_dot4c_i32_i8_e32 v154, v175, v4
	;; [unrolled: 1-line block ×4, first 2 shown]
	s_waitcnt lgkmcnt(0)
	v_ashrrev_i32_e32 v8, s16, v8
	v_and_b32_e32 v166, 0x3030303, v8
	v_ashrrev_i32_e32 v8, s16, v9
	v_and_b32_e32 v167, 0x3030303, v8
	v_add3_u32 v8, s18, v156, v127
	ds_read_b32 v8, v8
	v_dot4c_i32_i8_e32 v198, v166, v2
	v_dot4c_i32_i8_e32 v154, v173, v6
	;; [unrolled: 1-line block ×4, first 2 shown]
	s_waitcnt lgkmcnt(0)
	v_cvt_f32_f16_e32 v140, v8
	v_cvt_f32_f16_sdwa v142, v8 dst_sel:DWORD dst_unused:UNUSED_PAD src0_sel:WORD_1
	v_add_u32_e32 v8, 0x1080, v10
	ds_read2_b32 v[8:9], v8 offset1:1
	v_add_u32_e32 v199, s17, v53
                                        ; kill: def $vgpr201 killed $sgpr0 killed $exec
	v_add_u32_e32 v197, s17, v47
	v_add_u32_e32 v203, s17, v49
	v_mov_b32_e32 v204, 0
	s_waitcnt lgkmcnt(0)
	v_ashrrev_i32_e32 v8, s16, v8
	v_and_b32_e32 v183, 0x3030303, v8
	v_ashrrev_i32_e32 v8, s16, v9
	v_and_b32_e32 v176, 0x3030303, v8
	v_add_u32_e32 v8, 0x1088, v10
	ds_read2_b32 v[8:9], v8 offset1:1
	v_mov_b32_e32 v210, 0
	v_mov_b32_e32 v202, 0
	v_dot4c_i32_i8_e32 v202, v183, v4
	v_dot4c_i32_i8_e32 v202, v176, v5
	s_waitcnt lgkmcnt(0)
	v_ashrrev_i32_e32 v8, s16, v8
	v_and_b32_e32 v179, 0x3030303, v8
	v_ashrrev_i32_e32 v8, s16, v9
	v_and_b32_e32 v180, 0x3030303, v8
	v_add_u32_e32 v8, 0x1090, v10
	ds_read2_b32 v[8:9], v8 offset1:1
	v_dot4c_i32_i8_e32 v202, v179, v6
	v_dot4c_i32_i8_e32 v202, v180, v7
	v_mov_b32_e32 v206, 0
	v_mov_b32_e32 v212, 0
	s_waitcnt lgkmcnt(0)
	v_ashrrev_i32_e32 v8, s16, v8
	v_and_b32_e32 v168, 0x3030303, v8
	v_ashrrev_i32_e32 v8, s16, v9
	v_and_b32_e32 v169, 0x3030303, v8
	v_add_u32_e32 v8, 0x1098, v10
	ds_read2_b32 v[8:9], v8 offset1:1
	v_dot4c_i32_i8_e32 v204, v168, v0
	v_dot4c_i32_i8_e32 v204, v169, v1
	v_mov_b32_e32 v207, 0
	v_mov_b32_e32 v196, 0
	s_waitcnt lgkmcnt(0)
	v_ashrrev_i32_e32 v8, s16, v8
	v_and_b32_e32 v170, 0x3030303, v8
	v_ashrrev_i32_e32 v8, s16, v9
	v_and_b32_e32 v171, 0x3030303, v8
	v_add3_u32 v8, s18, v129, v131
	ds_read_b32 v8, v8
	v_dot4c_i32_i8_e32 v204, v170, v2
	v_dot4c_i32_i8_e32 v204, v171, v3
	v_mov_b32_e32 v208, 0
	v_mov_b32_e32 v213, 0
	s_waitcnt lgkmcnt(0)
	v_cvt_f32_f16_e32 v144, v8
	v_cvt_f32_f16_sdwa v146, v8 dst_sel:DWORD dst_unused:UNUSED_PAD src0_sel:WORD_1
	v_add_u32_e32 v8, 0x2100, v10
	ds_read2_b32 v[8:9], v8 offset1:1
	v_mov_b32_e32 v214, 0
	s_waitcnt lgkmcnt(0)
	v_ashrrev_i32_e32 v8, s16, v8
	v_and_b32_e32 v187, 0x3030303, v8
	v_ashrrev_i32_e32 v8, s16, v9
	v_and_b32_e32 v184, 0x3030303, v8
	v_add_u32_e32 v8, 0x2108, v10
	ds_read2_b32 v[8:9], v8 offset1:1
	v_dot4c_i32_i8_e32 v196, v187, v4
	v_dot4c_i32_i8_e32 v196, v184, v5
	s_waitcnt lgkmcnt(0)
	v_ashrrev_i32_e32 v8, s16, v8
	v_and_b32_e32 v185, 0x3030303, v8
	v_ashrrev_i32_e32 v8, s16, v9
	v_and_b32_e32 v186, 0x3030303, v8
	v_add_u32_e32 v8, 0x2110, v10
	ds_read2_b32 v[8:9], v8 offset1:1
	v_dot4c_i32_i8_e32 v196, v185, v6
	v_dot4c_i32_i8_e32 v196, v186, v7
	;; [unrolled: 9-line block ×3, first 2 shown]
	s_waitcnt lgkmcnt(0)
	v_ashrrev_i32_e32 v8, s16, v8
	v_and_b32_e32 v181, 0x3030303, v8
	v_ashrrev_i32_e32 v8, s16, v9
	v_and_b32_e32 v182, 0x3030303, v8
	v_add3_u32 v8, s18, v133, v135
	ds_read_b32 v8, v8
	v_dot4c_i32_i8_e32 v206, v181, v2
	v_dot4c_i32_i8_e32 v206, v182, v3
	s_waitcnt lgkmcnt(0)
	v_cvt_f32_f16_e32 v148, v8
	v_cvt_f32_f16_sdwa v150, v8 dst_sel:DWORD dst_unused:UNUSED_PAD src0_sel:WORD_1
	v_add_u32_e32 v8, 0x3180, v10
	ds_read2_b32 v[8:9], v8 offset1:1
	s_waitcnt lgkmcnt(0)
	v_ashrrev_i32_e32 v8, s16, v8
	v_and_b32_e32 v191, 0x3030303, v8
	v_ashrrev_i32_e32 v8, s16, v9
	v_and_b32_e32 v188, 0x3030303, v8
	v_add_u32_e32 v8, 0x3188, v10
	ds_read2_b32 v[8:9], v8 offset1:1
	v_dot4c_i32_i8_e32 v207, v191, v4
	v_dot4c_i32_i8_e32 v207, v188, v5
	s_waitcnt lgkmcnt(0)
	v_ashrrev_i32_e32 v8, s16, v8
	v_and_b32_e32 v189, 0x3030303, v8
	v_ashrrev_i32_e32 v8, s16, v9
	v_and_b32_e32 v190, 0x3030303, v8
	v_add_u32_e32 v8, 0x3190, v10
	ds_read2_b32 v[8:9], v8 offset1:1
	v_dot4c_i32_i8_e32 v207, v189, v6
	v_dot4c_i32_i8_e32 v207, v190, v7
	;; [unrolled: 9-line block ×3, first 2 shown]
	s_waitcnt lgkmcnt(0)
	v_ashrrev_i32_e32 v8, s16, v8
	v_and_b32_e32 v162, 0x3030303, v8
	v_ashrrev_i32_e32 v8, s16, v9
	v_and_b32_e32 v163, 0x3030303, v8
	v_add3_u32 v8, s18, v137, v139
	ds_read_b32 v8, v8
	v_dot4c_i32_i8_e32 v208, v162, v2
	v_dot4c_i32_i8_e32 v208, v163, v3
	s_waitcnt lgkmcnt(0)
	v_cvt_f32_f16_e32 v136, v8
	v_cvt_f32_f16_sdwa v138, v8 dst_sel:DWORD dst_unused:UNUSED_PAD src0_sel:WORD_1
	ds_read_b128 v[12:15], v145 offset:1024
	ds_read_b128 v[8:11], v145 offset:1040
	ds_read_u16 v155, v155 offset:25088
	s_waitcnt lgkmcnt(2)
	v_dot4c_i32_i8_e32 v200, v175, v12
	v_dot4c_i32_i8_e32 v200, v172, v13
	s_waitcnt lgkmcnt(0)
	v_bfe_u32 v192, v155, 4, 4
	v_mul_lo_u32 v195, v192, s8
	v_dot4c_i32_i8_e32 v205, v195, v4
	v_dot4c_i32_i8_e32 v209, v195, v12
	;; [unrolled: 1-line block ×3, first 2 shown]
	v_and_b32_sdwa v192, v155, v158 dst_sel:DWORD dst_unused:UNUSED_PAD src0_sel:BYTE_1 src1_sel:DWORD
	v_and_b32_e32 v193, 15, v155
	v_lshrrev_b32_sdwa v155, v157, v155 dst_sel:DWORD dst_unused:UNUSED_PAD src0_sel:DWORD src1_sel:BYTE_1
	v_dot4c_i32_i8_e32 v209, v195, v13
	v_dot4c_i32_i8_e32 v205, v195, v6
	v_mul_lo_u32 v194, v155, s8
	v_dot4c_i32_i8_e32 v209, v195, v14
	v_mov_b32_e32 v155, 0
	v_dot4c_i32_i8_e32 v205, v195, v7
	v_dot4c_i32_i8_e32 v209, v195, v15
	;; [unrolled: 1-line block ×8, first 2 shown]
	v_and_b32_e32 v193, 0xffff, v193
	v_and_b32_e32 v192, 0xffff, v192
	v_dot4c_i32_i8_e32 v205, v194, v1
	v_dot4c_i32_i8_e32 v209, v194, v9
	;; [unrolled: 1-line block ×4, first 2 shown]
	v_mul_lo_u32 v198, v198, v192
	v_mul_lo_u32 v200, v200, v193
	v_dot4c_i32_i8_e32 v209, v194, v10
	v_dot4c_i32_i8_e32 v155, v167, v11
	;; [unrolled: 1-line block ×4, first 2 shown]
	s_nop 0
	v_mad_u64_u32 v[200:201], s[16:17], v155, v192, v[200:201]
	v_mad_u64_u32 v[154:155], s[16:17], v193, v154, v[198:199]
	v_cvt_f32_i32_e32 v155, v154
	v_cvt_f32_i32_e32 v154, v200
	;; [unrolled: 1-line block ×4, first 2 shown]
	ds_read_u16 v199, v199 offset:28160
	v_mov_b32_e32 v209, 0
                                        ; kill: def $vgpr205 killed $sgpr0 killed $exec
	v_pk_mul_f32 v[200:201], v[142:143], v[200:201] op_sel_hi:[0,1]
	v_pk_fma_f32 v[200:201], v[140:141], v[154:155], v[200:201] op_sel_hi:[0,1,1] neg_lo:[0,0,1] neg_hi:[0,0,1]
	v_mov_b32_e32 v155, v152
	ds_read_u16 v152, v197 offset:26112
	v_mov_b32_e32 v154, v153
	v_mov_b32_e32 v153, 0
	v_dot4c_i32_i8_e32 v153, v183, v12
	v_dot4c_i32_i8_e32 v153, v176, v13
	s_waitcnt lgkmcnt(0)
	v_bfe_u32 v197, v152, 4, 4
	v_pk_fma_f32 v[70:71], v[154:155], v[200:201], v[70:71]
	v_dot4c_i32_i8_e32 v153, v179, v14
	v_mul_lo_u32 v201, v197, s8
	v_and_b32_sdwa v197, v152, v158 dst_sel:DWORD dst_unused:UNUSED_PAD src0_sel:BYTE_1 src1_sel:DWORD
	v_and_b32_e32 v198, 15, v152
	v_dot4c_i32_i8_e32 v153, v180, v15
	v_dot4c_i32_i8_e32 v209, v201, v4
	v_and_b32_e32 v198, 0xffff, v198
	v_and_b32_e32 v197, 0xffff, v197
	v_lshrrev_b32_sdwa v152, v157, v152 dst_sel:DWORD dst_unused:UNUSED_PAD src0_sel:DWORD src1_sel:BYTE_1
	v_dot4c_i32_i8_e32 v210, v201, v12
	v_dot4c_i32_i8_e32 v209, v201, v5
	v_mul_lo_u32 v200, v152, s8
	v_dot4c_i32_i8_e32 v210, v201, v13
	v_mul_lo_u32 v152, v204, v197
	v_mul_lo_u32 v204, v153, v198
	v_mov_b32_e32 v153, 0
	v_dot4c_i32_i8_e32 v209, v201, v6
	v_dot4c_i32_i8_e32 v210, v201, v14
	;; [unrolled: 1-line block ×15, first 2 shown]
	v_mad_u64_u32 v[204:205], s[16:17], v153, v197, v[204:205]
                                        ; kill: def $vgpr153 killed $sgpr0 killed $exec
	v_dot4c_i32_i8_e32 v210, v200, v11
	v_mad_u64_u32 v[152:153], s[16:17], v198, v202, v[152:153]
	v_cvt_f32_i32_e32 v153, v152
	v_cvt_f32_i32_e32 v152, v204
	;; [unrolled: 1-line block ×4, first 2 shown]
	v_mov_b32_e32 v209, 0
	v_pk_mul_f32 v[204:205], v[146:147], v[204:205] op_sel_hi:[0,1]
	v_pk_fma_f32 v[152:153], v[144:145], v[152:153], v[204:205] op_sel_hi:[0,1,1] neg_lo:[0,0,1] neg_hi:[0,0,1]
	v_pk_fma_f32 v[78:79], v[154:155], v[152:153], v[78:79]
	ds_read_u16 v152, v203 offset:27136
	v_mov_b32_e32 v153, 0
	v_dot4c_i32_i8_e32 v153, v187, v12
	v_dot4c_i32_i8_e32 v153, v184, v13
	;; [unrolled: 1-line block ×3, first 2 shown]
	s_waitcnt lgkmcnt(0)
	v_bfe_u32 v202, v152, 4, 4
	v_mul_lo_u32 v205, v202, s8
	v_and_b32_sdwa v202, v152, v158 dst_sel:DWORD dst_unused:UNUSED_PAD src0_sel:BYTE_1 src1_sel:DWORD
	v_and_b32_e32 v203, 15, v152
	v_dot4c_i32_i8_e32 v153, v186, v15
	v_dot4c_i32_i8_e32 v209, v205, v4
	v_and_b32_e32 v203, 0xffff, v203
	v_and_b32_e32 v202, 0xffff, v202
	v_lshrrev_b32_sdwa v152, v157, v152 dst_sel:DWORD dst_unused:UNUSED_PAD src0_sel:DWORD src1_sel:BYTE_1
	v_dot4c_i32_i8_e32 v212, v205, v12
	v_dot4c_i32_i8_e32 v209, v205, v5
	v_mul_lo_u32 v204, v152, s8
	v_dot4c_i32_i8_e32 v212, v205, v13
	v_mul_lo_u32 v152, v206, v202
	v_mul_lo_u32 v206, v153, v203
	v_mov_b32_e32 v153, 0
	v_dot4c_i32_i8_e32 v209, v205, v6
	v_dot4c_i32_i8_e32 v212, v205, v14
	;; [unrolled: 1-line block ×15, first 2 shown]
	v_mad_u64_u32 v[210:211], s[16:17], v153, v202, v[206:207]
                                        ; kill: def $vgpr153 killed $sgpr0 killed $exec
	v_dot4c_i32_i8_e32 v212, v204, v11
	v_mad_u64_u32 v[152:153], s[16:17], v203, v196, v[152:153]
	v_cvt_f32_i32_e32 v153, v152
	v_cvt_f32_i32_e32 v152, v210
	;; [unrolled: 1-line block ×4, first 2 shown]
	v_mov_b32_e32 v209, 0
	v_mov_b32_e32 v212, 0
	v_pk_mul_f32 v[210:211], v[150:151], v[210:211] op_sel_hi:[0,1]
	v_pk_fma_f32 v[152:153], v[148:149], v[152:153], v[210:211] op_sel_hi:[0,1,1] neg_lo:[0,0,1] neg_hi:[0,0,1]
	v_pk_fma_f32 v[76:77], v[154:155], v[152:153], v[76:77]
	v_bfe_u32 v153, v199, 4, 4
	v_mul_lo_u32 v206, v153, s8
	v_dot4c_i32_i8_e32 v209, v206, v4
	v_dot4c_i32_i8_e32 v209, v206, v5
	v_and_b32_sdwa v4, v199, v158 dst_sel:DWORD dst_unused:UNUSED_PAD src0_sel:BYTE_1 src1_sel:DWORD
	v_dot4c_i32_i8_e32 v209, v206, v6
	v_and_b32_e32 v153, 0xffff, v4
	v_lshrrev_b32_sdwa v4, v157, v199 dst_sel:DWORD dst_unused:UNUSED_PAD src0_sel:DWORD src1_sel:BYTE_1
	v_dot4c_i32_i8_e32 v209, v206, v7
	v_and_b32_e32 v5, 15, v199
	v_mul_lo_u32 v199, v4, s8
	v_mov_b32_e32 v4, 0
	v_mov_b32_e32 v152, 0
	v_dot4c_i32_i8_e32 v209, v199, v0
	v_dot4c_i32_i8_e32 v4, v206, v12
	;; [unrolled: 1-line block ×5, first 2 shown]
	v_mov_b32_e32 v1, 0
	v_dot4c_i32_i8_e32 v152, v188, v13
	v_dot4c_i32_i8_e32 v4, v206, v14
	;; [unrolled: 1-line block ×7, first 2 shown]
	v_and_b32_e32 v196, 0xffff, v5
	v_dot4c_i32_i8_e32 v209, v199, v2
	v_dot4c_i32_i8_e32 v4, v199, v8
	;; [unrolled: 1-line block ×4, first 2 shown]
	v_mul_lo_u32 v2, v152, v196
	v_dot4c_i32_i8_e32 v4, v199, v9
	v_dot4c_i32_i8_e32 v1, v163, v11
                                        ; kill: def $vgpr3 killed $sgpr0 killed $exec
	v_mul_lo_u32 v0, v208, v153
	v_dot4c_i32_i8_e32 v4, v199, v10
	v_dot4c_i32_i8_e32 v4, v199, v11
	v_mad_u64_u32 v[2:3], s[16:17], v1, v153, v[2:3]
                                        ; kill: def $vgpr1 killed $sgpr0 killed $exec
	v_cvt_f32_i32_e32 v3, v209
	v_mad_u64_u32 v[0:1], s[16:17], v196, v207, v[0:1]
	v_cvt_f32_i32_e32 v1, v0
	v_cvt_f32_i32_e32 v0, v2
	v_cvt_f32_i32_e32 v2, v4
	v_mov_b32_e32 v10, 0
	v_mov_b32_e32 v207, 0
	;; [unrolled: 1-line block ×3, first 2 shown]
	v_pk_mul_f32 v[2:3], v[138:139], v[2:3] op_sel_hi:[0,1]
	v_pk_fma_f32 v[0:1], v[136:137], v[0:1], v[2:3] op_sel_hi:[0,1,1] neg_lo:[0,0,1] neg_hi:[0,0,1]
	v_pk_fma_f32 v[72:73], v[154:155], v[0:1], v[72:73]
	ds_read2_b32 v[8:9], v147 offset0:64 offset1:96
	ds_read_b128 v[4:7], v145 offset:2048
	ds_read_b128 v[0:3], v145 offset:2064
	v_mov_b32_e32 v11, 0
	v_mov_b32_e32 v155, 0
	;; [unrolled: 1-line block ×3, first 2 shown]
	s_waitcnt lgkmcnt(1)
	v_dot4c_i32_i8_e32 v207, v195, v4
	s_waitcnt lgkmcnt(0)
	v_dot4c_i32_i8_e32 v10, v164, v0
	v_dot4c_i32_i8_e32 v10, v165, v1
	;; [unrolled: 1-line block ×7, first 2 shown]
	v_mul_lo_u32 v152, v10, v192
	v_mov_b32_e32 v10, 0
	v_dot4c_i32_i8_e32 v10, v168, v0
	v_dot4c_i32_i8_e32 v10, v169, v1
	;; [unrolled: 1-line block ×7, first 2 shown]
	v_mov_b32_e32 v13, 0
	v_dot4c_i32_i8_e32 v11, v206, v5
	v_dot4c_i32_i8_e32 v155, v175, v4
	;; [unrolled: 1-line block ×5, first 2 shown]
	v_mul_lo_u32 v14, v10, v197
	v_dot4c_i32_i8_e32 v154, v187, v4
	v_dot4c_i32_i8_e32 v15, v205, v6
	v_mov_b32_e32 v10, 0
	v_dot4c_i32_i8_e32 v13, v191, v4
	v_dot4c_i32_i8_e32 v11, v206, v6
	v_mov_b32_e32 v4, 0
	v_dot4c_i32_i8_e32 v207, v195, v7
	v_dot4c_i32_i8_e32 v213, v201, v7
	;; [unrolled: 1-line block ×38, first 2 shown]
	v_mul_lo_u32 v12, v10, v202
	v_dot4c_i32_i8_e32 v13, v190, v7
	v_dot4c_i32_i8_e32 v11, v199, v3
	v_mul_lo_u32 v10, v4, v153
	ds_read_b128 v[4:7], v145 offset:3072
	ds_read_b128 v[0:3], v145 offset:3088
	v_mov_b32_e32 v208, 0
	v_mov_b32_e32 v209, 0
	v_mad_u64_u32 v[210:211], s[16:17], v155, v193, v[152:153]
	s_waitcnt lgkmcnt(1)
	v_dot4c_i32_i8_e32 v214, v195, v4
	v_dot4c_i32_i8_e32 v214, v195, v5
	v_dot4c_i32_i8_e32 v208, v175, v4
	v_dot4c_i32_i8_e32 v214, v195, v6
	v_dot4c_i32_i8_e32 v208, v172, v5
	v_dot4c_i32_i8_e32 v214, v195, v7
	s_waitcnt lgkmcnt(0)
	v_dot4c_i32_i8_e32 v209, v164, v0
	v_dot4c_i32_i8_e32 v208, v173, v6
	;; [unrolled: 1-line block ×8, first 2 shown]
	v_mul_lo_u32 v208, v208, v193
	v_dot4c_i32_i8_e32 v209, v167, v3
	v_mov_b32_e32 v155, 0
	v_dot4c_i32_i8_e32 v214, v194, v3
	v_mov_b32_e32 v152, 0
	v_mad_u64_u32 v[208:209], s[16:17], v209, v192, v[208:209]
	v_dot4c_i32_i8_e32 v155, v201, v4
	v_cvt_f32_i32_e32 v209, v208
	v_cvt_f32_i32_e32 v208, v210
	;; [unrolled: 1-line block ×4, first 2 shown]
	v_dot4c_i32_i8_e32 v152, v183, v4
	v_dot4c_i32_i8_e32 v155, v201, v5
	v_mov_b32_e32 v207, 0
	v_dot4c_i32_i8_e32 v152, v176, v5
	v_dot4c_i32_i8_e32 v155, v201, v6
	;; [unrolled: 1-line block ×9, first 2 shown]
	v_pk_mul_f32 v[210:211], v[142:143], v[210:211] op_sel_hi:[0,1]
	v_mul_lo_u32 v152, v152, v198
	v_dot4c_i32_i8_e32 v155, v200, v1
	v_dot4c_i32_i8_e32 v207, v171, v3
	v_pk_fma_f32 v[208:209], v[140:141], v[208:209], v[210:211] op_sel_hi:[0,1,1] neg_lo:[0,0,1] neg_hi:[0,0,1]
	v_dot4c_i32_i8_e32 v155, v200, v2
	v_pk_fma_f32 v[50:51], v[8:9], v[208:209], v[50:51]
	v_mad_u64_u32 v[210:211], s[16:17], v207, v197, v[152:153]
	v_mov_b32_e32 v152, 0
	v_dot4c_i32_i8_e32 v155, v200, v3
	v_mad_u64_u32 v[208:209], s[16:17], v212, v198, v[14:15]
	v_dot4c_i32_i8_e32 v152, v205, v4
	v_cvt_f32_i32_e32 v209, v210
	v_cvt_f32_i32_e32 v211, v155
	;; [unrolled: 1-line block ×3, first 2 shown]
	v_mov_b32_e32 v14, 0
	v_dot4c_i32_i8_e32 v152, v205, v5
	v_cvt_f32_i32_e32 v208, v208
	v_dot4c_i32_i8_e32 v14, v187, v4
	v_dot4c_i32_i8_e32 v152, v205, v6
	v_mov_b32_e32 v207, 0
	v_dot4c_i32_i8_e32 v14, v184, v5
	v_dot4c_i32_i8_e32 v152, v205, v7
	;; [unrolled: 1-line block ×6, first 2 shown]
	v_pk_mul_f32 v[210:211], v[146:147], v[210:211] op_sel_hi:[0,1]
	v_dot4c_i32_i8_e32 v14, v186, v7
	v_dot4c_i32_i8_e32 v152, v204, v1
	;; [unrolled: 1-line block ×3, first 2 shown]
	v_pk_fma_f32 v[208:209], v[144:145], v[208:209], v[210:211] op_sel_hi:[0,1,1] neg_lo:[0,0,1] neg_hi:[0,0,1]
	v_mul_lo_u32 v14, v14, v203
	v_dot4c_i32_i8_e32 v152, v204, v2
	v_dot4c_i32_i8_e32 v207, v182, v3
	v_pk_fma_f32 v[40:41], v[8:9], v[208:209], v[40:41]
	v_dot4c_i32_i8_e32 v152, v204, v3
	v_mad_u64_u32 v[154:155], s[16:17], v154, v203, v[12:13]
	v_mad_u64_u32 v[208:209], s[16:17], v207, v202, v[14:15]
	v_cvt_f32_i32_e32 v155, v208
	v_cvt_f32_i32_e32 v209, v152
	;; [unrolled: 1-line block ×4, first 2 shown]
	v_mov_b32_e32 v12, 0
	v_dot4c_i32_i8_e32 v12, v191, v4
	v_pk_mul_f32 v[14:15], v[150:151], v[208:209] op_sel_hi:[0,1]
	v_pk_fma_f32 v[14:15], v[148:149], v[154:155], v[14:15] op_sel_hi:[0,1,1] neg_lo:[0,0,1] neg_hi:[0,0,1]
	v_pk_fma_f32 v[34:35], v[8:9], v[14:15], v[34:35]
	v_mov_b32_e32 v14, 0
	v_dot4c_i32_i8_e32 v14, v206, v4
	v_dot4c_i32_i8_e32 v14, v206, v5
	;; [unrolled: 1-line block ×4, first 2 shown]
	v_mov_b32_e32 v5, 0
	v_dot4c_i32_i8_e32 v14, v206, v7
	v_dot4c_i32_i8_e32 v5, v160, v0
	;; [unrolled: 1-line block ×9, first 2 shown]
	v_mul_lo_u32 v4, v12, v196
	v_dot4c_i32_i8_e32 v5, v163, v3
	v_dot4c_i32_i8_e32 v14, v199, v3
	v_mad_u64_u32 v[0:1], s[16:17], v13, v196, v[10:11]
	s_nop 0
	v_mad_u64_u32 v[2:3], s[16:17], v5, v153, v[4:5]
	v_cvt_f32_i32_e32 v1, v2
	v_cvt_f32_i32_e32 v3, v14
	;; [unrolled: 1-line block ×4, first 2 shown]
	v_mov_b32_e32 v10, 0
	v_mov_b32_e32 v207, 0
	v_pk_mul_f32 v[2:3], v[138:139], v[2:3] op_sel_hi:[0,1]
	v_pk_fma_f32 v[0:1], v[136:137], v[0:1], v[2:3] op_sel_hi:[0,1,1] neg_lo:[0,0,1] neg_hi:[0,0,1]
	v_pk_fma_f32 v[32:33], v[8:9], v[0:1], v[32:33]
	ds_read2_b32 v[8:9], v147 offset0:128 offset1:160
	ds_read_b128 v[4:7], v145 offset:4096
	ds_read_b128 v[0:3], v145 offset:4112
	v_mov_b32_e32 v213, 0
	v_mov_b32_e32 v15, 0
	;; [unrolled: 1-line block ×3, first 2 shown]
	s_waitcnt lgkmcnt(1)
	v_dot4c_i32_i8_e32 v207, v195, v4
	s_waitcnt lgkmcnt(0)
	v_dot4c_i32_i8_e32 v10, v164, v0
	v_dot4c_i32_i8_e32 v10, v165, v1
	;; [unrolled: 1-line block ×7, first 2 shown]
	v_mul_lo_u32 v152, v10, v192
	v_mov_b32_e32 v10, 0
	v_dot4c_i32_i8_e32 v10, v168, v0
	v_dot4c_i32_i8_e32 v10, v169, v1
	;; [unrolled: 1-line block ×3, first 2 shown]
	v_mov_b32_e32 v155, 0
	v_dot4c_i32_i8_e32 v207, v195, v5
	v_mov_b32_e32 v212, 0
	v_dot4c_i32_i8_e32 v213, v201, v5
	v_dot4c_i32_i8_e32 v10, v171, v3
	v_mov_b32_e32 v154, 0
	v_dot4c_i32_i8_e32 v15, v205, v5
	v_mov_b32_e32 v13, 0
	v_dot4c_i32_i8_e32 v11, v206, v5
	v_dot4c_i32_i8_e32 v155, v175, v4
	;; [unrolled: 1-line block ×5, first 2 shown]
	v_mul_lo_u32 v14, v10, v197
	v_dot4c_i32_i8_e32 v154, v187, v4
	v_dot4c_i32_i8_e32 v15, v205, v6
	v_mov_b32_e32 v10, 0
	v_dot4c_i32_i8_e32 v13, v191, v4
	v_dot4c_i32_i8_e32 v11, v206, v6
	v_mov_b32_e32 v4, 0
	v_dot4c_i32_i8_e32 v207, v195, v7
	v_dot4c_i32_i8_e32 v213, v201, v7
	;; [unrolled: 1-line block ×38, first 2 shown]
	v_mul_lo_u32 v12, v10, v202
	v_dot4c_i32_i8_e32 v13, v190, v7
	v_dot4c_i32_i8_e32 v11, v199, v3
	v_mul_lo_u32 v10, v4, v153
	ds_read_b128 v[4:7], v145 offset:5120
	ds_read_b128 v[0:3], v145 offset:5136
	v_mov_b32_e32 v214, 0
	v_mov_b32_e32 v208, 0
	;; [unrolled: 1-line block ×3, first 2 shown]
	s_waitcnt lgkmcnt(1)
	v_dot4c_i32_i8_e32 v214, v195, v4
	v_dot4c_i32_i8_e32 v214, v195, v5
	;; [unrolled: 1-line block ×6, first 2 shown]
	s_waitcnt lgkmcnt(0)
	v_dot4c_i32_i8_e32 v209, v164, v0
	v_dot4c_i32_i8_e32 v208, v173, v6
	;; [unrolled: 1-line block ×8, first 2 shown]
	v_mul_lo_u32 v208, v208, v193
	v_dot4c_i32_i8_e32 v209, v167, v3
	v_mad_u64_u32 v[210:211], s[16:17], v155, v193, v[152:153]
	v_mov_b32_e32 v155, 0
	v_dot4c_i32_i8_e32 v214, v194, v3
	v_mad_u64_u32 v[208:209], s[16:17], v209, v192, v[208:209]
	v_mov_b32_e32 v152, 0
	v_dot4c_i32_i8_e32 v155, v201, v4
	v_cvt_f32_i32_e32 v209, v208
	v_cvt_f32_i32_e32 v208, v210
	;; [unrolled: 1-line block ×4, first 2 shown]
	v_dot4c_i32_i8_e32 v152, v183, v4
	v_dot4c_i32_i8_e32 v155, v201, v5
	v_mov_b32_e32 v207, 0
	v_dot4c_i32_i8_e32 v152, v176, v5
	v_dot4c_i32_i8_e32 v155, v201, v6
	;; [unrolled: 1-line block ×9, first 2 shown]
	v_pk_mul_f32 v[210:211], v[142:143], v[210:211] op_sel_hi:[0,1]
	v_mul_lo_u32 v152, v152, v198
	v_dot4c_i32_i8_e32 v155, v200, v1
	v_dot4c_i32_i8_e32 v207, v171, v3
	v_pk_fma_f32 v[208:209], v[140:141], v[208:209], v[210:211] op_sel_hi:[0,1,1] neg_lo:[0,0,1] neg_hi:[0,0,1]
	v_dot4c_i32_i8_e32 v155, v200, v2
	v_pk_fma_f32 v[30:31], v[8:9], v[208:209], v[30:31]
	v_mad_u64_u32 v[210:211], s[16:17], v207, v197, v[152:153]
	v_mov_b32_e32 v152, 0
	v_dot4c_i32_i8_e32 v155, v200, v3
	v_mad_u64_u32 v[208:209], s[16:17], v212, v198, v[14:15]
	v_dot4c_i32_i8_e32 v152, v205, v4
	v_cvt_f32_i32_e32 v209, v210
	v_cvt_f32_i32_e32 v211, v155
	;; [unrolled: 1-line block ×3, first 2 shown]
	v_mov_b32_e32 v14, 0
	v_dot4c_i32_i8_e32 v152, v205, v5
	v_cvt_f32_i32_e32 v208, v208
	v_dot4c_i32_i8_e32 v14, v187, v4
	v_dot4c_i32_i8_e32 v152, v205, v6
	v_mov_b32_e32 v207, 0
	v_dot4c_i32_i8_e32 v14, v184, v5
	v_dot4c_i32_i8_e32 v152, v205, v7
	;; [unrolled: 1-line block ×6, first 2 shown]
	v_pk_mul_f32 v[210:211], v[146:147], v[210:211] op_sel_hi:[0,1]
	v_dot4c_i32_i8_e32 v14, v186, v7
	v_dot4c_i32_i8_e32 v152, v204, v1
	;; [unrolled: 1-line block ×3, first 2 shown]
	v_pk_fma_f32 v[208:209], v[144:145], v[208:209], v[210:211] op_sel_hi:[0,1,1] neg_lo:[0,0,1] neg_hi:[0,0,1]
	v_mul_lo_u32 v14, v14, v203
	v_dot4c_i32_i8_e32 v152, v204, v2
	v_dot4c_i32_i8_e32 v207, v182, v3
	v_pk_fma_f32 v[28:29], v[8:9], v[208:209], v[28:29]
	v_dot4c_i32_i8_e32 v152, v204, v3
	v_mad_u64_u32 v[154:155], s[16:17], v154, v203, v[12:13]
	v_mad_u64_u32 v[208:209], s[16:17], v207, v202, v[14:15]
	v_cvt_f32_i32_e32 v155, v208
	v_cvt_f32_i32_e32 v209, v152
	v_cvt_f32_i32_e32 v208, v15
	v_cvt_f32_i32_e32 v154, v154
	v_mov_b32_e32 v12, 0
	v_dot4c_i32_i8_e32 v12, v191, v4
	v_pk_mul_f32 v[14:15], v[150:151], v[208:209] op_sel_hi:[0,1]
	v_pk_fma_f32 v[14:15], v[148:149], v[154:155], v[14:15] op_sel_hi:[0,1,1] neg_lo:[0,0,1] neg_hi:[0,0,1]
	v_pk_fma_f32 v[26:27], v[8:9], v[14:15], v[26:27]
	v_mov_b32_e32 v14, 0
	v_dot4c_i32_i8_e32 v14, v206, v4
	v_dot4c_i32_i8_e32 v14, v206, v5
	;; [unrolled: 1-line block ×4, first 2 shown]
	v_mov_b32_e32 v5, 0
	v_dot4c_i32_i8_e32 v14, v206, v7
	v_dot4c_i32_i8_e32 v5, v160, v0
	;; [unrolled: 1-line block ×9, first 2 shown]
	v_mul_lo_u32 v4, v12, v196
	v_dot4c_i32_i8_e32 v5, v163, v3
	v_dot4c_i32_i8_e32 v14, v199, v3
	v_mad_u64_u32 v[0:1], s[16:17], v13, v196, v[10:11]
	s_nop 0
	v_mad_u64_u32 v[2:3], s[16:17], v5, v153, v[4:5]
	v_cvt_f32_i32_e32 v1, v2
	v_cvt_f32_i32_e32 v3, v14
	;; [unrolled: 1-line block ×4, first 2 shown]
	v_mov_b32_e32 v10, 0
	v_mov_b32_e32 v207, 0
	v_pk_mul_f32 v[2:3], v[138:139], v[2:3] op_sel_hi:[0,1]
	v_pk_fma_f32 v[0:1], v[136:137], v[0:1], v[2:3] op_sel_hi:[0,1,1] neg_lo:[0,0,1] neg_hi:[0,0,1]
	v_pk_fma_f32 v[24:25], v[8:9], v[0:1], v[24:25]
	ds_read2_b32 v[8:9], v147 offset0:192 offset1:224
	ds_read_b128 v[4:7], v145 offset:6144
	ds_read_b128 v[0:3], v145 offset:6160
	v_mov_b32_e32 v209, 0
	v_mov_b32_e32 v15, 0
	;; [unrolled: 1-line block ×3, first 2 shown]
	s_waitcnt lgkmcnt(1)
	v_dot4c_i32_i8_e32 v207, v195, v4
	s_waitcnt lgkmcnt(0)
	v_dot4c_i32_i8_e32 v10, v164, v0
	v_dot4c_i32_i8_e32 v10, v165, v1
	;; [unrolled: 1-line block ×7, first 2 shown]
	v_mul_lo_u32 v152, v10, v192
	v_mov_b32_e32 v10, 0
	v_dot4c_i32_i8_e32 v10, v168, v0
	v_dot4c_i32_i8_e32 v10, v169, v1
	;; [unrolled: 1-line block ×3, first 2 shown]
	v_mov_b32_e32 v155, 0
	v_dot4c_i32_i8_e32 v207, v195, v5
	v_mov_b32_e32 v208, 0
	v_dot4c_i32_i8_e32 v209, v201, v5
	v_dot4c_i32_i8_e32 v10, v171, v3
	v_mov_b32_e32 v154, 0
	v_dot4c_i32_i8_e32 v15, v205, v5
	v_mov_b32_e32 v13, 0
	v_dot4c_i32_i8_e32 v11, v206, v5
	v_dot4c_i32_i8_e32 v155, v175, v4
	;; [unrolled: 1-line block ×5, first 2 shown]
	v_mul_lo_u32 v14, v10, v197
	v_dot4c_i32_i8_e32 v154, v187, v4
	v_dot4c_i32_i8_e32 v15, v205, v6
	v_mov_b32_e32 v10, 0
	v_dot4c_i32_i8_e32 v13, v191, v4
	v_dot4c_i32_i8_e32 v11, v206, v6
	v_mov_b32_e32 v4, 0
	v_dot4c_i32_i8_e32 v207, v195, v7
	v_dot4c_i32_i8_e32 v209, v201, v7
	;; [unrolled: 1-line block ×38, first 2 shown]
	v_mul_lo_u32 v12, v10, v202
	v_dot4c_i32_i8_e32 v13, v190, v7
	v_dot4c_i32_i8_e32 v11, v199, v3
	v_mul_lo_u32 v10, v4, v153
	ds_read_b128 v[4:7], v145 offset:7168
	ds_read_b128 v[0:3], v145 offset:7184
	v_mov_b32_e32 v210, 0
	s_waitcnt lgkmcnt(1)
	v_dot4c_i32_i8_e32 v210, v175, v4
	v_mov_b32_e32 v175, 0
	v_dot4c_i32_i8_e32 v175, v195, v4
	v_dot4c_i32_i8_e32 v210, v172, v5
	v_dot4c_i32_i8_e32 v175, v195, v5
	v_dot4c_i32_i8_e32 v210, v173, v6
	v_dot4c_i32_i8_e32 v175, v195, v6
	v_mov_b32_e32 v173, 0
	v_dot4c_i32_i8_e32 v175, v195, v7
	s_waitcnt lgkmcnt(0)
	v_dot4c_i32_i8_e32 v173, v164, v0
	v_dot4c_i32_i8_e32 v175, v194, v0
	;; [unrolled: 1-line block ×7, first 2 shown]
	v_mul_lo_u32 v172, v210, v193
	v_dot4c_i32_i8_e32 v173, v167, v3
	v_dot4c_i32_i8_e32 v175, v194, v3
	v_mad_u64_u32 v[164:165], s[16:17], v155, v193, v[152:153]
	s_nop 0
	v_mad_u64_u32 v[166:167], s[16:17], v173, v192, v[172:173]
	v_cvt_f32_i32_e32 v165, v166
	v_cvt_f32_i32_e32 v167, v175
	;; [unrolled: 1-line block ×4, first 2 shown]
	v_mov_b32_e32 v152, 0
	v_dot4c_i32_i8_e32 v152, v168, v0
	v_pk_mul_f32 v[166:167], v[142:143], v[166:167] op_sel_hi:[0,1]
	v_mov_b32_e32 v142, 0
	v_pk_fma_f32 v[164:165], v[140:141], v[164:165], v[166:167] op_sel_hi:[0,1,1] neg_lo:[0,0,1] neg_hi:[0,0,1]
	v_mov_b32_e32 v140, 0
	v_dot4c_i32_i8_e32 v142, v201, v4
	v_dot4c_i32_i8_e32 v140, v183, v4
	;; [unrolled: 1-line block ×12, first 2 shown]
	v_mul_lo_u32 v140, v140, v198
	v_dot4c_i32_i8_e32 v152, v171, v3
	v_dot4c_i32_i8_e32 v142, v200, v2
	v_pk_fma_f32 v[22:23], v[8:9], v[164:165], v[22:23]
	v_dot4c_i32_i8_e32 v142, v200, v3
	v_mad_u64_u32 v[166:167], s[16:17], v152, v197, v[140:141]
	v_mov_b32_e32 v140, 0
	v_mad_u64_u32 v[164:165], s[16:17], v208, v198, v[14:15]
	v_dot4c_i32_i8_e32 v140, v205, v4
	v_cvt_f32_i32_e32 v165, v166
	v_cvt_f32_i32_e32 v167, v142
	;; [unrolled: 1-line block ×3, first 2 shown]
	v_mov_b32_e32 v14, 0
	v_dot4c_i32_i8_e32 v140, v205, v5
	v_cvt_f32_i32_e32 v164, v164
	v_dot4c_i32_i8_e32 v14, v187, v4
	v_dot4c_i32_i8_e32 v140, v205, v6
	v_mov_b32_e32 v142, 0
	v_dot4c_i32_i8_e32 v14, v184, v5
	v_dot4c_i32_i8_e32 v140, v205, v7
	;; [unrolled: 1-line block ×6, first 2 shown]
	v_pk_mul_f32 v[166:167], v[146:147], v[166:167] op_sel_hi:[0,1]
	v_dot4c_i32_i8_e32 v14, v186, v7
	v_dot4c_i32_i8_e32 v140, v204, v1
	;; [unrolled: 1-line block ×3, first 2 shown]
	v_pk_fma_f32 v[164:165], v[144:145], v[164:165], v[166:167] op_sel_hi:[0,1,1] neg_lo:[0,0,1] neg_hi:[0,0,1]
	v_mul_lo_u32 v14, v14, v203
	v_dot4c_i32_i8_e32 v140, v204, v2
	v_dot4c_i32_i8_e32 v142, v182, v3
	v_pk_fma_f32 v[20:21], v[8:9], v[164:165], v[20:21]
	v_dot4c_i32_i8_e32 v140, v204, v3
	v_mad_u64_u32 v[154:155], s[16:17], v154, v203, v[12:13]
	v_mad_u64_u32 v[164:165], s[16:17], v142, v202, v[14:15]
	v_cvt_f32_i32_e32 v155, v164
	v_cvt_f32_i32_e32 v165, v140
	;; [unrolled: 1-line block ×4, first 2 shown]
	v_mov_b32_e32 v12, 0
	v_dot4c_i32_i8_e32 v12, v191, v4
	v_pk_mul_f32 v[14:15], v[150:151], v[164:165] op_sel_hi:[0,1]
	v_pk_fma_f32 v[14:15], v[148:149], v[154:155], v[14:15] op_sel_hi:[0,1,1] neg_lo:[0,0,1] neg_hi:[0,0,1]
	v_pk_fma_f32 v[18:19], v[8:9], v[14:15], v[18:19]
	v_mov_b32_e32 v14, 0
	v_dot4c_i32_i8_e32 v14, v206, v4
	v_dot4c_i32_i8_e32 v14, v206, v5
	;; [unrolled: 1-line block ×4, first 2 shown]
	v_mov_b32_e32 v5, 0
	v_dot4c_i32_i8_e32 v14, v206, v7
	v_dot4c_i32_i8_e32 v5, v160, v0
	;; [unrolled: 1-line block ×9, first 2 shown]
	v_mul_lo_u32 v4, v12, v196
	v_dot4c_i32_i8_e32 v5, v163, v3
	v_dot4c_i32_i8_e32 v14, v199, v3
	v_mad_u64_u32 v[0:1], s[16:17], v13, v196, v[10:11]
	s_nop 0
	v_mad_u64_u32 v[2:3], s[16:17], v5, v153, v[4:5]
	v_cvt_f32_i32_e32 v1, v2
	v_cvt_f32_i32_e32 v3, v14
	;; [unrolled: 1-line block ×4, first 2 shown]
	s_add_i32 s16, s11, 2
	v_add_u32_e32 v147, 4, v147
	v_pk_mul_f32 v[2:3], v[138:139], v[2:3] op_sel_hi:[0,1]
	v_pk_fma_f32 v[0:1], v[136:137], v[0:1], v[2:3] op_sel_hi:[0,1,1] neg_lo:[0,0,1] neg_hi:[0,0,1]
	v_pk_fma_f32 v[16:17], v[8:9], v[0:1], v[16:17]
	v_add_u32_e32 v145, 32, v145
	s_cmp_lt_u32 s11, 14
	s_mov_b32 s11, s16
	s_cbranch_scc1 .LBB168_9
; %bb.10:                               ;   in Loop: Header=BB168_6 Depth=1
	s_or_b32 s11, s4, 1
	s_cmp_ge_i32 s11, s5
	s_barrier
	s_cbranch_scc1 .LBB168_5
; %bb.11:                               ;   in Loop: Header=BB168_6 Depth=1
	v_add_u32_e32 v14, s9, v101
	v_add_u32_e32 v0, v14, v67
	;; [unrolled: 1-line block ×6, first 2 shown]
	v_mad_i64_i32 v[0:1], s[16:17], v0, 36, v[88:89]
	v_mad_i64_i32 v[2:3], s[16:17], v2, 36, v[88:89]
	;; [unrolled: 1-line block ×4, first 2 shown]
	v_add_u32_e32 v8, v14, v87
	v_add_u32_e32 v10, v14, v93
	;; [unrolled: 1-line block ×4, first 2 shown]
	v_mad_u64_u32 v[144:145], s[16:17], v136, 36, s[2:3]
	v_mad_i64_i32 v[8:9], s[16:17], v8, 36, v[88:89]
	v_mad_i64_i32 v[10:11], s[16:17], v10, 36, v[88:89]
	;; [unrolled: 1-line block ×4, first 2 shown]
	global_load_dword v136, v[144:145], off
	s_nop 0
	global_load_dword v0, v[0:1], off offset:4
	s_nop 0
	global_load_dword v1, v[2:3], off offset:4
	;; [unrolled: 2-line block ×3, first 2 shown]
	global_load_dword v3, v[6:7], off offset:4
	s_nop 0
	global_load_dword v4, v[8:9], off offset:4
	global_load_dword v5, v[10:11], off offset:4
	global_load_dword v6, v[12:13], off offset:4
	global_load_dword v7, v[14:15], off offset:4
	s_mov_b32 s11, 16
	v_mov_b32_e32 v9, v125
	v_mov_b32_e32 v11, v107
	s_waitcnt vmcnt(8)
	v_cvt_f32_f16_e32 v8, v136
	s_waitcnt vmcnt(7)
	ds_write_b32 v123, v0
	s_waitcnt vmcnt(6)
	ds_write_b32 v109, v1
	;; [unrolled: 2-line block ×8, first 2 shown]
	ds_write_b32 v65, v8
	s_waitcnt lgkmcnt(0)
	s_barrier
.LBB168_12:                             ;   Parent Loop BB168_6 Depth=1
                                        ; =>  This Inner Loop Header: Depth=2
	s_and_b32 s18, s11, 0x3ffffff8
	v_lshl_add_u32 v12, s18, 2, v105
	ds_read2_b32 v[144:145], v11 offset1:32
	ds_read_b128 v[4:7], v9
	ds_read_b128 v[0:3], v9 offset:16
	ds_read2_b32 v[14:15], v12 offset1:1
	ds_read2_b32 v[146:147], v12 offset0:6 offset1:7
	s_add_i32 s16, s11, -16
	s_lshr_b32 s18, s11, 2
	s_and_b32 s18, s18, 0x3ffffffc
	s_waitcnt lgkmcnt(1)
	v_ashrrev_i32_e32 v8, s16, v14
	v_and_b32_e32 v163, 0x3030303, v8
	v_ashrrev_i32_e32 v8, s16, v15
	ds_read2_b32 v[14:15], v12 offset0:2 offset1:3
	v_and_b32_e32 v154, 0x3030303, v8
	s_and_b32 s17, s11, -16
	s_addk_i32 s18, 0x7280
	s_add_i32 s17, s11, s17
	s_waitcnt lgkmcnt(0)
	v_ashrrev_i32_e32 v8, s16, v14
	v_and_b32_e32 v161, 0x3030303, v8
	v_ashrrev_i32_e32 v8, s16, v15
	ds_read2_b32 v[14:15], v12 offset0:4 offset1:5
	v_and_b32_e32 v162, 0x3030303, v8
	v_add3_u32 v10, s18, v156, v127
	v_add3_u32 v136, s18, v129, v131
	;; [unrolled: 1-line block ×3, first 2 shown]
	s_waitcnt lgkmcnt(0)
	v_ashrrev_i32_e32 v8, s16, v14
	v_and_b32_e32 v13, 0x3030303, v8
	v_ashrrev_i32_e32 v8, s16, v15
	v_and_b32_e32 v15, 0x3030303, v8
	;; [unrolled: 2-line block ×3, first 2 shown]
	v_ashrrev_i32_e32 v8, s16, v147
	v_add_u32_e32 v14, 0x1080, v12
	v_and_b32_e32 v150, 0x3030303, v8
	v_add_u32_e32 v8, s17, v45
	ds_read_b32 v10, v10
	ds_read_u16 v193, v8 offset:25072
	ds_read2_b32 v[152:153], v14 offset1:1
	v_mov_b32_e32 v147, 0
	v_mov_b32_e32 v200, 0
	;; [unrolled: 1-line block ×3, first 2 shown]
	s_waitcnt lgkmcnt(1)
	v_bfe_u32 v8, v193, 4, 4
	s_waitcnt lgkmcnt(0)
	v_ashrrev_i32_e32 v14, s16, v152
	v_and_b32_e32 v171, 0x3030303, v14
	v_ashrrev_i32_e32 v14, s16, v153
	v_and_b32_e32 v168, 0x3030303, v14
	v_add_u32_e32 v14, 0x1088, v12
	ds_read2_b32 v[152:153], v14 offset1:1
	v_mul_lo_u32 v173, v8, s8
	v_mov_b32_e32 v206, 0
	v_dot4c_i32_i8_e32 v147, v173, v4
	v_mov_b32_e32 v146, 0
	s_waitcnt lgkmcnt(0)
	v_ashrrev_i32_e32 v14, s16, v152
	v_and_b32_e32 v169, 0x3030303, v14
	v_ashrrev_i32_e32 v14, s16, v153
	v_and_b32_e32 v170, 0x3030303, v14
	v_add_u32_e32 v14, 0x1090, v12
	ds_read2_b32 v[152:153], v14 offset1:1
	v_dot4c_i32_i8_e32 v147, v173, v5
	v_mov_b32_e32 v199, 0
	v_mov_b32_e32 v202, 0
	v_mov_b32_e32 v205, 0
	s_waitcnt lgkmcnt(0)
	v_ashrrev_i32_e32 v14, s16, v152
	v_and_b32_e32 v164, 0x3030303, v14
	v_ashrrev_i32_e32 v14, s16, v153
	v_and_b32_e32 v165, 0x3030303, v14
	v_add_u32_e32 v14, 0x1098, v12
	ds_read2_b32 v[152:153], v14 offset1:1
	v_dot4c_i32_i8_e32 v146, v163, v4
	v_dot4c_i32_i8_e32 v147, v173, v6
	v_lshrrev_b32_sdwa v8, v157, v193 dst_sel:DWORD dst_unused:UNUSED_PAD src0_sel:DWORD src1_sel:BYTE_1
	v_dot4c_i32_i8_e32 v199, v171, v4
	s_waitcnt lgkmcnt(0)
	v_ashrrev_i32_e32 v14, s16, v152
	v_and_b32_e32 v166, 0x3030303, v14
	v_ashrrev_i32_e32 v14, s16, v153
	v_and_b32_e32 v167, 0x3030303, v14
	v_add_u32_e32 v14, s17, v47
	ds_read_b32 v138, v136
	ds_read_u16 v192, v14 offset:26096
	v_dot4c_i32_i8_e32 v147, v173, v7
	v_mul_lo_u32 v174, v8, s8
	v_mov_b32_e32 v196, 0
	v_mov_b32_e32 v204, 0
	s_waitcnt lgkmcnt(0)
	v_bfe_u32 v14, v192, 4, 4
	v_mul_lo_u32 v172, v14, s8
	v_lshrrev_b32_sdwa v14, v157, v192 dst_sel:DWORD dst_unused:UNUSED_PAD src0_sel:DWORD src1_sel:BYTE_1
	v_mul_lo_u32 v185, v14, s8
	v_add_u32_e32 v14, 0x2100, v12
	ds_read2_b32 v[152:153], v14 offset1:1
	v_dot4c_i32_i8_e32 v200, v172, v4
	v_dot4c_i32_i8_e32 v200, v172, v5
	;; [unrolled: 1-line block ×4, first 2 shown]
	s_waitcnt lgkmcnt(0)
	v_ashrrev_i32_e32 v14, s16, v152
	v_and_b32_e32 v182, 0x3030303, v14
	v_ashrrev_i32_e32 v14, s16, v153
	v_and_b32_e32 v179, 0x3030303, v14
	v_add_u32_e32 v14, 0x2108, v12
	ds_read2_b32 v[152:153], v14 offset1:1
	v_dot4c_i32_i8_e32 v202, v182, v4
	v_mov_b32_e32 v207, 0
	v_mov_b32_e32 v208, 0
	v_dot4c_i32_i8_e32 v196, v13, v0
	s_waitcnt lgkmcnt(0)
	v_ashrrev_i32_e32 v14, s16, v152
	v_and_b32_e32 v180, 0x3030303, v14
	v_ashrrev_i32_e32 v14, s16, v153
	v_and_b32_e32 v181, 0x3030303, v14
	v_add_u32_e32 v14, 0x2110, v12
	ds_read2_b32 v[152:153], v14 offset1:1
	v_dot4c_i32_i8_e32 v147, v174, v0
	v_dot4c_i32_i8_e32 v204, v164, v0
	;; [unrolled: 1-line block ×4, first 2 shown]
	s_waitcnt lgkmcnt(0)
	v_ashrrev_i32_e32 v14, s16, v152
	v_and_b32_e32 v175, 0x3030303, v14
	v_ashrrev_i32_e32 v14, s16, v153
	v_and_b32_e32 v176, 0x3030303, v14
	v_add_u32_e32 v14, 0x2118, v12
	ds_read2_b32 v[152:153], v14 offset1:1
	v_dot4c_i32_i8_e32 v207, v175, v0
	v_dot4c_i32_i8_e32 v196, v15, v1
	;; [unrolled: 1-line block ×4, first 2 shown]
	s_waitcnt lgkmcnt(0)
	v_ashrrev_i32_e32 v14, s16, v152
	v_and_b32_e32 v177, 0x3030303, v14
	v_ashrrev_i32_e32 v14, s16, v153
	v_and_b32_e32 v178, 0x3030303, v14
	v_add_u32_e32 v14, s17, v49
	ds_read_b32 v142, v140
	ds_read_u16 v198, v14 offset:27120
	v_dot4c_i32_i8_e32 v204, v165, v1
	v_dot4c_i32_i8_e32 v200, v185, v1
	;; [unrolled: 1-line block ×4, first 2 shown]
	s_waitcnt lgkmcnt(0)
	v_bfe_u32 v14, v198, 4, 4
	v_mul_lo_u32 v184, v14, s8
	v_lshrrev_b32_sdwa v14, v157, v198 dst_sel:DWORD dst_unused:UNUSED_PAD src0_sel:DWORD src1_sel:BYTE_1
	v_mul_lo_u32 v191, v14, s8
	v_add_u32_e32 v14, 0x3180, v12
	ds_read2_b32 v[152:153], v14 offset1:1
	v_dot4c_i32_i8_e32 v203, v184, v4
	v_dot4c_i32_i8_e32 v203, v184, v5
	;; [unrolled: 1-line block ×4, first 2 shown]
	s_waitcnt lgkmcnt(0)
	v_ashrrev_i32_e32 v14, s16, v152
	v_and_b32_e32 v189, 0x3030303, v14
	v_ashrrev_i32_e32 v14, s16, v153
	v_and_b32_e32 v186, 0x3030303, v14
	v_add_u32_e32 v14, 0x3188, v12
	ds_read2_b32 v[152:153], v14 offset1:1
	v_dot4c_i32_i8_e32 v205, v189, v4
	v_dot4c_i32_i8_e32 v203, v191, v0
	;; [unrolled: 1-line block ×4, first 2 shown]
	s_waitcnt lgkmcnt(0)
	v_ashrrev_i32_e32 v14, s16, v152
	v_and_b32_e32 v187, 0x3030303, v14
	v_ashrrev_i32_e32 v14, s16, v153
	v_and_b32_e32 v188, 0x3030303, v14
	v_add_u32_e32 v14, 0x3190, v12
	ds_read2_b32 v[152:153], v14 offset1:1
	v_add_u32_e32 v12, 0x3198, v12
	ds_read2_b32 v[194:195], v12 offset1:1
	v_dot4c_i32_i8_e32 v146, v161, v6
	v_dot4c_i32_i8_e32 v196, v148, v2
	s_waitcnt lgkmcnt(1)
	v_ashrrev_i32_e32 v14, s16, v152
	v_and_b32_e32 v152, 0x3030303, v14
	v_ashrrev_i32_e32 v14, s16, v153
	s_waitcnt lgkmcnt(0)
	v_ashrrev_i32_e32 v12, s16, v194
	v_and_b32_e32 v153, 0x3030303, v14
	v_and_b32_e32 v155, 0x3030303, v12
	v_ashrrev_i32_e32 v12, s16, v195
	v_add3_u32 v14, s18, v137, v139
	v_and_b32_e32 v160, 0x3030303, v12
	v_add_u32_e32 v12, s17, v53
	ds_read_b32 v14, v14
	ds_read_u16 v201, v12 offset:28144
	v_dot4c_i32_i8_e32 v208, v152, v0
	v_dot4c_i32_i8_e32 v208, v153, v1
	;; [unrolled: 1-line block ×4, first 2 shown]
	s_waitcnt lgkmcnt(0)
	v_bfe_u32 v12, v201, 4, 4
	v_mul_lo_u32 v190, v12, s8
	v_dot4c_i32_i8_e32 v206, v190, v4
	v_dot4c_i32_i8_e32 v206, v190, v5
	v_dot4c_i32_i8_e32 v206, v190, v6
	v_lshrrev_b32_sdwa v4, v157, v201 dst_sel:DWORD dst_unused:UNUSED_PAD src0_sel:DWORD src1_sel:BYTE_1
	v_dot4c_i32_i8_e32 v206, v190, v7
	v_mul_lo_u32 v183, v4, s8
	v_dot4c_i32_i8_e32 v206, v183, v0
	v_dot4c_i32_i8_e32 v206, v183, v1
	;; [unrolled: 1-line block ×22, first 2 shown]
	ds_read_b128 v[4:7], v9 offset:1024
	ds_read_b128 v[0:3], v9 offset:1040
	v_mov_b32_e32 v209, 0
	v_mov_b32_e32 v197, 0
	;; [unrolled: 1-line block ×3, first 2 shown]
	s_waitcnt lgkmcnt(1)
	v_dot4c_i32_i8_e32 v209, v173, v4
	v_dot4c_i32_i8_e32 v209, v173, v5
	;; [unrolled: 1-line block ×6, first 2 shown]
	s_waitcnt lgkmcnt(0)
	v_dot4c_i32_i8_e32 v211, v13, v0
	v_dot4c_i32_i8_e32 v209, v174, v0
	;; [unrolled: 1-line block ×8, first 2 shown]
	v_and_b32_sdwa v195, v193, v158 dst_sel:DWORD dst_unused:UNUSED_PAD src0_sel:BYTE_0 src1_sel:DWORD
	v_and_b32_sdwa v194, v193, v158 dst_sel:DWORD dst_unused:UNUSED_PAD src0_sel:BYTE_1 src1_sel:DWORD
	v_dot4c_i32_i8_e32 v211, v150, v3
	v_dot4c_i32_i8_e32 v209, v174, v3
	v_mul_lo_u32 v196, v194, v196
	v_mul_lo_u32 v210, v195, v197
	v_cvt_f32_f16_e32 v8, v10
	v_cvt_f32_f16_sdwa v10, v10 dst_sel:DWORD dst_unused:UNUSED_PAD src0_sel:WORD_1
	v_mad_u64_u32 v[210:211], s[16:17], v194, v211, v[210:211]
	v_mad_u64_u32 v[196:197], s[16:17], v195, v146, v[196:197]
	v_cvt_f32_i32_e32 v147, v147
	v_cvt_f32_i32_e32 v146, v209
	;; [unrolled: 1-line block ×4, first 2 shown]
	v_mov_b32_e32 v209, 0
	v_pk_mul_f32 v[146:147], v[10:11], v[146:147] op_sel_hi:[0,1]
	v_dot4c_i32_i8_e32 v209, v172, v4
	v_pk_fma_f32 v[196:197], v[8:9], v[196:197], v[146:147] op_sel_hi:[0,1,1] neg_lo:[0,0,1] neg_hi:[0,0,1]
	v_mov_b32_e32 v146, v145
	v_mov_b32_e32 v145, 0
	v_dot4c_i32_i8_e32 v209, v172, v5
	v_dot4c_i32_i8_e32 v145, v171, v4
	v_dot4c_i32_i8_e32 v209, v172, v6
	v_mov_b32_e32 v193, 0
	v_dot4c_i32_i8_e32 v145, v168, v5
	v_dot4c_i32_i8_e32 v209, v172, v7
	v_dot4c_i32_i8_e32 v193, v164, v0
	;; [unrolled: 4-line block ×3, first 2 shown]
	v_pk_fma_f32 v[70:71], v[146:147], v[196:197], v[70:71]
	v_dot4c_i32_i8_e32 v145, v170, v7
	v_dot4c_i32_i8_e32 v209, v185, v1
	;; [unrolled: 1-line block ×3, first 2 shown]
	v_and_b32_sdwa v197, v192, v158 dst_sel:DWORD dst_unused:UNUSED_PAD src0_sel:BYTE_0 src1_sel:DWORD
	v_and_b32_sdwa v196, v192, v158 dst_sel:DWORD dst_unused:UNUSED_PAD src0_sel:BYTE_1 src1_sel:DWORD
	v_dot4c_i32_i8_e32 v209, v185, v2
	v_dot4c_i32_i8_e32 v193, v167, v3
	v_mul_lo_u32 v144, v196, v204
	v_mul_lo_u32 v192, v197, v145
                                        ; kill: def $vgpr145 killed $sgpr0 killed $exec
	v_dot4c_i32_i8_e32 v209, v185, v3
	v_mad_u64_u32 v[192:193], s[16:17], v196, v193, v[192:193]
	v_mad_u64_u32 v[144:145], s[16:17], v197, v199, v[144:145]
	v_cvt_f32_f16_e32 v136, v138
	v_cvt_f32_f16_sdwa v138, v138 dst_sel:DWORD dst_unused:UNUSED_PAD src0_sel:WORD_1
	v_cvt_f32_i32_e32 v145, v144
	v_cvt_f32_i32_e32 v144, v192
	;; [unrolled: 1-line block ×4, first 2 shown]
	v_mov_b32_e32 v200, 0
	v_dot4c_i32_i8_e32 v200, v184, v4
	v_dot4c_i32_i8_e32 v200, v184, v5
	v_pk_mul_f32 v[192:193], v[138:139], v[192:193] op_sel_hi:[0,1]
	v_pk_fma_f32 v[144:145], v[136:137], v[144:145], v[192:193] op_sel_hi:[0,1,1] neg_lo:[0,0,1] neg_hi:[0,0,1]
	v_pk_fma_f32 v[78:79], v[146:147], v[144:145], v[78:79]
	v_mov_b32_e32 v145, 0
	v_dot4c_i32_i8_e32 v145, v182, v4
	v_dot4c_i32_i8_e32 v200, v184, v6
	v_mov_b32_e32 v193, 0
	v_dot4c_i32_i8_e32 v145, v179, v5
	v_dot4c_i32_i8_e32 v200, v184, v7
	;; [unrolled: 1-line block ×9, first 2 shown]
	v_and_b32_sdwa v199, v198, v158 dst_sel:DWORD dst_unused:UNUSED_PAD src0_sel:BYTE_0 src1_sel:DWORD
	v_and_b32_sdwa v198, v198, v158 dst_sel:DWORD dst_unused:UNUSED_PAD src0_sel:BYTE_1 src1_sel:DWORD
	v_dot4c_i32_i8_e32 v200, v191, v2
	v_dot4c_i32_i8_e32 v193, v178, v3
	v_mul_lo_u32 v144, v198, v207
	v_mul_lo_u32 v192, v199, v145
                                        ; kill: def $vgpr145 killed $sgpr0 killed $exec
	v_dot4c_i32_i8_e32 v200, v191, v3
	v_mad_u64_u32 v[192:193], s[16:17], v198, v193, v[192:193]
	v_mad_u64_u32 v[144:145], s[16:17], v199, v202, v[144:145]
	v_cvt_f32_f16_e32 v140, v142
	v_cvt_f32_f16_sdwa v142, v142 dst_sel:DWORD dst_unused:UNUSED_PAD src0_sel:WORD_1
	v_cvt_f32_i32_e32 v145, v144
	v_cvt_f32_i32_e32 v144, v192
	;; [unrolled: 1-line block ×4, first 2 shown]
	v_cvt_f32_f16_e32 v12, v14
	v_cvt_f32_f16_sdwa v14, v14 dst_sel:DWORD dst_unused:UNUSED_PAD src0_sel:WORD_1
	v_mov_b32_e32 v200, 0
	v_pk_mul_f32 v[192:193], v[142:143], v[192:193] op_sel_hi:[0,1]
	v_pk_fma_f32 v[144:145], v[140:141], v[144:145], v[192:193] op_sel_hi:[0,1,1] neg_lo:[0,0,1] neg_hi:[0,0,1]
	v_pk_fma_f32 v[76:77], v[146:147], v[144:145], v[76:77]
	v_mov_b32_e32 v145, 0
	v_dot4c_i32_i8_e32 v145, v190, v4
	v_mov_b32_e32 v144, 0
	v_dot4c_i32_i8_e32 v145, v190, v5
	v_dot4c_i32_i8_e32 v144, v189, v4
	;; [unrolled: 1-line block ×3, first 2 shown]
	v_mov_b32_e32 v4, 0
	v_dot4c_i32_i8_e32 v144, v186, v5
	v_dot4c_i32_i8_e32 v145, v190, v7
	v_dot4c_i32_i8_e32 v4, v152, v0
	v_dot4c_i32_i8_e32 v144, v187, v6
	v_dot4c_i32_i8_e32 v145, v183, v0
	v_dot4c_i32_i8_e32 v4, v153, v1
	v_dot4c_i32_i8_e32 v144, v188, v7
	v_dot4c_i32_i8_e32 v145, v183, v1
	v_dot4c_i32_i8_e32 v4, v155, v2
	v_and_b32_sdwa v193, v201, v158 dst_sel:DWORD dst_unused:UNUSED_PAD src0_sel:BYTE_0 src1_sel:DWORD
	v_and_b32_sdwa v192, v201, v158 dst_sel:DWORD dst_unused:UNUSED_PAD src0_sel:BYTE_1 src1_sel:DWORD
	v_dot4c_i32_i8_e32 v145, v183, v2
	v_dot4c_i32_i8_e32 v4, v160, v3
	v_mul_lo_u32 v0, v192, v208
	v_mul_lo_u32 v2, v193, v144
                                        ; kill: def $vgpr1 killed $sgpr0 killed $exec
	v_dot4c_i32_i8_e32 v145, v183, v3
	v_mad_u64_u32 v[2:3], s[16:17], v192, v4, v[2:3]
	v_mad_u64_u32 v[0:1], s[16:17], v193, v205, v[0:1]
	v_cvt_f32_i32_e32 v1, v0
	v_cvt_f32_i32_e32 v0, v2
	;; [unrolled: 1-line block ×4, first 2 shown]
	v_mov_b32_e32 v206, 0
	v_mov_b32_e32 v208, 0
	;; [unrolled: 1-line block ×3, first 2 shown]
	v_pk_mul_f32 v[2:3], v[14:15], v[2:3] op_sel_hi:[0,1]
	v_pk_fma_f32 v[0:1], v[12:13], v[0:1], v[2:3] op_sel_hi:[0,1,1] neg_lo:[0,0,1] neg_hi:[0,0,1]
	v_pk_fma_f32 v[72:73], v[146:147], v[0:1], v[72:73]
	ds_read2_b32 v[144:145], v11 offset0:64 offset1:96
	ds_read_b128 v[4:7], v9 offset:2048
	ds_read_b128 v[0:3], v9 offset:2064
	v_mov_b32_e32 v146, 0
	v_mov_b32_e32 v204, 0
	;; [unrolled: 1-line block ×3, first 2 shown]
	s_waitcnt lgkmcnt(1)
	v_dot4c_i32_i8_e32 v206, v173, v4
	v_dot4c_i32_i8_e32 v208, v172, v4
	;; [unrolled: 1-line block ×14, first 2 shown]
	v_mov_b32_e32 v209, 0
	v_mov_b32_e32 v201, 0
	v_dot4c_i32_i8_e32 v200, v184, v7
	v_mov_b32_e32 v210, 0
	v_mov_b32_e32 v147, 0
	v_dot4c_i32_i8_e32 v146, v190, v7
	v_mov_b32_e32 v211, 0
	v_dot4c_i32_i8_e32 v203, v163, v4
	s_waitcnt lgkmcnt(0)
	v_dot4c_i32_i8_e32 v204, v13, v0
	v_dot4c_i32_i8_e32 v206, v174, v0
	;; [unrolled: 1-line block ×47, first 2 shown]
	ds_read_b128 v[4:7], v9 offset:3072
	ds_read_b128 v[0:3], v9 offset:3088
	v_mov_b32_e32 v212, 0
	v_mov_b32_e32 v202, 0
	;; [unrolled: 1-line block ×3, first 2 shown]
	s_waitcnt lgkmcnt(1)
	v_dot4c_i32_i8_e32 v212, v173, v4
	v_dot4c_i32_i8_e32 v212, v173, v5
	;; [unrolled: 1-line block ×6, first 2 shown]
	s_waitcnt lgkmcnt(0)
	v_dot4c_i32_i8_e32 v213, v13, v0
	v_dot4c_i32_i8_e32 v202, v161, v6
	;; [unrolled: 1-line block ×7, first 2 shown]
	v_mul_lo_u32 v204, v204, v194
                                        ; kill: def $vgpr205 killed $sgpr0 killed $exec
	v_dot4c_i32_i8_e32 v212, v174, v2
	v_dot4c_i32_i8_e32 v213, v150, v3
	v_mul_lo_u32 v202, v202, v195
	v_mad_u64_u32 v[204:205], s[16:17], v203, v195, v[204:205]
                                        ; kill: def $vgpr203 killed $sgpr0 killed $exec
	v_dot4c_i32_i8_e32 v212, v174, v3
	v_mad_u64_u32 v[202:203], s[16:17], v213, v194, v[202:203]
	v_cvt_f32_i32_e32 v203, v202
	v_cvt_f32_i32_e32 v202, v204
	;; [unrolled: 1-line block ×4, first 2 shown]
	v_mov_b32_e32 v206, 0
	v_dot4c_i32_i8_e32 v206, v172, v4
	v_dot4c_i32_i8_e32 v206, v172, v5
	v_pk_mul_f32 v[204:205], v[10:11], v[204:205] op_sel_hi:[0,1]
	v_pk_fma_f32 v[202:203], v[8:9], v[202:203], v[204:205] op_sel_hi:[0,1,1] neg_lo:[0,0,1] neg_hi:[0,0,1]
	v_pk_fma_f32 v[50:51], v[144:145], v[202:203], v[50:51]
	v_mov_b32_e32 v202, 0
	v_dot4c_i32_i8_e32 v202, v171, v4
	v_dot4c_i32_i8_e32 v206, v172, v6
	v_mov_b32_e32 v203, 0
	v_dot4c_i32_i8_e32 v202, v168, v5
	v_dot4c_i32_i8_e32 v206, v172, v7
	;; [unrolled: 1-line block ×11, first 2 shown]
	v_mul_lo_u32 v202, v202, v197
	v_mul_lo_u32 v204, v209, v196
                                        ; kill: def $vgpr205 killed $sgpr0 killed $exec
	v_dot4c_i32_i8_e32 v206, v185, v3
	v_mad_u64_u32 v[204:205], s[16:17], v207, v197, v[204:205]
	v_mad_u64_u32 v[202:203], s[16:17], v203, v196, v[202:203]
	v_cvt_f32_i32_e32 v203, v202
	v_cvt_f32_i32_e32 v202, v204
	;; [unrolled: 1-line block ×4, first 2 shown]
	v_mov_b32_e32 v206, 0
	v_dot4c_i32_i8_e32 v206, v184, v4
	v_dot4c_i32_i8_e32 v206, v184, v5
	v_pk_mul_f32 v[204:205], v[138:139], v[204:205] op_sel_hi:[0,1]
	v_pk_fma_f32 v[202:203], v[136:137], v[202:203], v[204:205] op_sel_hi:[0,1,1] neg_lo:[0,0,1] neg_hi:[0,0,1]
	v_pk_fma_f32 v[40:41], v[144:145], v[202:203], v[40:41]
	v_mov_b32_e32 v202, 0
	v_dot4c_i32_i8_e32 v206, v184, v6
	v_dot4c_i32_i8_e32 v202, v182, v4
	v_dot4c_i32_i8_e32 v206, v184, v7
	v_mov_b32_e32 v203, 0
	v_dot4c_i32_i8_e32 v202, v179, v5
	v_dot4c_i32_i8_e32 v203, v175, v0
	;; [unrolled: 1-line block ×11, first 2 shown]
	v_mul_lo_u32 v202, v202, v199
	v_mul_lo_u32 v204, v210, v198
                                        ; kill: def $vgpr205 killed $sgpr0 killed $exec
	v_mad_u64_u32 v[202:203], s[16:17], v203, v198, v[202:203]
	v_mad_u64_u32 v[204:205], s[16:17], v201, v199, v[204:205]
	v_cvt_f32_i32_e32 v201, v206
	v_cvt_f32_i32_e32 v200, v200
	;; [unrolled: 1-line block ×4, first 2 shown]
	v_mov_b32_e32 v206, 0
	v_pk_mul_f32 v[200:201], v[142:143], v[200:201] op_sel_hi:[0,1]
	v_mov_b32_e32 v208, 0
	v_pk_fma_f32 v[200:201], v[140:141], v[202:203], v[200:201] op_sel_hi:[0,1,1] neg_lo:[0,0,1] neg_hi:[0,0,1]
	v_pk_fma_f32 v[34:35], v[144:145], v[200:201], v[34:35]
	v_mov_b32_e32 v201, 0
	v_dot4c_i32_i8_e32 v201, v190, v4
	v_mov_b32_e32 v200, 0
	v_dot4c_i32_i8_e32 v201, v190, v5
	v_dot4c_i32_i8_e32 v200, v189, v4
	;; [unrolled: 1-line block ×3, first 2 shown]
	v_mov_b32_e32 v4, 0
	v_dot4c_i32_i8_e32 v200, v186, v5
	v_dot4c_i32_i8_e32 v201, v190, v7
	;; [unrolled: 1-line block ×11, first 2 shown]
	v_mul_lo_u32 v0, v200, v193
	v_mul_lo_u32 v2, v211, v192
                                        ; kill: def $vgpr1 killed $sgpr0 killed $exec
	v_dot4c_i32_i8_e32 v201, v183, v3
	v_mad_u64_u32 v[2:3], s[16:17], v147, v193, v[2:3]
	v_mad_u64_u32 v[0:1], s[16:17], v4, v192, v[0:1]
	v_cvt_f32_i32_e32 v1, v0
	v_cvt_f32_i32_e32 v0, v2
	;; [unrolled: 1-line block ×4, first 2 shown]
	v_mov_b32_e32 v200, 0
	v_mov_b32_e32 v146, 0
	;; [unrolled: 1-line block ×3, first 2 shown]
	v_pk_mul_f32 v[2:3], v[14:15], v[2:3] op_sel_hi:[0,1]
	v_pk_fma_f32 v[0:1], v[12:13], v[0:1], v[2:3] op_sel_hi:[0,1,1] neg_lo:[0,0,1] neg_hi:[0,0,1]
	v_pk_fma_f32 v[32:33], v[144:145], v[0:1], v[32:33]
	ds_read2_b32 v[144:145], v11 offset0:128 offset1:160
	ds_read_b128 v[4:7], v9 offset:4096
	ds_read_b128 v[0:3], v9 offset:4112
	v_mov_b32_e32 v204, 0
	v_mov_b32_e32 v207, 0
	;; [unrolled: 1-line block ×3, first 2 shown]
	s_waitcnt lgkmcnt(1)
	v_dot4c_i32_i8_e32 v206, v173, v4
	v_dot4c_i32_i8_e32 v208, v172, v4
	;; [unrolled: 1-line block ×14, first 2 shown]
	v_mov_b32_e32 v201, 0
	v_dot4c_i32_i8_e32 v200, v184, v7
	v_mov_b32_e32 v210, 0
	v_mov_b32_e32 v147, 0
	v_dot4c_i32_i8_e32 v146, v190, v7
	v_mov_b32_e32 v211, 0
	v_dot4c_i32_i8_e32 v203, v163, v4
	s_waitcnt lgkmcnt(0)
	v_dot4c_i32_i8_e32 v204, v13, v0
	v_dot4c_i32_i8_e32 v206, v174, v0
	v_dot4c_i32_i8_e32 v207, v171, v4
	v_dot4c_i32_i8_e32 v209, v164, v0
	v_dot4c_i32_i8_e32 v208, v185, v0
	v_dot4c_i32_i8_e32 v201, v182, v4
	v_dot4c_i32_i8_e32 v210, v175, v0
	v_dot4c_i32_i8_e32 v200, v191, v0
	v_dot4c_i32_i8_e32 v147, v189, v4
	v_dot4c_i32_i8_e32 v211, v152, v0
	v_dot4c_i32_i8_e32 v146, v183, v0
	v_dot4c_i32_i8_e32 v203, v154, v5
	v_dot4c_i32_i8_e32 v204, v15, v1
	v_dot4c_i32_i8_e32 v206, v174, v1
	v_dot4c_i32_i8_e32 v207, v168, v5
	v_dot4c_i32_i8_e32 v209, v165, v1
	v_dot4c_i32_i8_e32 v208, v185, v1
	v_dot4c_i32_i8_e32 v201, v179, v5
	v_dot4c_i32_i8_e32 v210, v176, v1
	v_dot4c_i32_i8_e32 v200, v191, v1
	v_dot4c_i32_i8_e32 v147, v186, v5
	v_dot4c_i32_i8_e32 v211, v153, v1
	v_dot4c_i32_i8_e32 v146, v183, v1
	v_dot4c_i32_i8_e32 v203, v161, v6
	v_dot4c_i32_i8_e32 v204, v148, v2
	v_dot4c_i32_i8_e32 v206, v174, v2
	v_dot4c_i32_i8_e32 v207, v169, v6
	v_dot4c_i32_i8_e32 v209, v166, v2
	v_dot4c_i32_i8_e32 v208, v185, v2
	v_dot4c_i32_i8_e32 v201, v180, v6
	v_dot4c_i32_i8_e32 v210, v177, v2
	v_dot4c_i32_i8_e32 v200, v191, v2
	v_dot4c_i32_i8_e32 v147, v187, v6
	v_dot4c_i32_i8_e32 v211, v155, v2
	v_dot4c_i32_i8_e32 v146, v183, v2
	v_dot4c_i32_i8_e32 v203, v162, v7
	v_dot4c_i32_i8_e32 v204, v150, v3
	v_dot4c_i32_i8_e32 v206, v174, v3
	v_dot4c_i32_i8_e32 v207, v170, v7
	v_dot4c_i32_i8_e32 v209, v167, v3
	v_dot4c_i32_i8_e32 v208, v185, v3
	v_dot4c_i32_i8_e32 v201, v181, v7
	v_dot4c_i32_i8_e32 v210, v178, v3
	v_dot4c_i32_i8_e32 v200, v191, v3
	v_dot4c_i32_i8_e32 v147, v188, v7
	v_dot4c_i32_i8_e32 v211, v160, v3
	v_dot4c_i32_i8_e32 v146, v183, v3
	ds_read_b128 v[4:7], v9 offset:5120
	ds_read_b128 v[0:3], v9 offset:5136
	v_mov_b32_e32 v212, 0
	v_mov_b32_e32 v202, 0
	;; [unrolled: 1-line block ×3, first 2 shown]
	s_waitcnt lgkmcnt(1)
	v_dot4c_i32_i8_e32 v212, v173, v4
	v_dot4c_i32_i8_e32 v212, v173, v5
	;; [unrolled: 1-line block ×6, first 2 shown]
	s_waitcnt lgkmcnt(0)
	v_dot4c_i32_i8_e32 v213, v13, v0
	v_dot4c_i32_i8_e32 v202, v161, v6
	;; [unrolled: 1-line block ×7, first 2 shown]
	v_mul_lo_u32 v204, v204, v194
                                        ; kill: def $vgpr205 killed $sgpr0 killed $exec
	v_dot4c_i32_i8_e32 v212, v174, v2
	v_dot4c_i32_i8_e32 v213, v150, v3
	v_mul_lo_u32 v202, v202, v195
	v_mad_u64_u32 v[204:205], s[16:17], v203, v195, v[204:205]
                                        ; kill: def $vgpr203 killed $sgpr0 killed $exec
	v_dot4c_i32_i8_e32 v212, v174, v3
	v_mad_u64_u32 v[202:203], s[16:17], v213, v194, v[202:203]
	v_cvt_f32_i32_e32 v203, v202
	v_cvt_f32_i32_e32 v202, v204
	;; [unrolled: 1-line block ×4, first 2 shown]
	v_mov_b32_e32 v206, 0
	v_dot4c_i32_i8_e32 v206, v172, v4
	v_dot4c_i32_i8_e32 v206, v172, v5
	v_pk_mul_f32 v[204:205], v[10:11], v[204:205] op_sel_hi:[0,1]
	v_pk_fma_f32 v[202:203], v[8:9], v[202:203], v[204:205] op_sel_hi:[0,1,1] neg_lo:[0,0,1] neg_hi:[0,0,1]
	v_pk_fma_f32 v[30:31], v[144:145], v[202:203], v[30:31]
	v_mov_b32_e32 v202, 0
	v_dot4c_i32_i8_e32 v202, v171, v4
	v_dot4c_i32_i8_e32 v206, v172, v6
	v_mov_b32_e32 v203, 0
	v_dot4c_i32_i8_e32 v202, v168, v5
	v_dot4c_i32_i8_e32 v206, v172, v7
	;; [unrolled: 1-line block ×11, first 2 shown]
	v_mul_lo_u32 v202, v202, v197
	v_mul_lo_u32 v204, v209, v196
                                        ; kill: def $vgpr205 killed $sgpr0 killed $exec
	v_dot4c_i32_i8_e32 v206, v185, v3
	v_mad_u64_u32 v[204:205], s[16:17], v207, v197, v[204:205]
	v_mad_u64_u32 v[202:203], s[16:17], v203, v196, v[202:203]
	v_cvt_f32_i32_e32 v203, v202
	v_cvt_f32_i32_e32 v202, v204
	;; [unrolled: 1-line block ×4, first 2 shown]
	v_mov_b32_e32 v206, 0
	v_dot4c_i32_i8_e32 v206, v184, v4
	v_dot4c_i32_i8_e32 v206, v184, v5
	v_pk_mul_f32 v[204:205], v[138:139], v[204:205] op_sel_hi:[0,1]
	v_pk_fma_f32 v[202:203], v[136:137], v[202:203], v[204:205] op_sel_hi:[0,1,1] neg_lo:[0,0,1] neg_hi:[0,0,1]
	v_pk_fma_f32 v[28:29], v[144:145], v[202:203], v[28:29]
	v_mov_b32_e32 v202, 0
	v_dot4c_i32_i8_e32 v206, v184, v6
	v_dot4c_i32_i8_e32 v202, v182, v4
	;; [unrolled: 1-line block ×3, first 2 shown]
	v_mov_b32_e32 v203, 0
	v_dot4c_i32_i8_e32 v202, v179, v5
	v_dot4c_i32_i8_e32 v203, v175, v0
	;; [unrolled: 1-line block ×11, first 2 shown]
	v_mul_lo_u32 v202, v202, v199
	v_mul_lo_u32 v204, v210, v198
                                        ; kill: def $vgpr205 killed $sgpr0 killed $exec
	v_mad_u64_u32 v[202:203], s[16:17], v203, v198, v[202:203]
	v_mad_u64_u32 v[204:205], s[16:17], v201, v199, v[204:205]
	v_cvt_f32_i32_e32 v201, v206
	v_cvt_f32_i32_e32 v200, v200
	;; [unrolled: 1-line block ×4, first 2 shown]
	v_mov_b32_e32 v204, 0
	v_pk_mul_f32 v[200:201], v[142:143], v[200:201] op_sel_hi:[0,1]
	v_mov_b32_e32 v207, 0
	v_pk_fma_f32 v[200:201], v[140:141], v[202:203], v[200:201] op_sel_hi:[0,1,1] neg_lo:[0,0,1] neg_hi:[0,0,1]
	v_pk_fma_f32 v[26:27], v[144:145], v[200:201], v[26:27]
	v_mov_b32_e32 v201, 0
	v_dot4c_i32_i8_e32 v201, v190, v4
	v_mov_b32_e32 v200, 0
	v_dot4c_i32_i8_e32 v201, v190, v5
	v_dot4c_i32_i8_e32 v200, v189, v4
	;; [unrolled: 1-line block ×3, first 2 shown]
	v_mov_b32_e32 v4, 0
	v_dot4c_i32_i8_e32 v200, v186, v5
	v_dot4c_i32_i8_e32 v201, v190, v7
	;; [unrolled: 1-line block ×11, first 2 shown]
	v_mul_lo_u32 v0, v200, v193
	v_mul_lo_u32 v2, v211, v192
                                        ; kill: def $vgpr1 killed $sgpr0 killed $exec
	v_dot4c_i32_i8_e32 v201, v183, v3
	v_mad_u64_u32 v[2:3], s[16:17], v147, v193, v[2:3]
	v_mad_u64_u32 v[0:1], s[16:17], v4, v192, v[0:1]
	v_cvt_f32_i32_e32 v1, v0
	v_cvt_f32_i32_e32 v0, v2
	;; [unrolled: 1-line block ×4, first 2 shown]
	v_mov_b32_e32 v201, 0
	v_mov_b32_e32 v146, 0
	;; [unrolled: 1-line block ×3, first 2 shown]
	v_pk_mul_f32 v[2:3], v[14:15], v[2:3] op_sel_hi:[0,1]
	v_pk_fma_f32 v[0:1], v[12:13], v[0:1], v[2:3] op_sel_hi:[0,1,1] neg_lo:[0,0,1] neg_hi:[0,0,1]
	v_pk_fma_f32 v[24:25], v[144:145], v[0:1], v[24:25]
	ds_read2_b32 v[144:145], v11 offset0:192 offset1:224
	ds_read_b128 v[4:7], v9 offset:6144
	ds_read_b128 v[0:3], v9 offset:6160
	v_mov_b32_e32 v205, 0
	v_mov_b32_e32 v206, 0
	;; [unrolled: 1-line block ×3, first 2 shown]
	s_waitcnt lgkmcnt(1)
	v_dot4c_i32_i8_e32 v204, v173, v4
	v_dot4c_i32_i8_e32 v207, v172, v4
	;; [unrolled: 1-line block ×14, first 2 shown]
	v_mov_b32_e32 v202, 0
	v_dot4c_i32_i8_e32 v201, v184, v7
	v_mov_b32_e32 v209, 0
	v_mov_b32_e32 v147, 0
	v_dot4c_i32_i8_e32 v146, v190, v7
	v_mov_b32_e32 v200, 0
	v_dot4c_i32_i8_e32 v203, v163, v4
	s_waitcnt lgkmcnt(0)
	v_dot4c_i32_i8_e32 v205, v13, v0
	v_dot4c_i32_i8_e32 v204, v174, v0
	;; [unrolled: 1-line block ×47, first 2 shown]
	ds_read_b128 v[4:7], v9 offset:7168
	ds_read_b128 v[0:3], v9 offset:7184
	v_mov_b32_e32 v211, 0
	v_mov_b32_e32 v210, 0
	s_waitcnt lgkmcnt(1)
	v_dot4c_i32_i8_e32 v211, v173, v4
	v_dot4c_i32_i8_e32 v210, v163, v4
	;; [unrolled: 1-line block ×5, first 2 shown]
	v_mov_b32_e32 v154, 0
	v_dot4c_i32_i8_e32 v211, v173, v7
	s_waitcnt lgkmcnt(0)
	v_dot4c_i32_i8_e32 v154, v13, v0
	v_dot4c_i32_i8_e32 v210, v161, v6
	;; [unrolled: 1-line block ×9, first 2 shown]
	v_mul_lo_u32 v148, v210, v195
	v_mul_lo_u32 v150, v205, v194
	v_dot4c_i32_i8_e32 v211, v174, v3
	v_mad_u64_u32 v[162:163], s[16:17], v203, v195, v[150:151]
	v_mad_u64_u32 v[194:195], s[16:17], v154, v194, v[148:149]
	v_cvt_f32_i32_e32 v163, v194
	v_cvt_f32_i32_e32 v195, v211
	;; [unrolled: 1-line block ×4, first 2 shown]
	v_mov_b32_e32 v13, 0
	v_dot4c_i32_i8_e32 v13, v172, v4
	v_pk_mul_f32 v[194:195], v[10:11], v[194:195] op_sel_hi:[0,1]
	v_pk_fma_f32 v[162:163], v[8:9], v[162:163], v[194:195] op_sel_hi:[0,1,1] neg_lo:[0,0,1] neg_hi:[0,0,1]
	v_mov_b32_e32 v8, 0
	v_dot4c_i32_i8_e32 v13, v172, v5
	v_dot4c_i32_i8_e32 v8, v171, v4
	;; [unrolled: 1-line block ×3, first 2 shown]
	v_mov_b32_e32 v15, 0
	v_dot4c_i32_i8_e32 v8, v168, v5
	v_dot4c_i32_i8_e32 v13, v172, v7
	;; [unrolled: 1-line block ×11, first 2 shown]
	v_mul_lo_u32 v8, v8, v197
	v_mul_lo_u32 v10, v208, v196
	v_pk_fma_f32 v[22:23], v[144:145], v[162:163], v[22:23]
	v_dot4c_i32_i8_e32 v13, v185, v3
	v_mad_u64_u32 v[162:163], s[16:17], v206, v197, v[10:11]
	v_mad_u64_u32 v[164:165], s[16:17], v15, v196, v[8:9]
	v_cvt_f32_i32_e32 v163, v164
	v_cvt_f32_i32_e32 v165, v13
	;; [unrolled: 1-line block ×4, first 2 shown]
	v_mov_b32_e32 v8, 0
	v_dot4c_i32_i8_e32 v8, v182, v4
	v_mov_b32_e32 v15, 0
	v_pk_mul_f32 v[164:165], v[138:139], v[164:165] op_sel_hi:[0,1]
	v_dot4c_i32_i8_e32 v8, v179, v5
	v_dot4c_i32_i8_e32 v15, v175, v0
	v_pk_fma_f32 v[162:163], v[136:137], v[162:163], v[164:165] op_sel_hi:[0,1,1] neg_lo:[0,0,1] neg_hi:[0,0,1]
	v_dot4c_i32_i8_e32 v8, v180, v6
	v_dot4c_i32_i8_e32 v15, v176, v1
	v_mul_lo_u32 v10, v209, v198
	v_pk_fma_f32 v[20:21], v[144:145], v[162:163], v[20:21]
	v_mov_b32_e32 v13, 0
	v_dot4c_i32_i8_e32 v8, v181, v7
	v_dot4c_i32_i8_e32 v15, v177, v2
	v_mad_u64_u32 v[162:163], s[16:17], v202, v199, v[10:11]
	v_mov_b32_e32 v10, 0
	v_dot4c_i32_i8_e32 v13, v184, v4
	v_dot4c_i32_i8_e32 v15, v178, v3
	v_mul_lo_u32 v8, v8, v199
	v_dot4c_i32_i8_e32 v10, v190, v4
	v_dot4c_i32_i8_e32 v13, v184, v5
	v_mad_u64_u32 v[164:165], s[16:17], v15, v198, v[8:9]
	v_mov_b32_e32 v8, 0
	v_dot4c_i32_i8_e32 v10, v190, v5
	v_dot4c_i32_i8_e32 v13, v184, v6
	;; [unrolled: 1-line block ×4, first 2 shown]
	v_mov_b32_e32 v4, 0
	v_dot4c_i32_i8_e32 v13, v184, v7
	v_dot4c_i32_i8_e32 v8, v186, v5
	;; [unrolled: 1-line block ×15, first 2 shown]
	v_mul_lo_u32 v0, v8, v193
	v_mul_lo_u32 v2, v200, v192
                                        ; kill: def $vgpr1 killed $sgpr0 killed $exec
	v_dot4c_i32_i8_e32 v13, v191, v3
	v_dot4c_i32_i8_e32 v10, v183, v3
	v_mad_u64_u32 v[2:3], s[16:17], v147, v193, v[2:3]
	v_mad_u64_u32 v[0:1], s[16:17], v4, v192, v[0:1]
	v_cvt_f32_i32_e32 v163, v164
	v_cvt_f32_i32_e32 v165, v13
	;; [unrolled: 1-line block ×8, first 2 shown]
	v_pk_mul_f32 v[164:165], v[142:143], v[164:165] op_sel_hi:[0,1]
	s_add_i32 s16, s11, 2
	v_pk_mul_f32 v[2:3], v[14:15], v[2:3] op_sel_hi:[0,1]
	v_pk_fma_f32 v[162:163], v[140:141], v[162:163], v[164:165] op_sel_hi:[0,1,1] neg_lo:[0,0,1] neg_hi:[0,0,1]
	v_pk_fma_f32 v[0:1], v[12:13], v[0:1], v[2:3] op_sel_hi:[0,1,1] neg_lo:[0,0,1] neg_hi:[0,0,1]
	v_pk_fma_f32 v[18:19], v[144:145], v[162:163], v[18:19]
	v_pk_fma_f32 v[16:17], v[144:145], v[0:1], v[16:17]
	v_add_u32_e32 v11, 4, v11
	v_add_u32_e32 v9, 32, v9
	s_cmp_lt_u32 s11, 22
	s_mov_b32 s11, s16
	s_cbranch_scc1 .LBB168_12
; %bb.13:                               ;   in Loop: Header=BB168_6 Depth=1
	v_add_u32_e32 v14, s9, v103
	v_add_u32_e32 v0, v14, v67
	;; [unrolled: 1-line block ×6, first 2 shown]
	v_mad_i64_i32 v[0:1], s[16:17], v0, 36, v[88:89]
	v_mad_i64_i32 v[2:3], s[16:17], v2, 36, v[88:89]
	;; [unrolled: 1-line block ×4, first 2 shown]
	v_add_u32_e32 v8, v14, v87
	v_add_u32_e32 v10, v14, v93
	;; [unrolled: 1-line block ×4, first 2 shown]
	v_mad_u64_u32 v[144:145], s[16:17], v136, 36, s[2:3]
	s_barrier
	v_mad_i64_i32 v[8:9], s[16:17], v8, 36, v[88:89]
	v_mad_i64_i32 v[10:11], s[16:17], v10, 36, v[88:89]
	;; [unrolled: 1-line block ×4, first 2 shown]
	global_load_dword v136, v[144:145], off
	s_nop 0
	global_load_dword v0, v[0:1], off offset:4
	s_nop 0
	global_load_dword v1, v[2:3], off offset:4
	;; [unrolled: 2-line block ×3, first 2 shown]
	global_load_dword v3, v[6:7], off offset:4
	s_nop 0
	global_load_dword v4, v[8:9], off offset:4
	global_load_dword v5, v[10:11], off offset:4
	;; [unrolled: 1-line block ×4, first 2 shown]
	s_mov_b32 s9, 24
	v_mov_b32_e32 v145, v125
	v_mov_b32_e32 v147, v107
	s_waitcnt vmcnt(8)
	v_cvt_f32_f16_e32 v8, v136
	s_waitcnt vmcnt(7)
	ds_write_b32 v123, v0
	s_waitcnt vmcnt(6)
	ds_write_b32 v109, v1
	;; [unrolled: 2-line block ×8, first 2 shown]
	ds_write_b32 v65, v8
	s_waitcnt lgkmcnt(0)
	s_barrier
.LBB168_14:                             ;   Parent Loop BB168_6 Depth=1
                                        ; =>  This Inner Loop Header: Depth=2
	s_and_b32 s17, s9, 0x3ffffff8
	v_lshl_add_u32 v10, s17, 2, v105
	ds_read2_b32 v[152:153], v147 offset1:32
	ds_read_b128 v[4:7], v145
	ds_read_b128 v[0:3], v145 offset:16
	ds_read2_b32 v[8:9], v10 offset1:1
	s_sub_i32 s11, s9, 24
	s_lshr_b32 s17, s9, 2
	s_and_b32 s17, s17, 0x3ffffffc
	s_addk_i32 s17, 0x7280
	s_waitcnt lgkmcnt(0)
	v_ashrrev_i32_e32 v8, s11, v8
	v_and_b32_e32 v177, 0x3030303, v8
	v_ashrrev_i32_e32 v8, s11, v9
	v_and_b32_e32 v171, 0x3030303, v8
	ds_read2_b32 v[8:9], v10 offset0:2 offset1:3
	s_and_b32 s16, s9, -16
	s_add_i32 s16, s9, s16
	v_add_u32_e32 v155, s16, v45
	v_mov_b32_e32 v210, 0
	s_waitcnt lgkmcnt(0)
	v_ashrrev_i32_e32 v8, s11, v8
	v_and_b32_e32 v172, 0x3030303, v8
	v_ashrrev_i32_e32 v8, s11, v9
	v_and_b32_e32 v173, 0x3030303, v8
	ds_read2_b32 v[8:9], v10 offset0:4 offset1:5
	v_mov_b32_e32 v211, 0
	v_mov_b32_e32 v197, 0
	;; [unrolled: 1-line block ×4, first 2 shown]
	s_waitcnt lgkmcnt(0)
	v_ashrrev_i32_e32 v8, s11, v8
	v_and_b32_e32 v163, 0x3030303, v8
	v_ashrrev_i32_e32 v8, s11, v9
	v_and_b32_e32 v164, 0x3030303, v8
	ds_read2_b32 v[8:9], v10 offset0:6 offset1:7
	v_dot4c_i32_i8_e32 v197, v163, v0
	v_mov_b32_e32 v203, 0
	v_dot4c_i32_i8_e32 v154, v177, v4
	v_dot4c_i32_i8_e32 v197, v164, v1
	s_waitcnt lgkmcnt(0)
	v_ashrrev_i32_e32 v8, s11, v8
	v_and_b32_e32 v165, 0x3030303, v8
	v_ashrrev_i32_e32 v8, s11, v9
	v_and_b32_e32 v166, 0x3030303, v8
	v_add3_u32 v8, s17, v156, v127
	ds_read_b32 v8, v8
	v_dot4c_i32_i8_e32 v154, v171, v5
	v_dot4c_i32_i8_e32 v197, v165, v2
	;; [unrolled: 1-line block ×4, first 2 shown]
	s_waitcnt lgkmcnt(0)
	v_cvt_f32_f16_e32 v140, v8
	v_cvt_f32_f16_sdwa v142, v8 dst_sel:DWORD dst_unused:UNUSED_PAD src0_sel:WORD_1
	v_add_u32_e32 v8, 0x1080, v10
	ds_read2_b32 v[8:9], v8 offset1:1
	v_dot4c_i32_i8_e32 v154, v173, v7
	v_add_u32_e32 v195, s16, v47
	v_add_u32_e32 v200, s16, v49
	;; [unrolled: 1-line block ×3, first 2 shown]
	s_waitcnt lgkmcnt(0)
	v_ashrrev_i32_e32 v8, s11, v8
	v_and_b32_e32 v182, 0x3030303, v8
	v_ashrrev_i32_e32 v8, s11, v9
	v_and_b32_e32 v174, 0x3030303, v8
	v_add_u32_e32 v8, 0x1088, v10
	ds_read2_b32 v[8:9], v8 offset1:1
	v_mov_b32_e32 v202, 0
	v_mov_b32_e32 v201, 0
	v_dot4c_i32_i8_e32 v201, v182, v4
	v_dot4c_i32_i8_e32 v201, v174, v5
	s_waitcnt lgkmcnt(0)
	v_ashrrev_i32_e32 v8, s11, v8
	v_and_b32_e32 v178, 0x3030303, v8
	v_ashrrev_i32_e32 v8, s11, v9
	v_and_b32_e32 v179, 0x3030303, v8
	v_add_u32_e32 v8, 0x1090, v10
	ds_read2_b32 v[8:9], v8 offset1:1
	v_dot4c_i32_i8_e32 v201, v178, v6
	v_dot4c_i32_i8_e32 v201, v179, v7
	v_mov_b32_e32 v207, 0
	v_mov_b32_e32 v204, 0
	s_waitcnt lgkmcnt(0)
	v_ashrrev_i32_e32 v8, s11, v8
	v_and_b32_e32 v167, 0x3030303, v8
	v_ashrrev_i32_e32 v8, s11, v9
	v_and_b32_e32 v168, 0x3030303, v8
	v_add_u32_e32 v8, 0x1098, v10
	ds_read2_b32 v[8:9], v8 offset1:1
	v_dot4c_i32_i8_e32 v202, v167, v0
	v_dot4c_i32_i8_e32 v202, v168, v1
	v_mov_b32_e32 v205, 0
	v_mov_b32_e32 v206, 0
	s_waitcnt lgkmcnt(0)
	v_ashrrev_i32_e32 v8, s11, v8
	v_and_b32_e32 v169, 0x3030303, v8
	v_ashrrev_i32_e32 v8, s11, v9
	v_and_b32_e32 v170, 0x3030303, v8
	v_add3_u32 v8, s17, v129, v131
	ds_read_b32 v8, v8
	v_dot4c_i32_i8_e32 v202, v169, v2
	v_dot4c_i32_i8_e32 v202, v170, v3
	v_mov_b32_e32 v212, 0
	s_waitcnt lgkmcnt(0)
	v_cvt_f32_f16_e32 v144, v8
	v_cvt_f32_f16_sdwa v146, v8 dst_sel:DWORD dst_unused:UNUSED_PAD src0_sel:WORD_1
	v_add_u32_e32 v8, 0x2100, v10
	ds_read2_b32 v[8:9], v8 offset1:1
	s_waitcnt lgkmcnt(0)
	v_ashrrev_i32_e32 v8, s11, v8
	v_and_b32_e32 v186, 0x3030303, v8
	v_ashrrev_i32_e32 v8, s11, v9
	v_and_b32_e32 v183, 0x3030303, v8
	v_add_u32_e32 v8, 0x2108, v10
	ds_read2_b32 v[8:9], v8 offset1:1
	v_dot4c_i32_i8_e32 v204, v186, v4
	v_dot4c_i32_i8_e32 v204, v183, v5
	s_waitcnt lgkmcnt(0)
	v_ashrrev_i32_e32 v8, s11, v8
	v_and_b32_e32 v184, 0x3030303, v8
	v_ashrrev_i32_e32 v8, s11, v9
	v_and_b32_e32 v185, 0x3030303, v8
	v_add_u32_e32 v8, 0x2110, v10
	ds_read2_b32 v[8:9], v8 offset1:1
	v_dot4c_i32_i8_e32 v204, v184, v6
	v_dot4c_i32_i8_e32 v204, v185, v7
	;; [unrolled: 9-line block ×3, first 2 shown]
	s_waitcnt lgkmcnt(0)
	v_ashrrev_i32_e32 v8, s11, v8
	v_and_b32_e32 v180, 0x3030303, v8
	v_ashrrev_i32_e32 v8, s11, v9
	v_and_b32_e32 v181, 0x3030303, v8
	v_add3_u32 v8, s17, v133, v135
	ds_read_b32 v8, v8
	v_dot4c_i32_i8_e32 v207, v180, v2
	v_dot4c_i32_i8_e32 v207, v181, v3
	s_waitcnt lgkmcnt(0)
	v_cvt_f32_f16_e32 v148, v8
	v_cvt_f32_f16_sdwa v150, v8 dst_sel:DWORD dst_unused:UNUSED_PAD src0_sel:WORD_1
	v_add_u32_e32 v8, 0x3180, v10
	ds_read2_b32 v[8:9], v8 offset1:1
	s_waitcnt lgkmcnt(0)
	v_ashrrev_i32_e32 v8, s11, v8
	v_and_b32_e32 v190, 0x3030303, v8
	v_ashrrev_i32_e32 v8, s11, v9
	v_and_b32_e32 v187, 0x3030303, v8
	v_add_u32_e32 v8, 0x3188, v10
	ds_read2_b32 v[8:9], v8 offset1:1
	v_dot4c_i32_i8_e32 v205, v190, v4
	v_dot4c_i32_i8_e32 v205, v187, v5
	s_waitcnt lgkmcnt(0)
	v_ashrrev_i32_e32 v8, s11, v8
	v_and_b32_e32 v188, 0x3030303, v8
	v_ashrrev_i32_e32 v8, s11, v9
	v_and_b32_e32 v189, 0x3030303, v8
	v_add_u32_e32 v8, 0x3190, v10
	ds_read2_b32 v[8:9], v8 offset1:1
	v_dot4c_i32_i8_e32 v205, v188, v6
	v_dot4c_i32_i8_e32 v205, v189, v7
	;; [unrolled: 9-line block ×3, first 2 shown]
	s_waitcnt lgkmcnt(0)
	v_ashrrev_i32_e32 v8, s11, v8
	v_and_b32_e32 v161, 0x3030303, v8
	v_ashrrev_i32_e32 v8, s11, v9
	v_and_b32_e32 v162, 0x3030303, v8
	v_add3_u32 v8, s17, v137, v139
	ds_read_b32 v8, v8
	v_dot4c_i32_i8_e32 v206, v161, v2
	v_dot4c_i32_i8_e32 v206, v162, v3
	s_add_i32 s11, s9, 2
	s_cmp_lt_u32 s9, 30
	s_waitcnt lgkmcnt(0)
	v_cvt_f32_f16_e32 v136, v8
	v_cvt_f32_f16_sdwa v138, v8 dst_sel:DWORD dst_unused:UNUSED_PAD src0_sel:WORD_1
	ds_read_b128 v[12:15], v145 offset:1024
	ds_read_b128 v[8:11], v145 offset:1040
	ds_read_u16 v155, v155 offset:25072
	s_mov_b32 s9, s11
	s_waitcnt lgkmcnt(2)
	v_dot4c_i32_i8_e32 v199, v177, v12
	v_dot4c_i32_i8_e32 v199, v171, v13
	s_waitcnt lgkmcnt(0)
	v_bfe_u32 v191, v155, 4, 4
	v_mul_lo_u32 v194, v191, s8
	v_dot4c_i32_i8_e32 v210, v194, v4
	v_dot4c_i32_i8_e32 v211, v194, v12
	;; [unrolled: 1-line block ×5, first 2 shown]
	v_lshrrev_b32_sdwa v191, v157, v155 dst_sel:DWORD dst_unused:UNUSED_PAD src0_sel:DWORD src1_sel:BYTE_1
	v_dot4c_i32_i8_e32 v211, v194, v14
	v_dot4c_i32_i8_e32 v210, v194, v7
	v_mul_lo_u32 v193, v191, s8
	v_dot4c_i32_i8_e32 v211, v194, v15
	v_dot4c_i32_i8_e32 v203, v163, v8
	;; [unrolled: 1-line block ×7, first 2 shown]
	v_and_b32_sdwa v191, v155, v158 dst_sel:DWORD dst_unused:UNUSED_PAD src0_sel:BYTE_1 src1_sel:DWORD
	v_and_b32_e32 v155, 15, v155
	v_dot4c_i32_i8_e32 v211, v193, v9
	v_dot4c_i32_i8_e32 v199, v173, v15
	v_dot4c_i32_i8_e32 v203, v165, v10
	v_dot4c_i32_i8_e32 v210, v193, v2
	v_and_b32_e32 v192, 0xffff, v155
	v_and_b32_e32 v191, 0xffff, v191
	v_dot4c_i32_i8_e32 v211, v193, v10
	v_dot4c_i32_i8_e32 v203, v166, v11
	;; [unrolled: 1-line block ×3, first 2 shown]
	v_mul_lo_u32 v198, v197, v191
	v_mul_lo_u32 v208, v199, v192
	v_dot4c_i32_i8_e32 v211, v193, v11
	v_mad_u64_u32 v[208:209], s[16:17], v203, v191, v[208:209]
	v_mad_u64_u32 v[154:155], s[16:17], v154, v192, v[198:199]
	v_cvt_f32_i32_e32 v199, v210
	v_cvt_f32_i32_e32 v198, v211
	;; [unrolled: 1-line block ×4, first 2 shown]
	v_mov_b32_e32 v208, 0
	v_pk_mul_f32 v[198:199], v[142:143], v[198:199] op_sel_hi:[0,1]
	v_mov_b32_e32 v209, 0
	v_pk_fma_f32 v[198:199], v[140:141], v[154:155], v[198:199] op_sel_hi:[0,1,1] neg_lo:[0,0,1] neg_hi:[0,0,1]
	v_mov_b32_e32 v155, v152
	ds_read_u16 v152, v195 offset:26096
	v_mov_b32_e32 v154, v153
	v_pk_fma_f32 v[70:71], v[154:155], v[198:199], v[70:71]
	v_mov_b32_e32 v153, 0
	v_dot4c_i32_i8_e32 v153, v182, v12
	s_waitcnt lgkmcnt(0)
	v_bfe_u32 v195, v152, 4, 4
	v_mul_lo_u32 v199, v195, s8
	v_dot4c_i32_i8_e32 v208, v199, v4
	v_dot4c_i32_i8_e32 v209, v199, v12
	;; [unrolled: 1-line block ×4, first 2 shown]
	v_mov_b32_e32 v203, 0
	v_dot4c_i32_i8_e32 v208, v199, v6
	v_lshrrev_b32_sdwa v195, v157, v152 dst_sel:DWORD dst_unused:UNUSED_PAD src0_sel:DWORD src1_sel:BYTE_1
	v_dot4c_i32_i8_e32 v209, v199, v14
	v_dot4c_i32_i8_e32 v153, v174, v13
	;; [unrolled: 1-line block ×4, first 2 shown]
	v_mul_lo_u32 v198, v195, s8
	v_dot4c_i32_i8_e32 v209, v199, v15
	v_dot4c_i32_i8_e32 v153, v178, v14
	;; [unrolled: 1-line block ×4, first 2 shown]
	v_and_b32_sdwa v195, v152, v158 dst_sel:DWORD dst_unused:UNUSED_PAD src0_sel:BYTE_1 src1_sel:DWORD
	v_and_b32_e32 v152, 15, v152
	v_dot4c_i32_i8_e32 v209, v198, v8
	v_dot4c_i32_i8_e32 v153, v179, v15
	;; [unrolled: 1-line block ×4, first 2 shown]
	v_and_b32_e32 v197, 0xffff, v152
	v_and_b32_e32 v195, 0xffff, v195
	v_dot4c_i32_i8_e32 v209, v198, v9
	v_dot4c_i32_i8_e32 v203, v170, v11
	;; [unrolled: 1-line block ×3, first 2 shown]
	v_mul_lo_u32 v152, v202, v195
	v_mul_lo_u32 v202, v153, v197
	v_dot4c_i32_i8_e32 v209, v198, v10
                                        ; kill: def $vgpr153 killed $sgpr0 killed $exec
	v_dot4c_i32_i8_e32 v208, v198, v3
	v_dot4c_i32_i8_e32 v209, v198, v11
	v_mad_u64_u32 v[202:203], s[16:17], v203, v195, v[202:203]
	v_mad_u64_u32 v[152:153], s[16:17], v201, v197, v[152:153]
	v_cvt_f32_i32_e32 v153, v152
	v_cvt_f32_i32_e32 v152, v202
	;; [unrolled: 1-line block ×4, first 2 shown]
	v_mov_b32_e32 v210, 0
	v_mov_b32_e32 v211, 0
	;; [unrolled: 1-line block ×3, first 2 shown]
	v_pk_mul_f32 v[202:203], v[146:147], v[202:203] op_sel_hi:[0,1]
	v_pk_fma_f32 v[152:153], v[144:145], v[152:153], v[202:203] op_sel_hi:[0,1,1] neg_lo:[0,0,1] neg_hi:[0,0,1]
	v_pk_fma_f32 v[78:79], v[154:155], v[152:153], v[78:79]
	ds_read_u16 v152, v200 offset:27120
	v_mov_b32_e32 v153, 0
	v_dot4c_i32_i8_e32 v153, v186, v12
	v_dot4c_i32_i8_e32 v153, v183, v13
	;; [unrolled: 1-line block ×3, first 2 shown]
	s_waitcnt lgkmcnt(0)
	v_bfe_u32 v200, v152, 4, 4
	v_mul_lo_u32 v203, v200, s8
	v_dot4c_i32_i8_e32 v210, v203, v4
	v_dot4c_i32_i8_e32 v211, v203, v12
	;; [unrolled: 1-line block ×5, first 2 shown]
	v_lshrrev_b32_sdwa v200, v157, v152 dst_sel:DWORD dst_unused:UNUSED_PAD src0_sel:DWORD src1_sel:BYTE_1
	v_dot4c_i32_i8_e32 v211, v203, v14
	v_dot4c_i32_i8_e32 v210, v203, v7
	v_mul_lo_u32 v202, v200, s8
	v_dot4c_i32_i8_e32 v211, v203, v15
	v_dot4c_i32_i8_e32 v153, v184, v14
	;; [unrolled: 1-line block ×4, first 2 shown]
	v_and_b32_sdwa v200, v152, v158 dst_sel:DWORD dst_unused:UNUSED_PAD src0_sel:BYTE_1 src1_sel:DWORD
	v_and_b32_e32 v152, 15, v152
	v_dot4c_i32_i8_e32 v211, v202, v8
	v_dot4c_i32_i8_e32 v153, v185, v15
	;; [unrolled: 1-line block ×4, first 2 shown]
	v_and_b32_e32 v201, 0xffff, v152
	v_and_b32_e32 v200, 0xffff, v200
	v_dot4c_i32_i8_e32 v211, v202, v9
	v_dot4c_i32_i8_e32 v209, v181, v11
	;; [unrolled: 1-line block ×3, first 2 shown]
	v_mul_lo_u32 v152, v207, v200
	v_mul_lo_u32 v208, v153, v201
	v_dot4c_i32_i8_e32 v211, v202, v10
                                        ; kill: def $vgpr153 killed $sgpr0 killed $exec
	v_dot4c_i32_i8_e32 v210, v202, v3
	v_dot4c_i32_i8_e32 v211, v202, v11
	v_mad_u64_u32 v[208:209], s[16:17], v209, v200, v[208:209]
	v_mad_u64_u32 v[152:153], s[16:17], v204, v201, v[152:153]
	v_cvt_f32_i32_e32 v153, v152
	v_cvt_f32_i32_e32 v152, v208
	;; [unrolled: 1-line block ×4, first 2 shown]
	v_mov_b32_e32 v207, 0
	v_dot4c_i32_i8_e32 v207, v190, v12
	v_dot4c_i32_i8_e32 v207, v187, v13
	v_pk_mul_f32 v[208:209], v[150:151], v[208:209] op_sel_hi:[0,1]
	v_pk_fma_f32 v[152:153], v[148:149], v[152:153], v[208:209] op_sel_hi:[0,1,1] neg_lo:[0,0,1] neg_hi:[0,0,1]
	v_pk_fma_f32 v[76:77], v[154:155], v[152:153], v[76:77]
	ds_read_u16 v152, v196 offset:28144
	v_mov_b32_e32 v209, 0
	v_mov_b32_e32 v208, 0
	v_dot4c_i32_i8_e32 v208, v159, v8
	v_dot4c_i32_i8_e32 v207, v188, v14
	s_waitcnt lgkmcnt(0)
	v_bfe_u32 v153, v152, 4, 4
	v_mul_lo_u32 v204, v153, s8
	v_dot4c_i32_i8_e32 v209, v204, v4
	v_lshrrev_b32_sdwa v4, v157, v152 dst_sel:DWORD dst_unused:UNUSED_PAD src0_sel:DWORD src1_sel:BYTE_1
	v_mul_lo_u32 v196, v4, s8
	v_mov_b32_e32 v4, 0
	v_dot4c_i32_i8_e32 v209, v204, v5
	v_dot4c_i32_i8_e32 v4, v204, v12
	;; [unrolled: 1-line block ×10, first 2 shown]
	v_and_b32_sdwa v0, v152, v158 dst_sel:DWORD dst_unused:UNUSED_PAD src0_sel:BYTE_1 src1_sel:DWORD
	v_and_b32_e32 v1, 15, v152
	v_dot4c_i32_i8_e32 v4, v196, v8
	v_dot4c_i32_i8_e32 v207, v189, v15
	v_dot4c_i32_i8_e32 v208, v161, v10
	v_and_b32_e32 v153, 0xffff, v1
	v_and_b32_e32 v152, 0xffff, v0
	v_dot4c_i32_i8_e32 v4, v196, v9
	v_dot4c_i32_i8_e32 v208, v162, v11
	;; [unrolled: 1-line block ×3, first 2 shown]
	v_mul_lo_u32 v0, v206, v152
	v_mul_lo_u32 v2, v207, v153
	v_dot4c_i32_i8_e32 v4, v196, v10
                                        ; kill: def $vgpr1 killed $sgpr0 killed $exec
	v_dot4c_i32_i8_e32 v209, v196, v3
	v_dot4c_i32_i8_e32 v4, v196, v11
	v_mad_u64_u32 v[2:3], s[16:17], v208, v152, v[2:3]
	v_mad_u64_u32 v[0:1], s[16:17], v205, v153, v[0:1]
	v_cvt_f32_i32_e32 v1, v0
	v_cvt_f32_i32_e32 v0, v2
	;; [unrolled: 1-line block ×4, first 2 shown]
	v_mov_b32_e32 v205, 0
	v_mov_b32_e32 v207, 0
	;; [unrolled: 1-line block ×3, first 2 shown]
	v_pk_mul_f32 v[2:3], v[138:139], v[2:3] op_sel_hi:[0,1]
	v_pk_fma_f32 v[0:1], v[136:137], v[0:1], v[2:3] op_sel_hi:[0,1,1] neg_lo:[0,0,1] neg_hi:[0,0,1]
	v_pk_fma_f32 v[72:73], v[154:155], v[0:1], v[72:73]
	ds_read2_b32 v[8:9], v147 offset0:64 offset1:96
	ds_read_b128 v[4:7], v145 offset:2048
	ds_read_b128 v[0:3], v145 offset:2064
	v_mov_b32_e32 v10, 0
	v_mov_b32_e32 v15, 0
	;; [unrolled: 1-line block ×3, first 2 shown]
	s_waitcnt lgkmcnt(1)
	v_dot4c_i32_i8_e32 v205, v194, v4
	v_dot4c_i32_i8_e32 v207, v199, v4
	;; [unrolled: 1-line block ×13, first 2 shown]
	v_mov_b32_e32 v206, 0
	v_dot4c_i32_i8_e32 v207, v199, v7
	v_mov_b32_e32 v208, 0
	v_mov_b32_e32 v13, 0
	v_dot4c_i32_i8_e32 v12, v203, v7
	v_mov_b32_e32 v209, 0
	;; [unrolled: 3-line block ×3, first 2 shown]
	v_dot4c_i32_i8_e32 v15, v177, v4
	s_waitcnt lgkmcnt(0)
	v_dot4c_i32_i8_e32 v154, v163, v0
	v_dot4c_i32_i8_e32 v205, v193, v0
	;; [unrolled: 1-line block ×47, first 2 shown]
	ds_read_b128 v[4:7], v145 offset:3072
	ds_read_b128 v[0:3], v145 offset:3088
	v_mov_b32_e32 v211, 0
	v_mov_b32_e32 v14, 0
	v_mul_lo_u32 v154, v154, v191
	s_waitcnt lgkmcnt(1)
	v_dot4c_i32_i8_e32 v211, v194, v4
	v_dot4c_i32_i8_e32 v211, v194, v5
	;; [unrolled: 1-line block ×6, first 2 shown]
	s_waitcnt lgkmcnt(0)
	v_dot4c_i32_i8_e32 v212, v163, v0
	v_dot4c_i32_i8_e32 v14, v172, v6
	;; [unrolled: 1-line block ×7, first 2 shown]
                                        ; kill: def $vgpr155 killed $sgpr0 killed $exec
	v_dot4c_i32_i8_e32 v211, v193, v2
	v_dot4c_i32_i8_e32 v212, v166, v3
	v_mul_lo_u32 v14, v14, v192
	v_mad_u64_u32 v[154:155], s[16:17], v15, v192, v[154:155]
                                        ; kill: def $vgpr15 killed $sgpr0 killed $exec
	v_dot4c_i32_i8_e32 v211, v193, v3
	v_mad_u64_u32 v[14:15], s[16:17], v212, v191, v[14:15]
	v_cvt_f32_i32_e32 v15, v14
	v_cvt_f32_i32_e32 v14, v154
	;; [unrolled: 1-line block ×4, first 2 shown]
	v_mov_b32_e32 v205, 0
	v_dot4c_i32_i8_e32 v205, v199, v4
	v_dot4c_i32_i8_e32 v205, v199, v5
	v_pk_mul_f32 v[154:155], v[142:143], v[154:155] op_sel_hi:[0,1]
	v_pk_fma_f32 v[14:15], v[140:141], v[14:15], v[154:155] op_sel_hi:[0,1,1] neg_lo:[0,0,1] neg_hi:[0,0,1]
	v_pk_fma_f32 v[50:51], v[8:9], v[14:15], v[50:51]
	v_mov_b32_e32 v14, 0
	v_dot4c_i32_i8_e32 v14, v182, v4
	v_dot4c_i32_i8_e32 v205, v199, v6
	v_mov_b32_e32 v15, 0
	v_dot4c_i32_i8_e32 v14, v174, v5
	v_dot4c_i32_i8_e32 v205, v199, v7
	;; [unrolled: 1-line block ×11, first 2 shown]
	v_mul_lo_u32 v14, v14, v197
	v_mul_lo_u32 v154, v208, v195
                                        ; kill: def $vgpr155 killed $sgpr0 killed $exec
	v_dot4c_i32_i8_e32 v205, v198, v3
	v_mad_u64_u32 v[154:155], s[16:17], v206, v197, v[154:155]
	v_mad_u64_u32 v[14:15], s[16:17], v15, v195, v[14:15]
	v_cvt_f32_i32_e32 v15, v14
	v_cvt_f32_i32_e32 v14, v154
	;; [unrolled: 1-line block ×4, first 2 shown]
	v_mov_b32_e32 v205, 0
	v_dot4c_i32_i8_e32 v205, v203, v4
	v_dot4c_i32_i8_e32 v205, v203, v5
	v_pk_mul_f32 v[154:155], v[146:147], v[154:155] op_sel_hi:[0,1]
	v_pk_fma_f32 v[14:15], v[144:145], v[14:15], v[154:155] op_sel_hi:[0,1,1] neg_lo:[0,0,1] neg_hi:[0,0,1]
	v_pk_fma_f32 v[40:41], v[8:9], v[14:15], v[40:41]
	v_mov_b32_e32 v14, 0
	v_dot4c_i32_i8_e32 v205, v203, v6
	v_dot4c_i32_i8_e32 v14, v186, v4
	;; [unrolled: 1-line block ×3, first 2 shown]
	v_mov_b32_e32 v15, 0
	v_dot4c_i32_i8_e32 v14, v183, v5
	v_dot4c_i32_i8_e32 v15, v175, v0
	;; [unrolled: 1-line block ×11, first 2 shown]
	v_mul_lo_u32 v14, v14, v201
	v_mul_lo_u32 v154, v209, v200
                                        ; kill: def $vgpr155 killed $sgpr0 killed $exec
	v_mad_u64_u32 v[14:15], s[16:17], v15, v200, v[14:15]
	v_mad_u64_u32 v[154:155], s[16:17], v13, v201, v[154:155]
	v_cvt_f32_i32_e32 v13, v205
	v_cvt_f32_i32_e32 v12, v12
	;; [unrolled: 1-line block ×4, first 2 shown]
	v_mov_b32_e32 v205, 0
	v_pk_mul_f32 v[12:13], v[150:151], v[12:13] op_sel_hi:[0,1]
	v_mov_b32_e32 v207, 0
	v_pk_fma_f32 v[12:13], v[148:149], v[14:15], v[12:13] op_sel_hi:[0,1,1] neg_lo:[0,0,1] neg_hi:[0,0,1]
	v_pk_fma_f32 v[34:35], v[8:9], v[12:13], v[34:35]
	v_mov_b32_e32 v13, 0
	v_dot4c_i32_i8_e32 v13, v204, v4
	v_mov_b32_e32 v12, 0
	v_dot4c_i32_i8_e32 v13, v204, v5
	v_dot4c_i32_i8_e32 v12, v190, v4
	;; [unrolled: 1-line block ×3, first 2 shown]
	v_mov_b32_e32 v4, 0
	v_dot4c_i32_i8_e32 v12, v187, v5
	v_dot4c_i32_i8_e32 v13, v204, v7
	;; [unrolled: 1-line block ×11, first 2 shown]
	v_mul_lo_u32 v0, v12, v153
	v_mul_lo_u32 v2, v210, v152
                                        ; kill: def $vgpr1 killed $sgpr0 killed $exec
	v_dot4c_i32_i8_e32 v13, v196, v3
	v_mad_u64_u32 v[2:3], s[16:17], v11, v153, v[2:3]
	v_mad_u64_u32 v[0:1], s[16:17], v4, v152, v[0:1]
	v_cvt_f32_i32_e32 v1, v0
	v_cvt_f32_i32_e32 v0, v2
	;; [unrolled: 1-line block ×4, first 2 shown]
	v_mov_b32_e32 v12, 0
	v_mov_b32_e32 v10, 0
	;; [unrolled: 1-line block ×3, first 2 shown]
	v_pk_mul_f32 v[2:3], v[138:139], v[2:3] op_sel_hi:[0,1]
	v_pk_fma_f32 v[0:1], v[136:137], v[0:1], v[2:3] op_sel_hi:[0,1,1] neg_lo:[0,0,1] neg_hi:[0,0,1]
	v_pk_fma_f32 v[32:33], v[8:9], v[0:1], v[32:33]
	ds_read2_b32 v[8:9], v147 offset0:128 offset1:160
	ds_read_b128 v[4:7], v145 offset:4096
	ds_read_b128 v[0:3], v145 offset:4112
	v_mov_b32_e32 v154, 0
	v_mov_b32_e32 v206, 0
	;; [unrolled: 1-line block ×3, first 2 shown]
	s_waitcnt lgkmcnt(1)
	v_dot4c_i32_i8_e32 v205, v194, v4
	v_dot4c_i32_i8_e32 v207, v199, v4
	;; [unrolled: 1-line block ×14, first 2 shown]
	v_mov_b32_e32 v13, 0
	v_dot4c_i32_i8_e32 v12, v203, v7
	v_mov_b32_e32 v209, 0
	v_mov_b32_e32 v11, 0
	v_dot4c_i32_i8_e32 v10, v204, v7
	v_mov_b32_e32 v210, 0
	v_dot4c_i32_i8_e32 v15, v177, v4
	s_waitcnt lgkmcnt(0)
	v_dot4c_i32_i8_e32 v154, v163, v0
	v_dot4c_i32_i8_e32 v205, v193, v0
	;; [unrolled: 1-line block ×47, first 2 shown]
	ds_read_b128 v[4:7], v145 offset:5120
	ds_read_b128 v[0:3], v145 offset:5136
	v_mov_b32_e32 v211, 0
	v_mov_b32_e32 v14, 0
	;; [unrolled: 1-line block ×3, first 2 shown]
	s_waitcnt lgkmcnt(1)
	v_dot4c_i32_i8_e32 v211, v194, v4
	v_dot4c_i32_i8_e32 v211, v194, v5
	;; [unrolled: 1-line block ×6, first 2 shown]
	s_waitcnt lgkmcnt(0)
	v_dot4c_i32_i8_e32 v212, v163, v0
	v_dot4c_i32_i8_e32 v14, v172, v6
	;; [unrolled: 1-line block ×7, first 2 shown]
	v_mul_lo_u32 v154, v154, v191
                                        ; kill: def $vgpr155 killed $sgpr0 killed $exec
	v_dot4c_i32_i8_e32 v211, v193, v2
	v_dot4c_i32_i8_e32 v212, v166, v3
	v_mul_lo_u32 v14, v14, v192
	v_mad_u64_u32 v[154:155], s[16:17], v15, v192, v[154:155]
                                        ; kill: def $vgpr15 killed $sgpr0 killed $exec
	v_dot4c_i32_i8_e32 v211, v193, v3
	v_mad_u64_u32 v[14:15], s[16:17], v212, v191, v[14:15]
	v_cvt_f32_i32_e32 v15, v14
	v_cvt_f32_i32_e32 v14, v154
	;; [unrolled: 1-line block ×4, first 2 shown]
	v_mov_b32_e32 v205, 0
	v_dot4c_i32_i8_e32 v205, v199, v4
	v_dot4c_i32_i8_e32 v205, v199, v5
	v_pk_mul_f32 v[154:155], v[142:143], v[154:155] op_sel_hi:[0,1]
	v_pk_fma_f32 v[14:15], v[140:141], v[14:15], v[154:155] op_sel_hi:[0,1,1] neg_lo:[0,0,1] neg_hi:[0,0,1]
	v_pk_fma_f32 v[30:31], v[8:9], v[14:15], v[30:31]
	v_mov_b32_e32 v14, 0
	v_dot4c_i32_i8_e32 v14, v182, v4
	v_dot4c_i32_i8_e32 v205, v199, v6
	v_mov_b32_e32 v15, 0
	v_dot4c_i32_i8_e32 v14, v174, v5
	v_dot4c_i32_i8_e32 v205, v199, v7
	;; [unrolled: 1-line block ×11, first 2 shown]
	v_mul_lo_u32 v14, v14, v197
	v_mul_lo_u32 v154, v208, v195
                                        ; kill: def $vgpr155 killed $sgpr0 killed $exec
	v_dot4c_i32_i8_e32 v205, v198, v3
	v_mad_u64_u32 v[154:155], s[16:17], v206, v197, v[154:155]
	v_mad_u64_u32 v[14:15], s[16:17], v15, v195, v[14:15]
	v_cvt_f32_i32_e32 v15, v14
	v_cvt_f32_i32_e32 v14, v154
	v_cvt_f32_i32_e32 v155, v205
	v_cvt_f32_i32_e32 v154, v207
	v_mov_b32_e32 v205, 0
	v_dot4c_i32_i8_e32 v205, v203, v4
	v_dot4c_i32_i8_e32 v205, v203, v5
	v_pk_mul_f32 v[154:155], v[146:147], v[154:155] op_sel_hi:[0,1]
	v_pk_fma_f32 v[14:15], v[144:145], v[14:15], v[154:155] op_sel_hi:[0,1,1] neg_lo:[0,0,1] neg_hi:[0,0,1]
	v_pk_fma_f32 v[28:29], v[8:9], v[14:15], v[28:29]
	v_mov_b32_e32 v14, 0
	v_dot4c_i32_i8_e32 v205, v203, v6
	v_dot4c_i32_i8_e32 v14, v186, v4
	;; [unrolled: 1-line block ×3, first 2 shown]
	v_mov_b32_e32 v15, 0
	v_dot4c_i32_i8_e32 v14, v183, v5
	v_dot4c_i32_i8_e32 v15, v175, v0
	;; [unrolled: 1-line block ×11, first 2 shown]
	v_mul_lo_u32 v14, v14, v201
	v_mul_lo_u32 v154, v209, v200
                                        ; kill: def $vgpr155 killed $sgpr0 killed $exec
	v_mad_u64_u32 v[14:15], s[16:17], v15, v200, v[14:15]
	v_mad_u64_u32 v[154:155], s[16:17], v13, v201, v[154:155]
	v_cvt_f32_i32_e32 v13, v205
	v_cvt_f32_i32_e32 v12, v12
	v_cvt_f32_i32_e32 v15, v14
	v_cvt_f32_i32_e32 v14, v154
	v_mov_b32_e32 v205, 0
	v_pk_mul_f32 v[12:13], v[150:151], v[12:13] op_sel_hi:[0,1]
	v_mov_b32_e32 v207, 0
	v_pk_fma_f32 v[12:13], v[148:149], v[14:15], v[12:13] op_sel_hi:[0,1,1] neg_lo:[0,0,1] neg_hi:[0,0,1]
	v_pk_fma_f32 v[26:27], v[8:9], v[12:13], v[26:27]
	v_mov_b32_e32 v13, 0
	v_dot4c_i32_i8_e32 v13, v204, v4
	v_mov_b32_e32 v12, 0
	v_dot4c_i32_i8_e32 v13, v204, v5
	v_dot4c_i32_i8_e32 v12, v190, v4
	v_dot4c_i32_i8_e32 v13, v204, v6
	v_mov_b32_e32 v4, 0
	v_dot4c_i32_i8_e32 v12, v187, v5
	v_dot4c_i32_i8_e32 v13, v204, v7
	;; [unrolled: 1-line block ×11, first 2 shown]
	v_mul_lo_u32 v0, v12, v153
	v_mul_lo_u32 v2, v210, v152
                                        ; kill: def $vgpr1 killed $sgpr0 killed $exec
	v_dot4c_i32_i8_e32 v13, v196, v3
	v_mad_u64_u32 v[2:3], s[16:17], v11, v153, v[2:3]
	v_mad_u64_u32 v[0:1], s[16:17], v4, v152, v[0:1]
	v_cvt_f32_i32_e32 v1, v0
	v_cvt_f32_i32_e32 v0, v2
	;; [unrolled: 1-line block ×4, first 2 shown]
	v_mov_b32_e32 v13, 0
	v_mov_b32_e32 v10, 0
	v_mov_b32_e32 v15, 0
	v_pk_mul_f32 v[2:3], v[138:139], v[2:3] op_sel_hi:[0,1]
	v_pk_fma_f32 v[0:1], v[136:137], v[0:1], v[2:3] op_sel_hi:[0,1,1] neg_lo:[0,0,1] neg_hi:[0,0,1]
	v_pk_fma_f32 v[24:25], v[8:9], v[0:1], v[24:25]
	ds_read2_b32 v[8:9], v147 offset0:192 offset1:224
	ds_read_b128 v[4:7], v145 offset:6144
	ds_read_b128 v[0:3], v145 offset:6160
	v_mov_b32_e32 v155, 0
	v_mov_b32_e32 v206, 0
	;; [unrolled: 1-line block ×3, first 2 shown]
	s_waitcnt lgkmcnt(1)
	v_dot4c_i32_i8_e32 v205, v194, v4
	v_dot4c_i32_i8_e32 v207, v199, v4
	;; [unrolled: 1-line block ×14, first 2 shown]
	v_mov_b32_e32 v14, 0
	v_dot4c_i32_i8_e32 v13, v203, v7
	v_mov_b32_e32 v209, 0
	v_mov_b32_e32 v11, 0
	v_dot4c_i32_i8_e32 v10, v204, v7
	v_mov_b32_e32 v12, 0
	v_dot4c_i32_i8_e32 v15, v177, v4
	s_waitcnt lgkmcnt(0)
	v_dot4c_i32_i8_e32 v155, v163, v0
	v_dot4c_i32_i8_e32 v205, v193, v0
	;; [unrolled: 1-line block ×47, first 2 shown]
	ds_read_b128 v[4:7], v145 offset:7168
	ds_read_b128 v[0:3], v145 offset:7184
	v_mov_b32_e32 v154, 0
	s_waitcnt lgkmcnt(1)
	v_dot4c_i32_i8_e32 v154, v177, v4
	v_mov_b32_e32 v177, 0
	v_dot4c_i32_i8_e32 v177, v194, v4
	v_dot4c_i32_i8_e32 v177, v194, v5
	;; [unrolled: 1-line block ×4, first 2 shown]
	v_mov_b32_e32 v171, 0
	v_dot4c_i32_i8_e32 v177, v194, v7
	s_waitcnt lgkmcnt(0)
	v_dot4c_i32_i8_e32 v171, v163, v0
	v_dot4c_i32_i8_e32 v154, v172, v6
	v_dot4c_i32_i8_e32 v177, v193, v0
	v_dot4c_i32_i8_e32 v171, v164, v1
	v_dot4c_i32_i8_e32 v154, v173, v7
	v_dot4c_i32_i8_e32 v177, v193, v1
	v_dot4c_i32_i8_e32 v171, v165, v2
	v_dot4c_i32_i8_e32 v177, v193, v2
	v_dot4c_i32_i8_e32 v171, v166, v3
	v_mul_lo_u32 v154, v154, v192
	v_mul_lo_u32 v164, v155, v191
                                        ; kill: def $vgpr155 killed $sgpr0 killed $exec
	v_dot4c_i32_i8_e32 v177, v193, v3
	v_mad_u64_u32 v[164:165], s[16:17], v15, v192, v[164:165]
	v_mad_u64_u32 v[154:155], s[16:17], v171, v191, v[154:155]
	v_cvt_f32_i32_e32 v155, v154
	v_cvt_f32_i32_e32 v154, v164
	;; [unrolled: 1-line block ×4, first 2 shown]
	v_mov_b32_e32 v163, 0
	v_dot4c_i32_i8_e32 v163, v199, v4
	v_mov_b32_e32 v15, 0
	v_pk_mul_f32 v[164:165], v[142:143], v[164:165] op_sel_hi:[0,1]
	v_dot4c_i32_i8_e32 v163, v199, v5
	v_pk_fma_f32 v[154:155], v[140:141], v[154:155], v[164:165] op_sel_hi:[0,1,1] neg_lo:[0,0,1] neg_hi:[0,0,1]
	v_dot4c_i32_i8_e32 v15, v182, v4
	v_dot4c_i32_i8_e32 v163, v199, v6
	v_mov_b32_e32 v164, 0
	v_dot4c_i32_i8_e32 v15, v174, v5
	v_dot4c_i32_i8_e32 v163, v199, v7
	;; [unrolled: 1-line block ×11, first 2 shown]
	v_mul_lo_u32 v140, v15, v197
	v_mul_lo_u32 v142, v208, v195
	v_pk_fma_f32 v[22:23], v[8:9], v[154:155], v[22:23]
	v_dot4c_i32_i8_e32 v163, v198, v3
	v_mad_u64_u32 v[154:155], s[16:17], v206, v197, v[142:143]
	v_mad_u64_u32 v[164:165], s[16:17], v164, v195, v[140:141]
	v_cvt_f32_i32_e32 v155, v164
	v_cvt_f32_i32_e32 v165, v163
	;; [unrolled: 1-line block ×4, first 2 shown]
	v_mov_b32_e32 v15, 0
	v_dot4c_i32_i8_e32 v15, v186, v4
	v_pk_mul_f32 v[164:165], v[146:147], v[164:165] op_sel_hi:[0,1]
	v_pk_fma_f32 v[154:155], v[144:145], v[154:155], v[164:165] op_sel_hi:[0,1,1] neg_lo:[0,0,1] neg_hi:[0,0,1]
	v_mov_b32_e32 v144, 0
	v_dot4c_i32_i8_e32 v144, v203, v4
	v_dot4c_i32_i8_e32 v144, v203, v5
	v_dot4c_i32_i8_e32 v144, v203, v6
	v_mov_b32_e32 v146, 0
	v_dot4c_i32_i8_e32 v15, v183, v5
	v_dot4c_i32_i8_e32 v144, v203, v7
	v_dot4c_i32_i8_e32 v146, v175, v0
	v_dot4c_i32_i8_e32 v15, v184, v6
	v_dot4c_i32_i8_e32 v144, v202, v0
	v_dot4c_i32_i8_e32 v146, v176, v1
	v_dot4c_i32_i8_e32 v15, v185, v7
	v_dot4c_i32_i8_e32 v144, v202, v1
	v_dot4c_i32_i8_e32 v146, v180, v2
	v_dot4c_i32_i8_e32 v144, v202, v2
	v_dot4c_i32_i8_e32 v146, v181, v3
	v_mul_lo_u32 v140, v15, v201
	v_mul_lo_u32 v142, v209, v200
	v_pk_fma_f32 v[20:21], v[8:9], v[154:155], v[20:21]
	v_dot4c_i32_i8_e32 v144, v202, v3
	v_mad_u64_u32 v[14:15], s[16:17], v14, v201, v[142:143]
	v_mad_u64_u32 v[154:155], s[16:17], v146, v200, v[140:141]
	v_cvt_f32_i32_e32 v15, v154
	v_cvt_f32_i32_e32 v155, v144
	;; [unrolled: 1-line block ×4, first 2 shown]
	v_mov_b32_e32 v13, 0
	v_dot4c_i32_i8_e32 v13, v190, v4
	v_pk_mul_f32 v[154:155], v[150:151], v[154:155] op_sel_hi:[0,1]
	v_pk_fma_f32 v[14:15], v[148:149], v[14:15], v[154:155] op_sel_hi:[0,1,1] neg_lo:[0,0,1] neg_hi:[0,0,1]
	v_pk_fma_f32 v[18:19], v[8:9], v[14:15], v[18:19]
	v_mov_b32_e32 v14, 0
	v_dot4c_i32_i8_e32 v14, v204, v4
	v_dot4c_i32_i8_e32 v14, v204, v5
	;; [unrolled: 1-line block ×3, first 2 shown]
	v_mov_b32_e32 v4, 0
	v_dot4c_i32_i8_e32 v13, v187, v5
	v_dot4c_i32_i8_e32 v14, v204, v7
	;; [unrolled: 1-line block ×11, first 2 shown]
	v_mul_lo_u32 v0, v13, v153
	v_mul_lo_u32 v2, v12, v152
                                        ; kill: def $vgpr1 killed $sgpr0 killed $exec
	v_dot4c_i32_i8_e32 v14, v196, v3
	v_mad_u64_u32 v[2:3], s[16:17], v11, v153, v[2:3]
	v_mad_u64_u32 v[0:1], s[16:17], v4, v152, v[0:1]
	v_cvt_f32_i32_e32 v1, v0
	v_cvt_f32_i32_e32 v0, v2
	;; [unrolled: 1-line block ×4, first 2 shown]
	v_add_u32_e32 v147, 4, v147
	v_add_u32_e32 v145, 32, v145
	v_pk_mul_f32 v[2:3], v[138:139], v[2:3] op_sel_hi:[0,1]
	v_pk_fma_f32 v[0:1], v[136:137], v[0:1], v[2:3] op_sel_hi:[0,1,1] neg_lo:[0,0,1] neg_hi:[0,0,1]
	v_pk_fma_f32 v[16:17], v[8:9], v[0:1], v[16:17]
	s_cbranch_scc1 .LBB168_14
; %bb.15:                               ;   in Loop: Header=BB168_6 Depth=1
	s_barrier
	s_branch .LBB168_5
.LBB168_16:
	v_mov_b32_e32 v16, 0
	v_mov_b32_e32 v17, v16
	v_mov_b64_e32 v[24:25], v[16:17]
	v_mov_b64_e32 v[32:33], v[16:17]
	;; [unrolled: 1-line block ×15, first 2 shown]
	v_cmp_gt_u32_e32 vcc, s10, v39
	s_and_saveexec_b64 s[0:1], vcc
	s_cbranch_execnz .LBB168_19
.LBB168_17:
	s_endpgm
.LBB168_18:
	v_mov_b32_e32 v1, v91
	v_cmp_gt_u32_e32 vcc, s10, v39
	s_and_saveexec_b64 s[0:1], vcc
	s_cbranch_execz .LBB168_17
.LBB168_19:
	v_add_u32_e32 v0, s6, v69
	v_mul_lo_u32 v5, v39, s14
	v_cmp_gt_u32_e64 s[0:1], s14, v0
	s_and_saveexec_b64 s[2:3], s[0:1]
	s_cbranch_execz .LBB168_21
; %bb.20:
	v_bfe_u32 v2, v71, 16, 1
	s_movk_i32 s4, 0x7fff
	v_add3_u32 v2, v71, v2, s4
	v_cmp_o_f32_e32 vcc, v71, v71
	v_mov_b32_e32 v3, 0x7fc0
	s_nop 0
	v_cndmask_b32_sdwa v4, v3, v2, vcc dst_sel:DWORD dst_unused:UNUSED_PAD src0_sel:DWORD src1_sel:WORD_1
	v_add_u32_e32 v2, v0, v5
	v_mov_b32_e32 v3, 0
	s_waitcnt lgkmcnt(0)
	v_lshl_add_u64 v[2:3], v[2:3], 1, s[12:13]
	global_store_short v[2:3], v4, off
.LBB168_21:
	s_or_b64 exec, exec, s[2:3]
	v_add_u32_e32 v2, 32, v0
	v_cmp_gt_u32_e64 s[2:3], s14, v2
	s_and_saveexec_b64 s[4:5], s[2:3]
	s_cbranch_execz .LBB168_23
; %bb.22:
	v_bfe_u32 v3, v79, 16, 1
	s_movk_i32 s6, 0x7fff
	v_add3_u32 v3, v79, v3, s6
	v_cmp_o_f32_e32 vcc, v79, v79
	v_mov_b32_e32 v4, 0x7fc0
	v_add_u32_e32 v6, v2, v5
	v_mov_b32_e32 v7, 0
	v_cndmask_b32_sdwa v3, v4, v3, vcc dst_sel:DWORD dst_unused:UNUSED_PAD src0_sel:DWORD src1_sel:WORD_1
	s_waitcnt lgkmcnt(0)
	v_lshl_add_u64 v[6:7], v[6:7], 1, s[12:13]
	global_store_short v[6:7], v3, off
.LBB168_23:
	s_or_b64 exec, exec, s[4:5]
	v_add_u32_e32 v3, 64, v0
	v_cmp_gt_u32_e64 s[4:5], s14, v3
	s_and_saveexec_b64 s[6:7], s[4:5]
	s_cbranch_execz .LBB168_25
; %bb.24:
	v_bfe_u32 v4, v77, 16, 1
	s_movk_i32 s8, 0x7fff
	v_add3_u32 v4, v77, v4, s8
	v_cmp_o_f32_e32 vcc, v77, v77
	v_mov_b32_e32 v6, 0x7fc0
	v_mov_b32_e32 v7, 0
	v_cndmask_b32_sdwa v4, v6, v4, vcc dst_sel:DWORD dst_unused:UNUSED_PAD src0_sel:DWORD src1_sel:WORD_1
	v_add_u32_e32 v6, v3, v5
	s_waitcnt lgkmcnt(0)
	v_lshl_add_u64 v[6:7], v[6:7], 1, s[12:13]
	global_store_short v[6:7], v4, off
.LBB168_25:
	s_or_b64 exec, exec, s[6:7]
	v_add_u32_e32 v4, 0x60, v0
	v_cmp_gt_u32_e64 s[6:7], s14, v4
	s_and_saveexec_b64 s[8:9], s[6:7]
	s_cbranch_execz .LBB168_27
; %bb.26:
	v_bfe_u32 v6, v73, 16, 1
	s_movk_i32 s11, 0x7fff
	v_add3_u32 v6, v73, v6, s11
	v_cmp_o_f32_e32 vcc, v73, v73
	v_mov_b32_e32 v7, 0x7fc0
	s_nop 0
	v_cndmask_b32_sdwa v8, v7, v6, vcc dst_sel:DWORD dst_unused:UNUSED_PAD src0_sel:DWORD src1_sel:WORD_1
	v_add_u32_e32 v6, v4, v5
	v_mov_b32_e32 v7, 0
	s_waitcnt lgkmcnt(0)
	v_lshl_add_u64 v[6:7], v[6:7], 1, s[12:13]
	global_store_short v[6:7], v8, off
.LBB168_27:
	s_or_b64 exec, exec, s[8:9]
	v_add3_u32 v5, v1, s15, 8
	v_cmp_gt_u32_e32 vcc, s10, v5
	s_and_b64 exec, exec, vcc
	s_cbranch_execz .LBB168_17
; %bb.28:
	v_mul_lo_u32 v5, v5, s14
	s_and_saveexec_b64 s[8:9], s[0:1]
	s_cbranch_execnz .LBB168_68
; %bb.29:
	s_or_b64 exec, exec, s[8:9]
	s_and_saveexec_b64 s[8:9], s[2:3]
	s_cbranch_execnz .LBB168_69
.LBB168_30:
	s_or_b64 exec, exec, s[8:9]
	s_and_saveexec_b64 s[8:9], s[4:5]
	s_cbranch_execnz .LBB168_70
.LBB168_31:
	s_or_b64 exec, exec, s[8:9]
	s_and_saveexec_b64 s[8:9], s[6:7]
	s_cbranch_execz .LBB168_33
.LBB168_32:
	v_bfe_u32 v6, v72, 16, 1
	s_movk_i32 s11, 0x7fff
	v_add3_u32 v6, v72, v6, s11
	v_cmp_o_f32_e32 vcc, v72, v72
	v_mov_b32_e32 v7, 0x7fc0
	s_nop 0
	v_cndmask_b32_sdwa v8, v7, v6, vcc dst_sel:DWORD dst_unused:UNUSED_PAD src0_sel:DWORD src1_sel:WORD_1
	v_add_u32_e32 v6, v5, v4
	v_mov_b32_e32 v7, 0
	s_waitcnt lgkmcnt(0)
	v_lshl_add_u64 v[6:7], v[6:7], 1, s[12:13]
	global_store_short v[6:7], v8, off
.LBB168_33:
	s_or_b64 exec, exec, s[8:9]
	v_add3_u32 v5, v1, s15, 16
	v_cmp_gt_u32_e32 vcc, s10, v5
	s_and_b64 exec, exec, vcc
	s_cbranch_execz .LBB168_17
; %bb.34:
	v_mul_lo_u32 v5, v5, s14
	s_and_saveexec_b64 s[8:9], s[0:1]
	s_cbranch_execnz .LBB168_71
; %bb.35:
	s_or_b64 exec, exec, s[8:9]
	s_and_saveexec_b64 s[8:9], s[2:3]
	s_cbranch_execnz .LBB168_72
.LBB168_36:
	s_or_b64 exec, exec, s[8:9]
	s_and_saveexec_b64 s[8:9], s[4:5]
	s_cbranch_execnz .LBB168_73
.LBB168_37:
	s_or_b64 exec, exec, s[8:9]
	s_and_saveexec_b64 s[8:9], s[6:7]
	s_cbranch_execz .LBB168_39
.LBB168_38:
	v_bfe_u32 v6, v32, 16, 1
	s_movk_i32 s11, 0x7fff
	v_add3_u32 v6, v32, v6, s11
	v_cmp_o_f32_e32 vcc, v32, v32
	v_mov_b32_e32 v7, 0x7fc0
	s_nop 0
	v_cndmask_b32_sdwa v8, v7, v6, vcc dst_sel:DWORD dst_unused:UNUSED_PAD src0_sel:DWORD src1_sel:WORD_1
	v_add_u32_e32 v6, v5, v4
	v_mov_b32_e32 v7, 0
	s_waitcnt lgkmcnt(0)
	v_lshl_add_u64 v[6:7], v[6:7], 1, s[12:13]
	global_store_short v[6:7], v8, off
.LBB168_39:
	s_or_b64 exec, exec, s[8:9]
	v_add3_u32 v5, v1, s15, 24
	v_cmp_gt_u32_e32 vcc, s10, v5
	s_and_b64 exec, exec, vcc
	s_cbranch_execz .LBB168_17
; %bb.40:
	v_mul_lo_u32 v5, v5, s14
	s_and_saveexec_b64 s[8:9], s[0:1]
	s_cbranch_execnz .LBB168_74
; %bb.41:
	s_or_b64 exec, exec, s[8:9]
	s_and_saveexec_b64 s[8:9], s[2:3]
	s_cbranch_execnz .LBB168_75
.LBB168_42:
	s_or_b64 exec, exec, s[8:9]
	s_and_saveexec_b64 s[8:9], s[4:5]
	s_cbranch_execnz .LBB168_76
.LBB168_43:
	s_or_b64 exec, exec, s[8:9]
	s_and_saveexec_b64 s[8:9], s[6:7]
	s_cbranch_execz .LBB168_45
.LBB168_44:
	v_bfe_u32 v6, v33, 16, 1
	s_movk_i32 s11, 0x7fff
	v_add3_u32 v6, v33, v6, s11
	v_cmp_o_f32_e32 vcc, v33, v33
	v_mov_b32_e32 v7, 0x7fc0
	s_nop 0
	v_cndmask_b32_sdwa v8, v7, v6, vcc dst_sel:DWORD dst_unused:UNUSED_PAD src0_sel:DWORD src1_sel:WORD_1
	v_add_u32_e32 v6, v5, v4
	v_mov_b32_e32 v7, 0
	s_waitcnt lgkmcnt(0)
	v_lshl_add_u64 v[6:7], v[6:7], 1, s[12:13]
	global_store_short v[6:7], v8, off
.LBB168_45:
	s_or_b64 exec, exec, s[8:9]
	v_add3_u32 v5, v1, s15, 32
	v_cmp_gt_u32_e32 vcc, s10, v5
	s_and_b64 exec, exec, vcc
	s_cbranch_execz .LBB168_17
; %bb.46:
	v_mul_lo_u32 v5, v5, s14
	s_and_saveexec_b64 s[8:9], s[0:1]
	s_cbranch_execnz .LBB168_77
; %bb.47:
	s_or_b64 exec, exec, s[8:9]
	s_and_saveexec_b64 s[8:9], s[2:3]
	s_cbranch_execnz .LBB168_78
.LBB168_48:
	s_or_b64 exec, exec, s[8:9]
	s_and_saveexec_b64 s[8:9], s[4:5]
	s_cbranch_execnz .LBB168_79
.LBB168_49:
	s_or_b64 exec, exec, s[8:9]
	s_and_saveexec_b64 s[8:9], s[6:7]
	s_cbranch_execz .LBB168_51
.LBB168_50:
	v_bfe_u32 v6, v24, 16, 1
	s_movk_i32 s11, 0x7fff
	v_add3_u32 v6, v24, v6, s11
	v_cmp_o_f32_e32 vcc, v24, v24
	v_mov_b32_e32 v7, 0x7fc0
	s_nop 0
	v_cndmask_b32_sdwa v8, v7, v6, vcc dst_sel:DWORD dst_unused:UNUSED_PAD src0_sel:DWORD src1_sel:WORD_1
	v_add_u32_e32 v6, v5, v4
	v_mov_b32_e32 v7, 0
	s_waitcnt lgkmcnt(0)
	v_lshl_add_u64 v[6:7], v[6:7], 1, s[12:13]
	global_store_short v[6:7], v8, off
.LBB168_51:
	s_or_b64 exec, exec, s[8:9]
	v_add3_u32 v5, v1, s15, 40
	v_cmp_gt_u32_e32 vcc, s10, v5
	s_and_b64 exec, exec, vcc
	s_cbranch_execz .LBB168_17
; %bb.52:
	v_mul_lo_u32 v5, v5, s14
	s_and_saveexec_b64 s[8:9], s[0:1]
	s_cbranch_execnz .LBB168_80
; %bb.53:
	s_or_b64 exec, exec, s[8:9]
	s_and_saveexec_b64 s[8:9], s[2:3]
	s_cbranch_execnz .LBB168_81
.LBB168_54:
	s_or_b64 exec, exec, s[8:9]
	s_and_saveexec_b64 s[8:9], s[4:5]
	s_cbranch_execnz .LBB168_82
.LBB168_55:
	s_or_b64 exec, exec, s[8:9]
	s_and_saveexec_b64 s[8:9], s[6:7]
	s_cbranch_execz .LBB168_57
.LBB168_56:
	v_bfe_u32 v6, v25, 16, 1
	s_movk_i32 s11, 0x7fff
	v_add3_u32 v6, v25, v6, s11
	v_cmp_o_f32_e32 vcc, v25, v25
	v_mov_b32_e32 v7, 0x7fc0
	s_nop 0
	v_cndmask_b32_sdwa v8, v7, v6, vcc dst_sel:DWORD dst_unused:UNUSED_PAD src0_sel:DWORD src1_sel:WORD_1
	v_add_u32_e32 v6, v5, v4
	v_mov_b32_e32 v7, 0
	s_waitcnt lgkmcnt(0)
	v_lshl_add_u64 v[6:7], v[6:7], 1, s[12:13]
	global_store_short v[6:7], v8, off
.LBB168_57:
	s_or_b64 exec, exec, s[8:9]
	v_add3_u32 v5, v1, s15, 48
	v_cmp_gt_u32_e32 vcc, s10, v5
	s_and_b64 exec, exec, vcc
	s_cbranch_execz .LBB168_17
; %bb.58:
	v_mul_lo_u32 v5, v5, s14
	s_and_saveexec_b64 s[8:9], s[0:1]
	s_cbranch_execnz .LBB168_83
; %bb.59:
	s_or_b64 exec, exec, s[8:9]
	s_and_saveexec_b64 s[8:9], s[2:3]
	s_cbranch_execnz .LBB168_84
.LBB168_60:
	s_or_b64 exec, exec, s[8:9]
	s_and_saveexec_b64 s[8:9], s[4:5]
	s_cbranch_execnz .LBB168_85
.LBB168_61:
	s_or_b64 exec, exec, s[8:9]
	s_and_saveexec_b64 s[8:9], s[6:7]
	s_cbranch_execz .LBB168_63
.LBB168_62:
	v_bfe_u32 v6, v16, 16, 1
	s_movk_i32 s11, 0x7fff
	v_add3_u32 v6, v16, v6, s11
	v_cmp_o_f32_e32 vcc, v16, v16
	v_mov_b32_e32 v7, 0x7fc0
	s_nop 0
	v_cndmask_b32_sdwa v8, v7, v6, vcc dst_sel:DWORD dst_unused:UNUSED_PAD src0_sel:DWORD src1_sel:WORD_1
	v_add_u32_e32 v6, v5, v4
	v_mov_b32_e32 v7, 0
	s_waitcnt lgkmcnt(0)
	v_lshl_add_u64 v[6:7], v[6:7], 1, s[12:13]
	global_store_short v[6:7], v8, off
.LBB168_63:
	s_or_b64 exec, exec, s[8:9]
	v_add3_u32 v1, v1, s15, 56
	v_cmp_gt_u32_e32 vcc, s10, v1
	s_and_b64 exec, exec, vcc
	s_cbranch_execz .LBB168_17
; %bb.64:
	v_mul_lo_u32 v1, v1, s14
	s_and_saveexec_b64 s[8:9], s[0:1]
	s_cbranch_execnz .LBB168_86
; %bb.65:
	s_or_b64 exec, exec, s[8:9]
	s_and_saveexec_b64 s[0:1], s[2:3]
	s_cbranch_execnz .LBB168_87
.LBB168_66:
	s_or_b64 exec, exec, s[0:1]
	s_and_saveexec_b64 s[0:1], s[4:5]
	s_cbranch_execnz .LBB168_88
.LBB168_67:
	s_or_b64 exec, exec, s[0:1]
	s_and_b64 exec, exec, s[6:7]
	s_cbranch_execz .LBB168_17
	s_branch .LBB168_89
.LBB168_68:
	v_bfe_u32 v6, v70, 16, 1
	s_movk_i32 s11, 0x7fff
	v_add3_u32 v6, v70, v6, s11
	v_cmp_o_f32_e32 vcc, v70, v70
	v_mov_b32_e32 v7, 0x7fc0
	s_nop 0
	v_cndmask_b32_sdwa v8, v7, v6, vcc dst_sel:DWORD dst_unused:UNUSED_PAD src0_sel:DWORD src1_sel:WORD_1
	v_add_u32_e32 v6, v5, v0
	v_mov_b32_e32 v7, 0
	s_waitcnt lgkmcnt(0)
	v_lshl_add_u64 v[6:7], v[6:7], 1, s[12:13]
	global_store_short v[6:7], v8, off
	s_or_b64 exec, exec, s[8:9]
	s_and_saveexec_b64 s[8:9], s[2:3]
	s_cbranch_execz .LBB168_30
.LBB168_69:
	v_bfe_u32 v6, v78, 16, 1
	s_movk_i32 s11, 0x7fff
	v_add3_u32 v6, v78, v6, s11
	v_cmp_o_f32_e32 vcc, v78, v78
	v_mov_b32_e32 v7, 0x7fc0
	s_nop 0
	v_cndmask_b32_sdwa v8, v7, v6, vcc dst_sel:DWORD dst_unused:UNUSED_PAD src0_sel:DWORD src1_sel:WORD_1
	v_add_u32_e32 v6, v5, v2
	v_mov_b32_e32 v7, 0
	s_waitcnt lgkmcnt(0)
	v_lshl_add_u64 v[6:7], v[6:7], 1, s[12:13]
	global_store_short v[6:7], v8, off
	s_or_b64 exec, exec, s[8:9]
	s_and_saveexec_b64 s[8:9], s[4:5]
	s_cbranch_execz .LBB168_31
.LBB168_70:
	v_bfe_u32 v6, v76, 16, 1
	s_movk_i32 s11, 0x7fff
	v_add3_u32 v6, v76, v6, s11
	v_cmp_o_f32_e32 vcc, v76, v76
	v_mov_b32_e32 v7, 0x7fc0
	s_nop 0
	v_cndmask_b32_sdwa v8, v7, v6, vcc dst_sel:DWORD dst_unused:UNUSED_PAD src0_sel:DWORD src1_sel:WORD_1
	v_add_u32_e32 v6, v5, v3
	v_mov_b32_e32 v7, 0
	s_waitcnt lgkmcnt(0)
	v_lshl_add_u64 v[6:7], v[6:7], 1, s[12:13]
	global_store_short v[6:7], v8, off
	s_or_b64 exec, exec, s[8:9]
	s_and_saveexec_b64 s[8:9], s[6:7]
	s_cbranch_execnz .LBB168_32
	s_branch .LBB168_33
.LBB168_71:
	v_bfe_u32 v6, v50, 16, 1
	s_movk_i32 s11, 0x7fff
	v_add3_u32 v6, v50, v6, s11
	v_cmp_o_f32_e32 vcc, v50, v50
	v_mov_b32_e32 v7, 0x7fc0
	s_nop 0
	v_cndmask_b32_sdwa v8, v7, v6, vcc dst_sel:DWORD dst_unused:UNUSED_PAD src0_sel:DWORD src1_sel:WORD_1
	v_add_u32_e32 v6, v5, v0
	v_mov_b32_e32 v7, 0
	s_waitcnt lgkmcnt(0)
	v_lshl_add_u64 v[6:7], v[6:7], 1, s[12:13]
	global_store_short v[6:7], v8, off
	s_or_b64 exec, exec, s[8:9]
	s_and_saveexec_b64 s[8:9], s[2:3]
	s_cbranch_execz .LBB168_36
.LBB168_72:
	v_bfe_u32 v6, v40, 16, 1
	s_movk_i32 s11, 0x7fff
	v_add3_u32 v6, v40, v6, s11
	v_cmp_o_f32_e32 vcc, v40, v40
	v_mov_b32_e32 v7, 0x7fc0
	s_nop 0
	v_cndmask_b32_sdwa v8, v7, v6, vcc dst_sel:DWORD dst_unused:UNUSED_PAD src0_sel:DWORD src1_sel:WORD_1
	v_add_u32_e32 v6, v5, v2
	v_mov_b32_e32 v7, 0
	s_waitcnt lgkmcnt(0)
	v_lshl_add_u64 v[6:7], v[6:7], 1, s[12:13]
	global_store_short v[6:7], v8, off
	s_or_b64 exec, exec, s[8:9]
	s_and_saveexec_b64 s[8:9], s[4:5]
	s_cbranch_execz .LBB168_37
.LBB168_73:
	v_bfe_u32 v6, v34, 16, 1
	s_movk_i32 s11, 0x7fff
	v_add3_u32 v6, v34, v6, s11
	v_cmp_o_f32_e32 vcc, v34, v34
	v_mov_b32_e32 v7, 0x7fc0
	s_nop 0
	v_cndmask_b32_sdwa v8, v7, v6, vcc dst_sel:DWORD dst_unused:UNUSED_PAD src0_sel:DWORD src1_sel:WORD_1
	v_add_u32_e32 v6, v5, v3
	v_mov_b32_e32 v7, 0
	s_waitcnt lgkmcnt(0)
	v_lshl_add_u64 v[6:7], v[6:7], 1, s[12:13]
	global_store_short v[6:7], v8, off
	s_or_b64 exec, exec, s[8:9]
	s_and_saveexec_b64 s[8:9], s[6:7]
	s_cbranch_execnz .LBB168_38
	s_branch .LBB168_39
.LBB168_74:
	v_bfe_u32 v6, v51, 16, 1
	s_movk_i32 s11, 0x7fff
	v_add3_u32 v6, v51, v6, s11
	v_cmp_o_f32_e32 vcc, v51, v51
	v_mov_b32_e32 v7, 0x7fc0
	s_nop 0
	v_cndmask_b32_sdwa v8, v7, v6, vcc dst_sel:DWORD dst_unused:UNUSED_PAD src0_sel:DWORD src1_sel:WORD_1
	v_add_u32_e32 v6, v5, v0
	v_mov_b32_e32 v7, 0
	s_waitcnt lgkmcnt(0)
	v_lshl_add_u64 v[6:7], v[6:7], 1, s[12:13]
	global_store_short v[6:7], v8, off
	s_or_b64 exec, exec, s[8:9]
	s_and_saveexec_b64 s[8:9], s[2:3]
	s_cbranch_execz .LBB168_42
.LBB168_75:
	v_bfe_u32 v6, v41, 16, 1
	s_movk_i32 s11, 0x7fff
	v_add3_u32 v6, v41, v6, s11
	v_cmp_o_f32_e32 vcc, v41, v41
	v_mov_b32_e32 v7, 0x7fc0
	s_nop 0
	v_cndmask_b32_sdwa v8, v7, v6, vcc dst_sel:DWORD dst_unused:UNUSED_PAD src0_sel:DWORD src1_sel:WORD_1
	v_add_u32_e32 v6, v5, v2
	v_mov_b32_e32 v7, 0
	s_waitcnt lgkmcnt(0)
	v_lshl_add_u64 v[6:7], v[6:7], 1, s[12:13]
	global_store_short v[6:7], v8, off
	s_or_b64 exec, exec, s[8:9]
	s_and_saveexec_b64 s[8:9], s[4:5]
	s_cbranch_execz .LBB168_43
.LBB168_76:
	v_bfe_u32 v6, v35, 16, 1
	s_movk_i32 s11, 0x7fff
	v_add3_u32 v6, v35, v6, s11
	v_cmp_o_f32_e32 vcc, v35, v35
	v_mov_b32_e32 v7, 0x7fc0
	s_nop 0
	v_cndmask_b32_sdwa v8, v7, v6, vcc dst_sel:DWORD dst_unused:UNUSED_PAD src0_sel:DWORD src1_sel:WORD_1
	v_add_u32_e32 v6, v5, v3
	v_mov_b32_e32 v7, 0
	s_waitcnt lgkmcnt(0)
	v_lshl_add_u64 v[6:7], v[6:7], 1, s[12:13]
	global_store_short v[6:7], v8, off
	s_or_b64 exec, exec, s[8:9]
	s_and_saveexec_b64 s[8:9], s[6:7]
	s_cbranch_execnz .LBB168_44
	s_branch .LBB168_45
.LBB168_77:
	v_bfe_u32 v6, v30, 16, 1
	s_movk_i32 s11, 0x7fff
	v_add3_u32 v6, v30, v6, s11
	v_cmp_o_f32_e32 vcc, v30, v30
	v_mov_b32_e32 v7, 0x7fc0
	s_nop 0
	v_cndmask_b32_sdwa v8, v7, v6, vcc dst_sel:DWORD dst_unused:UNUSED_PAD src0_sel:DWORD src1_sel:WORD_1
	v_add_u32_e32 v6, v5, v0
	v_mov_b32_e32 v7, 0
	s_waitcnt lgkmcnt(0)
	v_lshl_add_u64 v[6:7], v[6:7], 1, s[12:13]
	global_store_short v[6:7], v8, off
	s_or_b64 exec, exec, s[8:9]
	s_and_saveexec_b64 s[8:9], s[2:3]
	s_cbranch_execz .LBB168_48
.LBB168_78:
	v_bfe_u32 v6, v28, 16, 1
	s_movk_i32 s11, 0x7fff
	v_add3_u32 v6, v28, v6, s11
	v_cmp_o_f32_e32 vcc, v28, v28
	v_mov_b32_e32 v7, 0x7fc0
	s_nop 0
	v_cndmask_b32_sdwa v8, v7, v6, vcc dst_sel:DWORD dst_unused:UNUSED_PAD src0_sel:DWORD src1_sel:WORD_1
	v_add_u32_e32 v6, v5, v2
	v_mov_b32_e32 v7, 0
	s_waitcnt lgkmcnt(0)
	v_lshl_add_u64 v[6:7], v[6:7], 1, s[12:13]
	global_store_short v[6:7], v8, off
	s_or_b64 exec, exec, s[8:9]
	s_and_saveexec_b64 s[8:9], s[4:5]
	s_cbranch_execz .LBB168_49
.LBB168_79:
	v_bfe_u32 v6, v26, 16, 1
	s_movk_i32 s11, 0x7fff
	v_add3_u32 v6, v26, v6, s11
	v_cmp_o_f32_e32 vcc, v26, v26
	v_mov_b32_e32 v7, 0x7fc0
	s_nop 0
	v_cndmask_b32_sdwa v8, v7, v6, vcc dst_sel:DWORD dst_unused:UNUSED_PAD src0_sel:DWORD src1_sel:WORD_1
	v_add_u32_e32 v6, v5, v3
	v_mov_b32_e32 v7, 0
	s_waitcnt lgkmcnt(0)
	v_lshl_add_u64 v[6:7], v[6:7], 1, s[12:13]
	global_store_short v[6:7], v8, off
	s_or_b64 exec, exec, s[8:9]
	s_and_saveexec_b64 s[8:9], s[6:7]
	s_cbranch_execnz .LBB168_50
	s_branch .LBB168_51
.LBB168_80:
	v_bfe_u32 v6, v31, 16, 1
	s_movk_i32 s11, 0x7fff
	v_add3_u32 v6, v31, v6, s11
	v_cmp_o_f32_e32 vcc, v31, v31
	v_mov_b32_e32 v7, 0x7fc0
	s_nop 0
	v_cndmask_b32_sdwa v8, v7, v6, vcc dst_sel:DWORD dst_unused:UNUSED_PAD src0_sel:DWORD src1_sel:WORD_1
	v_add_u32_e32 v6, v5, v0
	v_mov_b32_e32 v7, 0
	s_waitcnt lgkmcnt(0)
	v_lshl_add_u64 v[6:7], v[6:7], 1, s[12:13]
	global_store_short v[6:7], v8, off
	s_or_b64 exec, exec, s[8:9]
	s_and_saveexec_b64 s[8:9], s[2:3]
	s_cbranch_execz .LBB168_54
.LBB168_81:
	v_bfe_u32 v6, v29, 16, 1
	s_movk_i32 s11, 0x7fff
	v_add3_u32 v6, v29, v6, s11
	v_cmp_o_f32_e32 vcc, v29, v29
	v_mov_b32_e32 v7, 0x7fc0
	s_nop 0
	v_cndmask_b32_sdwa v8, v7, v6, vcc dst_sel:DWORD dst_unused:UNUSED_PAD src0_sel:DWORD src1_sel:WORD_1
	v_add_u32_e32 v6, v5, v2
	v_mov_b32_e32 v7, 0
	s_waitcnt lgkmcnt(0)
	v_lshl_add_u64 v[6:7], v[6:7], 1, s[12:13]
	global_store_short v[6:7], v8, off
	s_or_b64 exec, exec, s[8:9]
	s_and_saveexec_b64 s[8:9], s[4:5]
	s_cbranch_execz .LBB168_55
.LBB168_82:
	v_bfe_u32 v6, v27, 16, 1
	s_movk_i32 s11, 0x7fff
	v_add3_u32 v6, v27, v6, s11
	v_cmp_o_f32_e32 vcc, v27, v27
	v_mov_b32_e32 v7, 0x7fc0
	s_nop 0
	v_cndmask_b32_sdwa v8, v7, v6, vcc dst_sel:DWORD dst_unused:UNUSED_PAD src0_sel:DWORD src1_sel:WORD_1
	v_add_u32_e32 v6, v5, v3
	v_mov_b32_e32 v7, 0
	s_waitcnt lgkmcnt(0)
	v_lshl_add_u64 v[6:7], v[6:7], 1, s[12:13]
	global_store_short v[6:7], v8, off
	s_or_b64 exec, exec, s[8:9]
	s_and_saveexec_b64 s[8:9], s[6:7]
	s_cbranch_execnz .LBB168_56
	s_branch .LBB168_57
.LBB168_83:
	v_bfe_u32 v6, v22, 16, 1
	s_movk_i32 s11, 0x7fff
	v_add3_u32 v6, v22, v6, s11
	v_cmp_o_f32_e32 vcc, v22, v22
	v_mov_b32_e32 v7, 0x7fc0
	s_nop 0
	v_cndmask_b32_sdwa v8, v7, v6, vcc dst_sel:DWORD dst_unused:UNUSED_PAD src0_sel:DWORD src1_sel:WORD_1
	v_add_u32_e32 v6, v5, v0
	v_mov_b32_e32 v7, 0
	s_waitcnt lgkmcnt(0)
	v_lshl_add_u64 v[6:7], v[6:7], 1, s[12:13]
	global_store_short v[6:7], v8, off
	s_or_b64 exec, exec, s[8:9]
	s_and_saveexec_b64 s[8:9], s[2:3]
	s_cbranch_execz .LBB168_60
.LBB168_84:
	v_bfe_u32 v6, v20, 16, 1
	s_movk_i32 s11, 0x7fff
	v_add3_u32 v6, v20, v6, s11
	v_cmp_o_f32_e32 vcc, v20, v20
	v_mov_b32_e32 v7, 0x7fc0
	s_nop 0
	v_cndmask_b32_sdwa v8, v7, v6, vcc dst_sel:DWORD dst_unused:UNUSED_PAD src0_sel:DWORD src1_sel:WORD_1
	v_add_u32_e32 v6, v5, v2
	v_mov_b32_e32 v7, 0
	s_waitcnt lgkmcnt(0)
	v_lshl_add_u64 v[6:7], v[6:7], 1, s[12:13]
	global_store_short v[6:7], v8, off
	s_or_b64 exec, exec, s[8:9]
	s_and_saveexec_b64 s[8:9], s[4:5]
	s_cbranch_execz .LBB168_61
.LBB168_85:
	v_bfe_u32 v6, v18, 16, 1
	s_movk_i32 s11, 0x7fff
	v_add3_u32 v6, v18, v6, s11
	v_cmp_o_f32_e32 vcc, v18, v18
	v_mov_b32_e32 v7, 0x7fc0
	s_nop 0
	v_cndmask_b32_sdwa v8, v7, v6, vcc dst_sel:DWORD dst_unused:UNUSED_PAD src0_sel:DWORD src1_sel:WORD_1
	v_add_u32_e32 v6, v5, v3
	v_mov_b32_e32 v7, 0
	s_waitcnt lgkmcnt(0)
	v_lshl_add_u64 v[6:7], v[6:7], 1, s[12:13]
	global_store_short v[6:7], v8, off
	s_or_b64 exec, exec, s[8:9]
	s_and_saveexec_b64 s[8:9], s[6:7]
	s_cbranch_execnz .LBB168_62
	s_branch .LBB168_63
.LBB168_86:
	v_bfe_u32 v5, v23, 16, 1
	s_movk_i32 s0, 0x7fff
	v_add3_u32 v5, v23, v5, s0
	v_cmp_o_f32_e32 vcc, v23, v23
	v_mov_b32_e32 v6, 0x7fc0
	v_mov_b32_e32 v7, 0
	v_cndmask_b32_sdwa v5, v6, v5, vcc dst_sel:DWORD dst_unused:UNUSED_PAD src0_sel:DWORD src1_sel:WORD_1
	v_add_u32_e32 v6, v1, v0
	s_waitcnt lgkmcnt(0)
	v_lshl_add_u64 v[6:7], v[6:7], 1, s[12:13]
	global_store_short v[6:7], v5, off
	s_or_b64 exec, exec, s[8:9]
	s_and_saveexec_b64 s[0:1], s[2:3]
	s_cbranch_execz .LBB168_66
.LBB168_87:
	v_bfe_u32 v0, v21, 16, 1
	s_movk_i32 s2, 0x7fff
	v_add3_u32 v0, v21, v0, s2
	v_cmp_o_f32_e32 vcc, v21, v21
	v_mov_b32_e32 v5, 0x7fc0
	v_add_u32_e32 v6, v1, v2
	v_mov_b32_e32 v7, 0
	v_cndmask_b32_sdwa v0, v5, v0, vcc dst_sel:DWORD dst_unused:UNUSED_PAD src0_sel:DWORD src1_sel:WORD_1
	s_waitcnt lgkmcnt(0)
	v_lshl_add_u64 v[6:7], v[6:7], 1, s[12:13]
	global_store_short v[6:7], v0, off
	s_or_b64 exec, exec, s[0:1]
	s_and_saveexec_b64 s[0:1], s[4:5]
	s_cbranch_execz .LBB168_67
.LBB168_88:
	v_bfe_u32 v0, v19, 16, 1
	s_movk_i32 s2, 0x7fff
	v_add3_u32 v0, v19, v0, s2
	v_cmp_o_f32_e32 vcc, v19, v19
	v_mov_b32_e32 v2, 0x7fc0
	s_nop 0
	v_cndmask_b32_sdwa v0, v2, v0, vcc dst_sel:DWORD dst_unused:UNUSED_PAD src0_sel:DWORD src1_sel:WORD_1
	v_add_u32_e32 v2, v1, v3
	v_mov_b32_e32 v3, 0
	s_waitcnt lgkmcnt(0)
	v_lshl_add_u64 v[2:3], v[2:3], 1, s[12:13]
	global_store_short v[2:3], v0, off
	s_or_b64 exec, exec, s[0:1]
	s_and_b64 exec, exec, s[6:7]
	s_cbranch_execz .LBB168_17
.LBB168_89:
	v_bfe_u32 v0, v17, 16, 1
	s_movk_i32 s0, 0x7fff
	v_add3_u32 v0, v17, v0, s0
	v_cmp_o_f32_e32 vcc, v17, v17
	v_mov_b32_e32 v2, 0x7fc0
	s_nop 0
	v_cndmask_b32_sdwa v2, v2, v0, vcc dst_sel:DWORD dst_unused:UNUSED_PAD src0_sel:DWORD src1_sel:WORD_1
	v_add_u32_e32 v0, v1, v4
	v_mov_b32_e32 v1, 0
	s_waitcnt lgkmcnt(0)
	v_lshl_add_u64 v[0:1], v[0:1], 1, s[12:13]
	global_store_short v[0:1], v2, off
	s_endpgm
	.section	.rodata,"a",@progbits
	.p2align	6, 0x0
	.amdhsa_kernel _ZL12mul_mat_q2_KIN3c108BFloat16ELb1EEvPKvS3_PT_iiiii
		.amdhsa_group_segment_fixed_size 31392
		.amdhsa_private_segment_fixed_size 0
		.amdhsa_kernarg_size 44
		.amdhsa_user_sgpr_count 2
		.amdhsa_user_sgpr_dispatch_ptr 0
		.amdhsa_user_sgpr_queue_ptr 0
		.amdhsa_user_sgpr_kernarg_segment_ptr 1
		.amdhsa_user_sgpr_dispatch_id 0
		.amdhsa_user_sgpr_kernarg_preload_length 0
		.amdhsa_user_sgpr_kernarg_preload_offset 0
		.amdhsa_user_sgpr_private_segment_size 0
		.amdhsa_uses_dynamic_stack 0
		.amdhsa_enable_private_segment 0
		.amdhsa_system_sgpr_workgroup_id_x 1
		.amdhsa_system_sgpr_workgroup_id_y 1
		.amdhsa_system_sgpr_workgroup_id_z 0
		.amdhsa_system_sgpr_workgroup_info 0
		.amdhsa_system_vgpr_workitem_id 1
		.amdhsa_next_free_vgpr 215
		.amdhsa_next_free_sgpr 96
		.amdhsa_accum_offset 216
		.amdhsa_reserve_vcc 1
		.amdhsa_float_round_mode_32 0
		.amdhsa_float_round_mode_16_64 0
		.amdhsa_float_denorm_mode_32 3
		.amdhsa_float_denorm_mode_16_64 3
		.amdhsa_dx10_clamp 1
		.amdhsa_ieee_mode 1
		.amdhsa_fp16_overflow 0
		.amdhsa_tg_split 0
		.amdhsa_exception_fp_ieee_invalid_op 0
		.amdhsa_exception_fp_denorm_src 0
		.amdhsa_exception_fp_ieee_div_zero 0
		.amdhsa_exception_fp_ieee_overflow 0
		.amdhsa_exception_fp_ieee_underflow 0
		.amdhsa_exception_fp_ieee_inexact 0
		.amdhsa_exception_int_div_zero 0
	.end_amdhsa_kernel
	.section	.text._ZL12mul_mat_q2_KIN3c108BFloat16ELb1EEvPKvS3_PT_iiiii,"axG",@progbits,_ZL12mul_mat_q2_KIN3c108BFloat16ELb1EEvPKvS3_PT_iiiii,comdat
.Lfunc_end168:
	.size	_ZL12mul_mat_q2_KIN3c108BFloat16ELb1EEvPKvS3_PT_iiiii, .Lfunc_end168-_ZL12mul_mat_q2_KIN3c108BFloat16ELb1EEvPKvS3_PT_iiiii
                                        ; -- End function
	.set _ZL12mul_mat_q2_KIN3c108BFloat16ELb1EEvPKvS3_PT_iiiii.num_vgpr, 215
	.set _ZL12mul_mat_q2_KIN3c108BFloat16ELb1EEvPKvS3_PT_iiiii.num_agpr, 0
	.set _ZL12mul_mat_q2_KIN3c108BFloat16ELb1EEvPKvS3_PT_iiiii.numbered_sgpr, 19
	.set _ZL12mul_mat_q2_KIN3c108BFloat16ELb1EEvPKvS3_PT_iiiii.num_named_barrier, 0
	.set _ZL12mul_mat_q2_KIN3c108BFloat16ELb1EEvPKvS3_PT_iiiii.private_seg_size, 0
	.set _ZL12mul_mat_q2_KIN3c108BFloat16ELb1EEvPKvS3_PT_iiiii.uses_vcc, 1
	.set _ZL12mul_mat_q2_KIN3c108BFloat16ELb1EEvPKvS3_PT_iiiii.uses_flat_scratch, 0
	.set _ZL12mul_mat_q2_KIN3c108BFloat16ELb1EEvPKvS3_PT_iiiii.has_dyn_sized_stack, 0
	.set _ZL12mul_mat_q2_KIN3c108BFloat16ELb1EEvPKvS3_PT_iiiii.has_recursion, 0
	.set _ZL12mul_mat_q2_KIN3c108BFloat16ELb1EEvPKvS3_PT_iiiii.has_indirect_call, 0
	.section	.AMDGPU.csdata,"",@progbits
; Kernel info:
; codeLenInByte = 26952
; TotalNumSgprs: 25
; NumVgprs: 215
; NumAgprs: 0
; TotalNumVgprs: 215
; ScratchSize: 0
; MemoryBound: 0
; FloatMode: 240
; IeeeMode: 1
; LDSByteSize: 31392 bytes/workgroup (compile time only)
; SGPRBlocks: 12
; VGPRBlocks: 26
; NumSGPRsForWavesPerEU: 102
; NumVGPRsForWavesPerEU: 215
; AccumOffset: 216
; Occupancy: 2
; WaveLimiterHint : 0
; COMPUTE_PGM_RSRC2:SCRATCH_EN: 0
; COMPUTE_PGM_RSRC2:USER_SGPR: 2
; COMPUTE_PGM_RSRC2:TRAP_HANDLER: 0
; COMPUTE_PGM_RSRC2:TGID_X_EN: 1
; COMPUTE_PGM_RSRC2:TGID_Y_EN: 1
; COMPUTE_PGM_RSRC2:TGID_Z_EN: 0
; COMPUTE_PGM_RSRC2:TIDIG_COMP_CNT: 1
; COMPUTE_PGM_RSRC3_GFX90A:ACCUM_OFFSET: 53
; COMPUTE_PGM_RSRC3_GFX90A:TG_SPLIT: 0
	.section	.text._ZL12mul_mat_q3_KIN3c108BFloat16ELb0EEvPKvS3_PT_iiiii,"axG",@progbits,_ZL12mul_mat_q3_KIN3c108BFloat16ELb0EEvPKvS3_PT_iiiii,comdat
	.globl	_ZL12mul_mat_q3_KIN3c108BFloat16ELb0EEvPKvS3_PT_iiiii ; -- Begin function _ZL12mul_mat_q3_KIN3c108BFloat16ELb0EEvPKvS3_PT_iiiii
	.p2align	8
	.type	_ZL12mul_mat_q3_KIN3c108BFloat16ELb0EEvPKvS3_PT_iiiii,@function
_ZL12mul_mat_q3_KIN3c108BFloat16ELb0EEvPKvS3_PT_iiiii: ; @_ZL12mul_mat_q3_KIN3c108BFloat16ELb0EEvPKvS3_PT_iiiii
; %bb.0:
	s_load_dword s7, s[0:1], 0x18
	s_load_dwordx4 s[8:11], s[0:1], 0x20
	s_waitcnt lgkmcnt(0)
	s_lshl_b32 s11, s3, 6
	v_bfe_u32 v45, v0, 10, 10
	s_cmpk_gt_i32 s7, 0xff
	s_cbranch_scc1 .LBB169_2
; %bb.1:
	v_bfe_u32 v32, v0, 10, 10
	v_and_b32_e32 v41, 0x3ff, v0
	v_add_u32_e32 v89, s11, v32
	s_mov_b64 s[4:5], 0
	s_branch .LBB169_3
.LBB169_2:
	s_mov_b64 s[4:5], -1
                                        ; implicit-def: $vgpr32
                                        ; implicit-def: $vgpr41
                                        ; implicit-def: $vgpr89
.LBB169_3:
	s_load_dwordx2 s[12:13], s[0:1], 0x10
	s_lshl_b32 s6, s2, 7
	s_andn2_b64 vcc, exec, s[4:5]
	s_mov_b32 s4, 0
	s_cbranch_vccnz .LBB169_16
; %bb.4:
	s_ashr_i32 s5, s7, 31
	s_lshr_b32 s5, s5, 24
	s_load_dwordx4 s[0:3], s[0:1], 0x0
	s_add_i32 s7, s7, s5
	s_ashr_i32 s5, s7, 8
	s_ashr_i32 s7, s9, 31
	s_lshr_b32 s7, s7, 27
	s_add_i32 s7, s9, s7
	s_mul_i32 s9, s5, s6
	s_ashr_i32 s14, s7, 5
	s_mul_hi_i32 s15, s9, 0x6e
	s_mulk_i32 s9, 0x6e
	s_waitcnt lgkmcnt(0)
	s_add_u32 s0, s0, s9
	s_addc_u32 s1, s1, s15
	s_lshl_b32 s17, s5, 3
	v_mov_b32_e32 v2, s17
	v_lshlrev_b32_e32 v8, 4, v45
	v_bfe_u32 v9, v0, 1, 9
	v_and_b32_e32 v41, 0x3ff, v0
	v_mad_i32_i24 v46, s5, v45, v2
	v_and_b32_e32 v58, 1, v0
	v_add_u32_e32 v2, v9, v8
	v_lshlrev_b32_e32 v3, 2, v41
	s_movk_i32 s9, 0x84
	v_and_b32_e32 v4, 0x7f, v2
	v_lshlrev_b32_e32 v5, 2, v58
	v_lshrrev_b32_e32 v2, 2, v2
	v_mad_u32_u24 v47, v45, s9, v3
	v_mul_i32_i24_e32 v60, s5, v4
	v_lshl_or_b32 v4, v4, 3, v5
	v_and_b32_e32 v2, 28, v2
	s_mov_b32 s9, 0x9380
	v_bfe_u32 v40, v0, 4, 6
	v_add3_u32 v87, v4, v2, s9
	v_lshlrev_b32_e32 v2, 1, v45
	v_add_u32_e32 v4, v40, v2
	v_add_u16_e32 v2, v40, v2
	v_and_b32_e32 v1, 15, v0
	v_lshrrev_b16_e32 v2, 1, v2
	v_lshlrev_b32_e32 v42, 2, v1
	v_lshlrev_b32_e32 v2, 2, v2
	s_movk_i32 s9, 0x4200
	s_lshl_b32 s18, s5, 4
	v_add3_u32 v11, v2, v42, s9
	v_add_u32_e32 v2, 16, v4
	v_mov_b32_e32 v5, s18
	v_mad_i32_i24 v66, s5, v4, v5
	v_lshlrev_b32_e32 v5, 1, v2
	v_and_b32_e32 v5, 0xffc, v5
	v_lshlrev_b32_e32 v14, 6, v2
	v_add_u32_e32 v2, 32, v4
	v_add3_u32 v13, v5, v42, s9
	v_lshlrev_b32_e32 v5, 1, v2
	v_and_b32_e32 v5, 0xffc, v5
	v_lshlrev_b32_e32 v16, 6, v2
	v_add_u32_e32 v2, 48, v4
	v_add3_u32 v15, v5, v42, s9
	;; [unrolled: 5-line block ×5, first 2 shown]
	v_lshlrev_b32_e32 v5, 1, v2
	v_lshlrev_b32_e32 v24, 6, v2
	v_add_u32_e32 v2, 0x70, v4
	v_mul_i32_i24_e32 v64, s5, v4
	v_lshlrev_b32_e32 v12, 6, v4
	v_and_b32_e32 v5, 0xffc, v5
	v_lshlrev_b32_e32 v4, 1, v2
	v_lshlrev_b32_e32 v26, 6, v2
	v_and_b32_e32 v2, 3, v0
	v_add3_u32 v23, v5, v42, s9
	v_and_b32_e32 v4, 0xffc, v4
	v_bfe_u32 v91, v0, 3, 7
	v_add_u16_e32 v5, -2, v2
	v_cmp_gt_u32_e32 vcc, 2, v2
	v_and_b32_e32 v10, 7, v0
	v_add3_u32 v25, v4, v42, s9
	v_lshl_add_u32 v4, v45, 2, v91
	v_cndmask_b32_e32 v5, v5, v2, vcc
	v_mov_b32_e32 v6, 2
	v_lshlrev_b32_e32 v62, 2, v10
	v_lshlrev_b32_sdwa v68, v6, v5 dst_sel:DWORD dst_unused:UNUSED_PAD src0_sel:DWORD src1_sel:BYTE_0
	v_and_b32_e32 v5, 0x7fc, v4
	s_mov_b32 s15, 0x8300
	s_lshl_b32 s19, s5, 5
	v_add3_u32 v28, v5, v62, s15
	v_add_u32_e32 v5, 32, v4
	v_mov_b32_e32 v6, s19
	v_mad_i32_i24 v72, s5, v4, v6
	v_and_b32_e32 v6, 0xffc, v5
	v_lshlrev_b32_e32 v31, 5, v5
	v_add_u32_e32 v5, 64, v4
	v_add3_u32 v30, v6, v62, s15
	v_and_b32_e32 v6, 0xffc, v5
	v_add3_u32 v32, v6, v62, s15
	v_and_b32_e32 v36, 31, v0
	v_and_b32_e32 v6, 28, v3
	v_mov_b32_e32 v3, 0x6300
	v_lshl_or_b32 v36, v36, 2, v3
	v_bfe_u32 v3, v0, 2, 8
	v_mul_i32_i24_e32 v70, s5, v4
	v_lshlrev_b32_e32 v29, 5, v4
	v_add_u32_e32 v4, 0x60, v4
	v_lshl_add_u32 v3, v45, 3, v3
	v_lshlrev_b32_e32 v33, 5, v5
	v_and_b32_e32 v5, 0xffc, v4
	v_and_b32_e32 v3, 63, v3
	v_add3_u32 v34, v5, v62, s15
	s_add_i32 s15, s8, -1
	v_or_b32_e32 v37, s11, v3
	v_min_i32_e32 v37, s15, v37
	v_lshlrev_b32_e32 v95, 1, v2
	v_mad_u64_u32 v[74:75], s[20:21], v37, s14, v[2:3]
	v_lshlrev_b32_e32 v2, 2, v2
	v_add_u32_e32 v89, s11, v45
	v_lshl_or_b32 v2, v3, 4, v2
	v_lshlrev_b32_e32 v35, 5, v4
	v_cvt_f64_i32_e32 v[4:5], s15
	v_add_u32_e32 v75, 0x97a0, v2
	v_cvt_f64_u32_e32 v[2:3], v89
	v_min_f64 v[2:3], v[2:3], v[4:5]
	v_cvt_i32_f64_e32 v2, v[2:3]
	v_mul_lo_u32 v97, s14, v2
	v_add_u32_e32 v2, 8, v89
	v_cvt_f64_u32_e32 v[2:3], v2
	v_min_f64 v[2:3], v[2:3], v[4:5]
	v_cvt_i32_f64_e32 v2, v[2:3]
	v_mul_lo_u32 v99, s14, v2
	;; [unrolled: 5-line block ×5, first 2 shown]
	v_add_u32_e32 v2, 40, v89
	v_cvt_f64_u32_e32 v[2:3], v2
	v_min_f64 v[2:3], v[2:3], v[4:5]
	v_add_u32_e32 v48, s17, v46
	v_cvt_i32_f64_e32 v2, v[2:3]
	v_add_u32_e32 v50, s17, v48
	v_mul_lo_u32 v107, s14, v2
	v_add_u32_e32 v2, 48, v89
	v_add_u32_e32 v52, s17, v50
	v_cvt_f64_u32_e32 v[2:3], v2
	v_add_u32_e32 v54, s17, v52
	v_lshlrev_b32_e32 v37, 7, v45
	v_min_f64 v[2:3], v[2:3], v[4:5]
	v_add_u32_e32 v56, s17, v54
	v_add_u32_e32 v78, 0xc00, v37
	v_cvt_i32_f64_e32 v2, v[2:3]
	v_add_u32_e32 v80, 0x1000, v37
	v_mul_lo_u32 v109, s14, v2
	v_add_u32_e32 v2, 56, v89
	v_add_u32_e32 v170, v36, v78
	;; [unrolled: 1-line block ×4, first 2 shown]
	v_cvt_f64_u32_e32 v[2:3], v2
	v_add_u32_e32 v171, v36, v80
	v_add_u32_e32 v80, s17, v78
	;; [unrolled: 1-line block ×3, first 2 shown]
	v_min_f64 v[2:3], v[2:3], v[4:5]
	v_add_u32_e32 v4, 32, v41
	v_add_u32_e32 v172, v36, v82
	;; [unrolled: 1-line block ×3, first 2 shown]
	v_cvt_i32_f64_e32 v2, v[2:3]
	v_lshlrev_b32_e32 v3, 5, v41
	v_lshrrev_b32_e32 v86, 4, v4
	v_add_u32_e32 v76, 64, v41
	v_and_b32_e32 v0, 0xfc, v0
	v_add_u32_e32 v173, v36, v84
	v_add_u32_e32 v84, s17, v82
	;; [unrolled: 1-line block ×3, first 2 shown]
	v_lshrrev_b32_e32 v88, 1, v76
	v_add_u32_e32 v121, v3, v0
	v_and_b32_e32 v0, 0x1fc, v4
	v_lshlrev_b32_e32 v179, 2, v86
	v_add_u32_e32 v86, s17, v84
	v_add_u32_e32 v100, s18, v98
	v_mov_b32_e32 v43, 0
	v_lshrrev_b32_e32 v90, 4, v76
	v_add_u32_e32 v77, 0x60, v41
	v_add_u32_e32 v123, v3, v0
	v_and_b32_e32 v0, 0x1fc, v76
	v_lshlrev_b32_e32 v180, 2, v88
	v_add_u32_e32 v88, s17, v86
	v_add_u32_e32 v102, s18, v100
	v_lshlrev_b32_e32 v27, 1, v41
	v_mov_b32_e32 v7, v43
	v_mul_lo_u32 v111, s14, v2
	v_add_u32_e32 v2, 0x1c00, v37
	v_lshrrev_b32_e32 v5, 1, v4
	v_lshrrev_b32_e32 v92, 1, v77
	v_add_u32_e32 v140, v3, v0
	v_and_b32_e32 v0, 0x1fc, v77
	v_add_u32_e32 v147, v15, v16
	v_add_u32_e32 v152, v17, v18
	;; [unrolled: 1-line block ×3, first 2 shown]
	v_mov_b32_e32 v16, v43
	v_mov_b32_e32 v17, v43
	;; [unrolled: 1-line block ×4, first 2 shown]
	v_lshlrev_b32_e32 v181, 2, v90
	v_add_u32_e32 v90, s17, v88
	v_cmp_lt_u32_e32 vcc, 7, v1
	v_add_u32_e32 v104, s18, v102
	v_and_b32_e32 v93, 4, v27
	v_add_u32_e32 v38, 0x400, v37
	v_add_u32_e32 v39, 0x800, v37
	v_lshrrev_b32_e32 v94, 4, v77
	v_lshlrev_b32_e32 v117, 6, v4
	v_lshlrev_b32_e32 v119, 3, v4
	v_add_u32_e32 v141, v3, v0
	v_lshlrev_b32_e32 v142, 6, v76
	v_add_u32_e32 v143, v11, v12
	;; [unrolled: 2-line block ×3, first 2 shown]
	v_lshlrev_b32_e32 v146, 6, v77
	v_lshlrev_b32_e32 v148, 3, v77
	v_lshrrev_b32_e32 v149, 3, v4
	v_lshrrev_b32_e32 v150, 3, v76
	;; [unrolled: 1-line block ×3, first 2 shown]
	v_lshl_add_u64 v[76:77], s[2:3], 0, v[6:7]
	v_add_u32_e32 v156, v21, v22
	v_add_u32_e32 v158, v23, v24
	;; [unrolled: 1-line block ×7, first 2 shown]
	v_lshlrev_b32_e32 v175, 2, v9
	v_lshlrev_b32_e32 v177, 2, v27
	v_lshlrev_b32_e32 v178, 2, v5
	v_lshlrev_b32_e32 v182, 2, v92
	v_add_u32_e32 v92, s17, v90
	v_cndmask_b32_e64 v96, 0, 1, vcc
	v_add_u32_e32 v106, s18, v104
	v_cmp_lt_u32_e32 vcc, 3, v10
	v_add_u32_e32 v112, s19, v72
	v_mov_b64_e32 v[12:13], v[16:17]
	v_mov_b64_e32 v[30:31], v[18:19]
	;; [unrolled: 1-line block ×7, first 2 shown]
	s_movk_i32 s7, 0x6e
	v_mul_i32_i24_e32 v44, s5, v45
	v_add_u32_e32 v49, 0x420, v47
	v_add_u32_e32 v51, 0x840, v47
	;; [unrolled: 1-line block ×15, first 2 shown]
	v_mov_b32_e32 v63, v43
	s_movk_i32 s9, 0xff
	v_mov_b32_e32 v69, v43
	v_mul_u32_u24_e32 v113, 0x84, v41
	v_lshlrev_b32_e32 v115, 6, v41
	v_add_u32_e32 v153, 0x8300, v121
	v_add_u32_e32 v155, 0x8700, v123
	;; [unrolled: 1-line block ×7, first 2 shown]
	s_mov_b32 s14, 0x30303030
	s_movk_i32 s15, 0xe000
	s_movk_i32 s16, 0x3f00
	v_add_u32_e32 v167, v36, v37
	v_add_u32_e32 v168, v36, v38
	;; [unrolled: 1-line block ×3, first 2 shown]
	v_lshlrev_b32_e32 v176, 2, v40
	v_lshlrev_b32_e32 v183, 2, v94
	v_add_u32_e32 v94, s17, v92
	v_add_u32_e32 v108, s18, v106
	v_cndmask_b32_e64 v110, 0, 1, vcc
	v_add_u32_e32 v114, s19, v112
	v_mov_b64_e32 v[14:15], v[18:19]
	v_mov_b64_e32 v[28:29], v[16:17]
	;; [unrolled: 1-line block ×7, first 2 shown]
	s_branch .LBB169_6
.LBB169_5:                              ;   in Loop: Header=BB169_6 Depth=1
	s_add_i32 s4, s4, 2
	s_cmp_ge_i32 s4, s5
	s_cbranch_scc1 .LBB169_18
.LBB169_6:                              ; =>This Loop Header: Depth=1
                                        ;     Child Loop BB169_7 Depth 2
                                        ;     Child Loop BB169_9 Depth 2
	;; [unrolled: 1-line block ×4, first 2 shown]
	s_mul_i32 s18, s4, 0x6e
	s_mul_hi_u32 s17, s4, 0x6e
	s_add_u32 s18, s0, s18
	s_addc_u32 s19, s1, s17
	v_mov_b64_e32 v[32:33], s[18:19]
	v_mad_u64_u32 v[34:35], s[18:19], v40, s7, v[32:33]
	v_mad_u64_u32 v[36:37], s[18:19], v44, s7, v[34:35]
	;; [unrolled: 1-line block ×9, first 2 shown]
	v_lshl_add_u64 v[36:37], v[36:37], 0, v[42:43]
	v_lshl_add_u64 v[38:39], v[38:39], 0, v[42:43]
	;; [unrolled: 1-line block ×8, first 2 shown]
	global_load_dword v116, v[36:37], off offset:32
	global_load_dword v118, v[38:39], off offset:32
	;; [unrolled: 1-line block ×7, first 2 shown]
	s_nop 0
	global_load_dword v134, v[134:135], off offset:32
	v_mad_u64_u32 v[36:37], s[18:19], v80, s7, v[34:35]
	v_mad_u64_u32 v[38:39], s[18:19], v82, s7, v[34:35]
	;; [unrolled: 1-line block ×8, first 2 shown]
	v_lshl_add_u64 v[36:37], v[36:37], 0, v[42:43]
	v_lshl_add_u64 v[132:133], v[132:133], 0, v[42:43]
	;; [unrolled: 1-line block ×8, first 2 shown]
	global_load_dword v135, v[36:37], off offset:32
	global_load_dword v139, v[38:39], off offset:32
	;; [unrolled: 1-line block ×6, first 2 shown]
	s_nop 0
	global_load_dword v132, v[132:133], off offset:32
	s_nop 0
	global_load_dword v133, v[34:35], off offset:32
	v_mad_u64_u32 v[34:35], s[18:19], v60, s7, v[32:33]
	v_mad_u64_u32 v[36:37], s[18:19], v96, s7, v[32:33]
	;; [unrolled: 1-line block ×3, first 2 shown]
	v_lshl_add_u64 v[36:37], v[36:37], 0, v[62:63]
	v_mad_u64_u32 v[38:39], s[18:19], v64, s7, v[36:37]
	global_load_ushort v188, v[34:35], off offset:108
	global_load_dword v189, v[38:39], off
	v_mad_u64_u32 v[34:35], s[18:19], v66, s7, v[36:37]
	v_mad_u64_u32 v[124:125], s[18:19], v100, s7, v[36:37]
	;; [unrolled: 1-line block ×6, first 2 shown]
	global_load_dword v190, v[34:35], off
	global_load_dword v191, v[38:39], off
	s_nop 0
	global_load_dword v124, v[124:125], off
	s_nop 0
	;; [unrolled: 2-line block ×3, first 2 shown]
	global_load_dword v126, v[128:129], off
	global_load_dword v127, v[130:131], off
	v_mad_u64_u32 v[34:35], s[18:19], v108, s7, v[36:37]
	global_load_dword v128, v[34:35], off
	v_mad_u64_u32 v[32:33], s[18:19], v110, s7, v[32:33]
	v_mad_u64_u32 v[34:35], s[18:19], v70, s7, v[32:33]
	v_lshl_add_u64 v[36:37], v[34:35], 0, v[68:69]
	global_load_dword v129, v[36:37], off offset:96
	v_mad_u64_u32 v[36:37], s[18:19], v72, s7, v[32:33]
	v_mad_u64_u32 v[38:39], s[18:19], v112, s7, v[32:33]
	;; [unrolled: 1-line block ×3, first 2 shown]
	global_load_dword v130, v[32:33], off offset:104
	global_load_dword v131, v[38:39], off offset:104
	;; [unrolled: 1-line block ×4, first 2 shown]
	v_lshl_add_u64 v[34:35], v[36:37], 0, v[68:69]
	v_lshl_add_u64 v[36:37], v[38:39], 0, v[68:69]
	global_load_dword v194, v[34:35], off offset:96
	global_load_dword v195, v[36:37], off offset:96
	s_waitcnt vmcnt(31)
	ds_write_b32 v47, v116
	s_waitcnt vmcnt(30)
	ds_write_b32 v49, v118
	;; [unrolled: 2-line block ×13, first 2 shown]
	v_lshl_add_u64 v[32:33], v[32:33], 0, v[68:69]
	s_lshl_b32 s17, s4, 3
	v_add_u32_e32 v120, s17, v91
	v_add_u32_e32 v122, v120, v105
	;; [unrolled: 1-line block ×5, first 2 shown]
	v_mad_i64_i32 v[36:37], s[18:19], v36, 36, v[76:77]
	v_mad_i64_i32 v[38:39], s[18:19], v38, 36, v[76:77]
	s_waitcnt vmcnt(15)
	v_cvt_f32_f16_e32 v34, v188
	ds_write_b32 v81, v187
	ds_write_b32 v83, v132
	;; [unrolled: 1-line block ×4, first 2 shown]
	global_load_dword v118, v[32:33], off offset:96
	s_waitcnt vmcnt(15)
	v_not_b32_e32 v34, v189
	ds_write_b32 v143, v34
	v_add_u32_e32 v32, v120, v97
	v_mad_i64_i32 v[32:33], s[18:19], v32, 36, v[76:77]
	v_mov_b32_e32 v138, v162
	s_waitcnt vmcnt(14)
	v_not_b32_e32 v34, v190
	ds_write_b32 v145, v34
	s_waitcnt vmcnt(13)
	v_not_b32_e32 v34, v191
	ds_write_b32 v147, v34
	;; [unrolled: 3-line block ×7, first 2 shown]
	v_add_u32_e32 v34, v120, v99
	v_mad_i64_i32 v[34:35], s[18:19], v34, 36, v[76:77]
	v_mad_i64_i32 v[124:125], s[18:19], v122, 36, v[76:77]
	global_load_dword v122, v[32:33], off offset:4
	global_load_dword v126, v[34:35], off offset:4
	global_load_dword v127, v[36:37], off offset:4
	global_load_dword v128, v[38:39], off offset:4
	s_nop 0
	global_load_dword v124, v[124:125], off offset:4
	v_add_u32_e32 v32, v120, v107
	v_add_u32_e32 v34, v120, v109
	v_mad_i64_i32 v[32:33], s[18:19], v32, 36, v[76:77]
	v_mad_i64_i32 v[34:35], s[18:19], v34, 36, v[76:77]
	v_add_u32_e32 v36, v120, v111
	v_mad_u64_u32 v[38:39], s[18:19], v184, 36, s[2:3]
	v_mad_i64_i32 v[36:37], s[18:19], v36, 36, v[76:77]
	global_load_dword v38, v[38:39], off
	s_nop 0
	global_load_dword v32, v[32:33], off offset:4
	s_nop 0
	global_load_dword v33, v[34:35], off offset:4
	;; [unrolled: 2-line block ×3, first 2 shown]
	s_waitcnt vmcnt(16)
	v_ashrrev_i32_e32 v116, v93, v129
	s_waitcnt vmcnt(12)
	v_ashrrev_i32_e32 v36, v95, v193
	v_and_b32_e32 v35, 0xf0f0f0f, v116
	v_lshlrev_b32_e32 v36, 4, v36
	v_and_or_b32 v35, v36, s14, v35
	v_lshlrev_b16_e32 v37, 8, v35
	v_add_u16_e32 v37, 0xe000, v37
	v_lshrrev_b32_e32 v36, 16, v35
	v_lshrrev_b16_e32 v37, 8, v37
	v_bitop3_b16 v35, v35, v37, s16 bitop3:0xec
	v_lshlrev_b16_e32 v37, 8, v36
	v_add_u16_e32 v37, 0xe000, v37
	v_lshrrev_b16_e32 v37, 8, v37
	v_bitop3_b16 v36, v36, v37, s16 bitop3:0xec
	v_add_u16_e32 v35, 0xe000, v35
	v_add_u16_sdwa v36, v36, s15 dst_sel:WORD_1 dst_unused:UNUSED_PAD src0_sel:DWORD src1_sel:DWORD
	v_mov_b32_e32 v139, v160
	v_or_b32_e32 v35, v35, v36
	ds_write_b32 v163, v35
	s_waitcnt vmcnt(11)
	v_ashrrev_i32_e32 v35, v93, v194
	v_ashrrev_i32_e32 v36, v95, v192
	v_and_b32_e32 v35, 0xf0f0f0f, v35
	v_lshlrev_b32_e32 v36, 4, v36
	v_and_or_b32 v35, v36, s14, v35
	v_lshlrev_b16_e32 v37, 8, v35
	v_add_u16_e32 v37, 0xe000, v37
	v_lshrrev_b32_e32 v36, 16, v35
	v_lshrrev_b16_e32 v37, 8, v37
	v_bitop3_b16 v35, v35, v37, s16 bitop3:0xec
	v_lshlrev_b16_e32 v37, 8, v36
	v_add_u16_e32 v37, 0xe000, v37
	v_lshrrev_b16_e32 v37, 8, v37
	v_bitop3_b16 v36, v36, v37, s16 bitop3:0xec
	v_add_u16_e32 v35, 0xe000, v35
	v_add_u16_sdwa v36, v36, s15 dst_sel:WORD_1 dst_unused:UNUSED_PAD src0_sel:DWORD src1_sel:DWORD
	s_mov_b32 s18, 0
	v_or_b32_e32 v35, v35, v36
	ds_write_b32 v164, v35
	s_waitcnt vmcnt(10)
	v_ashrrev_i32_e32 v35, v93, v195
	v_ashrrev_i32_e32 v36, v95, v131
	v_and_b32_e32 v35, 0xf0f0f0f, v35
	v_lshlrev_b32_e32 v36, 4, v36
	v_and_or_b32 v35, v36, s14, v35
	v_lshlrev_b16_e32 v37, 8, v35
	v_add_u16_e32 v37, 0xe000, v37
	v_lshrrev_b32_e32 v36, 16, v35
	v_lshrrev_b16_e32 v37, 8, v37
	v_bitop3_b16 v35, v35, v37, s16 bitop3:0xec
	v_lshlrev_b16_e32 v37, 8, v36
	v_add_u16_e32 v37, 0xe000, v37
	v_lshrrev_b16_e32 v37, 8, v37
	v_bitop3_b16 v36, v36, v37, s16 bitop3:0xec
	v_add_u16_e32 v35, 0xe000, v35
	v_add_u16_sdwa v36, v36, s15 dst_sel:WORD_1 dst_unused:UNUSED_PAD src0_sel:DWORD src1_sel:DWORD
	s_mov_b32 s21, -2
	v_or_b32_e32 v35, v35, v36
	ds_write_b32 v165, v35
	s_waitcnt vmcnt(9)
	v_ashrrev_i32_e32 v35, v93, v118
	v_ashrrev_i32_e32 v36, v95, v130
	v_and_b32_e32 v35, 0xf0f0f0f, v35
	v_lshlrev_b32_e32 v36, 4, v36
	v_and_or_b32 v35, v36, s14, v35
	v_lshlrev_b16_e32 v37, 8, v35
	v_add_u16_e32 v37, 0xe000, v37
	v_lshrrev_b32_e32 v36, 16, v35
	v_lshrrev_b16_e32 v37, 8, v37
	v_bitop3_b16 v35, v35, v37, s16 bitop3:0xec
	v_lshlrev_b16_e32 v37, 8, v36
	v_add_u16_e32 v37, 0xe000, v37
	v_lshrrev_b16_e32 v37, 8, v37
	v_bitop3_b16 v36, v36, v37, s16 bitop3:0xec
	v_add_u16_e32 v35, 0xe000, v35
	v_add_u16_sdwa v36, v36, s15 dst_sel:WORD_1 dst_unused:UNUSED_PAD src0_sel:DWORD src1_sel:DWORD
	s_mov_b32 s19, 0
	v_or_b32_e32 v35, v35, v36
	ds_write_b32 v166, v35
	s_waitcnt vmcnt(8)
	ds_write_b32 v167, v122
	s_waitcnt vmcnt(7)
	;; [unrolled: 2-line block ×6, first 2 shown]
	v_cvt_f32_f16_e32 v35, v38
	s_waitcnt vmcnt(2)
	ds_write_b32 v172, v32
	s_waitcnt vmcnt(1)
	ds_write_b32 v173, v33
	;; [unrolled: 2-line block ×3, first 2 shown]
	ds_write_b32 v75, v35
	s_waitcnt lgkmcnt(0)
	s_barrier
.LBB169_7:                              ;   Parent Loop BB169_6 Depth=1
                                        ; =>  This Inner Loop Header: Depth=2
	s_add_i32 s20, s21, 2
	s_lshr_b32 s24, s20, 4
	s_and_b32 s22, s20, 0x3ffffff8
	v_lshl_add_u32 v122, s22, 2, v113
	s_lshl_b32 s22, s24, 5
	s_addk_i32 s22, 0x4200
	v_add3_u32 v120, s22, v175, v115
	ds_read2_b32 v[124:125], v139 offset1:32
	ds_read_b128 v[36:39], v138
	ds_read_b128 v[32:35], v138 offset:16
	ds_read2_b32 v[126:127], v122 offset1:1
	ds_read2_b32 v[128:129], v120 offset1:1
	s_and_b32 s23, s19, -16
	s_add_i32 s21, s21, s23
	s_lshl_b32 s23, s24, 2
	s_waitcnt lgkmcnt(1)
	v_ashrrev_i32_e32 v116, s20, v126
	s_waitcnt lgkmcnt(0)
	v_ashrrev_i32_e32 v126, s18, v128
	v_lshlrev_b32_e32 v126, 2, v126
	v_bfe_u32 v118, v116, 24, 2
	v_and_b32_e32 v116, 0x3030303, v116
	v_and_b32_e32 v126, 0x4040404, v126
	v_sub_u16_e32 v128, v116, v126
	v_sub_u16_sdwa v130, v116, v126 dst_sel:BYTE_1 dst_unused:UNUSED_PAD src0_sel:BYTE_1 src1_sel:BYTE_1
	v_sub_u16_sdwa v116, v116, v126 dst_sel:DWORD dst_unused:UNUSED_PAD src0_sel:WORD_1 src1_sel:WORD_1
	v_sub_u16_sdwa v118, v118, v126 dst_sel:BYTE_1 dst_unused:UNUSED_PAD src0_sel:DWORD src1_sel:BYTE_3
	v_bitop3_b16 v128, v128, v130, s9 bitop3:0xec
	v_bitop3_b16 v116, v116, v118, s9 bitop3:0xec
	v_lshlrev_b32_e32 v116, 16, v116
	v_or_b32_sdwa v126, v128, v116 dst_sel:DWORD dst_unused:UNUSED_PAD src0_sel:WORD_0 src1_sel:DWORD
	v_ashrrev_i32_e32 v116, s20, v127
	v_ashrrev_i32_e32 v127, s18, v129
	v_lshlrev_b32_e32 v127, 2, v127
	v_bfe_u32 v118, v116, 24, 2
	v_and_b32_e32 v116, 0x3030303, v116
	v_and_b32_e32 v127, 0x4040404, v127
	v_sub_u16_e32 v128, v116, v127
	v_sub_u16_sdwa v129, v116, v127 dst_sel:BYTE_1 dst_unused:UNUSED_PAD src0_sel:BYTE_1 src1_sel:BYTE_1
	v_sub_u16_sdwa v116, v116, v127 dst_sel:DWORD dst_unused:UNUSED_PAD src0_sel:WORD_1 src1_sel:WORD_1
	v_sub_u16_sdwa v118, v118, v127 dst_sel:BYTE_1 dst_unused:UNUSED_PAD src0_sel:DWORD src1_sel:BYTE_3
	v_bitop3_b16 v128, v128, v129, s9 bitop3:0xec
	v_bitop3_b16 v116, v116, v118, s9 bitop3:0xec
	v_lshlrev_b32_e32 v116, 16, v116
	v_or_b32_sdwa v127, v128, v116 dst_sel:DWORD dst_unused:UNUSED_PAD src0_sel:WORD_0 src1_sel:DWORD
	ds_read2_b32 v[128:129], v122 offset0:2 offset1:3
	ds_read2_b32 v[130:131], v120 offset0:2 offset1:3
	s_add_i32 s23, s23, 0x9380
	v_add3_u32 v137, s22, v178, v117
	v_add3_u32 v202, s22, v180, v142
	s_waitcnt lgkmcnt(1)
	v_ashrrev_i32_e32 v116, s20, v128
	s_waitcnt lgkmcnt(0)
	v_ashrrev_i32_e32 v128, s18, v130
	v_lshlrev_b32_e32 v128, 2, v128
	v_bfe_u32 v118, v116, 24, 2
	v_and_b32_e32 v116, 0x3030303, v116
	v_and_b32_e32 v128, 0x4040404, v128
	v_sub_u16_e32 v130, v116, v128
	v_sub_u16_sdwa v132, v116, v128 dst_sel:BYTE_1 dst_unused:UNUSED_PAD src0_sel:BYTE_1 src1_sel:BYTE_1
	v_sub_u16_sdwa v116, v116, v128 dst_sel:DWORD dst_unused:UNUSED_PAD src0_sel:WORD_1 src1_sel:WORD_1
	v_sub_u16_sdwa v118, v118, v128 dst_sel:BYTE_1 dst_unused:UNUSED_PAD src0_sel:DWORD src1_sel:BYTE_3
	v_bitop3_b16 v130, v130, v132, s9 bitop3:0xec
	v_bitop3_b16 v116, v116, v118, s9 bitop3:0xec
	v_lshlrev_b32_e32 v116, 16, v116
	v_or_b32_sdwa v128, v130, v116 dst_sel:DWORD dst_unused:UNUSED_PAD src0_sel:WORD_0 src1_sel:DWORD
	v_ashrrev_i32_e32 v116, s20, v129
	v_ashrrev_i32_e32 v129, s18, v131
	v_lshlrev_b32_e32 v129, 2, v129
	v_bfe_u32 v118, v116, 24, 2
	v_and_b32_e32 v116, 0x3030303, v116
	v_and_b32_e32 v129, 0x4040404, v129
	v_sub_u16_e32 v130, v116, v129
	v_sub_u16_sdwa v131, v116, v129 dst_sel:BYTE_1 dst_unused:UNUSED_PAD src0_sel:BYTE_1 src1_sel:BYTE_1
	v_sub_u16_sdwa v116, v116, v129 dst_sel:DWORD dst_unused:UNUSED_PAD src0_sel:WORD_1 src1_sel:WORD_1
	v_sub_u16_sdwa v118, v118, v129 dst_sel:BYTE_1 dst_unused:UNUSED_PAD src0_sel:DWORD src1_sel:BYTE_3
	v_bitop3_b16 v130, v130, v131, s9 bitop3:0xec
	v_bitop3_b16 v116, v116, v118, s9 bitop3:0xec
	v_lshlrev_b32_e32 v116, 16, v116
	v_or_b32_sdwa v129, v130, v116 dst_sel:DWORD dst_unused:UNUSED_PAD src0_sel:WORD_0 src1_sel:DWORD
	ds_read2_b32 v[130:131], v122 offset0:4 offset1:5
	ds_read2_b32 v[132:133], v120 offset0:4 offset1:5
	ds_read2_b32 v[188:189], v137 offset1:1
	v_add3_u32 v208, s22, v182, v146
	v_mov_b32_e32 v136, 0
	s_waitcnt lgkmcnt(2)
	v_ashrrev_i32_e32 v116, s20, v130
	s_waitcnt lgkmcnt(1)
	v_ashrrev_i32_e32 v130, s18, v132
	v_lshlrev_b32_e32 v130, 2, v130
	v_bfe_u32 v118, v116, 24, 2
	v_and_b32_e32 v116, 0x3030303, v116
	v_and_b32_e32 v130, 0x4040404, v130
	v_sub_u16_e32 v132, v116, v130
	v_sub_u16_sdwa v134, v116, v130 dst_sel:BYTE_1 dst_unused:UNUSED_PAD src0_sel:BYTE_1 src1_sel:BYTE_1
	v_sub_u16_sdwa v116, v116, v130 dst_sel:DWORD dst_unused:UNUSED_PAD src0_sel:WORD_1 src1_sel:WORD_1
	v_sub_u16_sdwa v118, v118, v130 dst_sel:BYTE_1 dst_unused:UNUSED_PAD src0_sel:DWORD src1_sel:BYTE_3
	v_bitop3_b16 v132, v132, v134, s9 bitop3:0xec
	v_bitop3_b16 v116, v116, v118, s9 bitop3:0xec
	v_lshlrev_b32_e32 v116, 16, v116
	v_or_b32_sdwa v130, v132, v116 dst_sel:DWORD dst_unused:UNUSED_PAD src0_sel:WORD_0 src1_sel:DWORD
	v_ashrrev_i32_e32 v116, s20, v131
	v_ashrrev_i32_e32 v131, s18, v133
	v_lshlrev_b32_e32 v131, 2, v131
	v_bfe_u32 v118, v116, 24, 2
	v_and_b32_e32 v116, 0x3030303, v116
	v_and_b32_e32 v131, 0x4040404, v131
	v_sub_u16_e32 v132, v116, v131
	v_sub_u16_sdwa v133, v116, v131 dst_sel:BYTE_1 dst_unused:UNUSED_PAD src0_sel:BYTE_1 src1_sel:BYTE_1
	v_sub_u16_sdwa v116, v116, v131 dst_sel:DWORD dst_unused:UNUSED_PAD src0_sel:WORD_1 src1_sel:WORD_1
	v_sub_u16_sdwa v118, v118, v131 dst_sel:BYTE_1 dst_unused:UNUSED_PAD src0_sel:DWORD src1_sel:BYTE_3
	v_bitop3_b16 v132, v132, v133, s9 bitop3:0xec
	v_bitop3_b16 v116, v116, v118, s9 bitop3:0xec
	v_lshlrev_b32_e32 v116, 16, v116
	v_or_b32_sdwa v131, v132, v116 dst_sel:DWORD dst_unused:UNUSED_PAD src0_sel:WORD_0 src1_sel:DWORD
	ds_read2_b32 v[132:133], v122 offset0:6 offset1:7
	ds_read2_b32 v[134:135], v120 offset0:6 offset1:7
	s_waitcnt lgkmcnt(2)
	v_ashrrev_i32_e32 v185, s18, v188
	v_lshlrev_b32_e32 v185, 2, v185
	v_and_b32_e32 v185, 0x4040404, v185
	s_waitcnt lgkmcnt(1)
	v_ashrrev_i32_e32 v116, s20, v132
	s_waitcnt lgkmcnt(0)
	v_ashrrev_i32_e32 v120, s18, v134
	v_lshlrev_b32_e32 v120, 2, v120
	v_bfe_u32 v118, v116, 24, 2
	v_and_b32_e32 v116, 0x3030303, v116
	v_and_b32_e32 v120, 0x4040404, v120
	v_sub_u16_e32 v132, v116, v120
	v_sub_u16_sdwa v134, v116, v120 dst_sel:BYTE_1 dst_unused:UNUSED_PAD src0_sel:BYTE_1 src1_sel:BYTE_1
	v_sub_u16_sdwa v116, v116, v120 dst_sel:DWORD dst_unused:UNUSED_PAD src0_sel:WORD_1 src1_sel:WORD_1
	v_sub_u16_sdwa v118, v118, v120 dst_sel:BYTE_1 dst_unused:UNUSED_PAD src0_sel:DWORD src1_sel:BYTE_3
	v_bitop3_b16 v132, v132, v134, s9 bitop3:0xec
	v_bitop3_b16 v116, v116, v118, s9 bitop3:0xec
	v_lshlrev_b32_e32 v116, 16, v116
	v_ashrrev_i32_e32 v120, s18, v135
	v_or_b32_sdwa v132, v132, v116 dst_sel:DWORD dst_unused:UNUSED_PAD src0_sel:WORD_0 src1_sel:DWORD
	v_ashrrev_i32_e32 v116, s20, v133
	v_lshlrev_b32_e32 v120, 2, v120
	v_bfe_u32 v118, v116, 24, 2
	v_and_b32_e32 v116, 0x3030303, v116
	v_and_b32_e32 v120, 0x4040404, v120
	v_sub_u16_e32 v133, v116, v120
	v_sub_u16_sdwa v134, v116, v120 dst_sel:BYTE_1 dst_unused:UNUSED_PAD src0_sel:BYTE_1 src1_sel:BYTE_1
	v_sub_u16_sdwa v116, v116, v120 dst_sel:DWORD dst_unused:UNUSED_PAD src0_sel:WORD_1 src1_sel:WORD_1
	v_sub_u16_sdwa v118, v118, v120 dst_sel:BYTE_1 dst_unused:UNUSED_PAD src0_sel:DWORD src1_sel:BYTE_3
	v_bitop3_b16 v133, v133, v134, s9 bitop3:0xec
	v_bitop3_b16 v116, v116, v118, s9 bitop3:0xec
	v_lshlrev_b32_e32 v116, 16, v116
	v_or_b32_sdwa v133, v133, v116 dst_sel:DWORD dst_unused:UNUSED_PAD src0_sel:WORD_0 src1_sel:DWORD
	v_add3_u32 v116, s23, v176, v177
	v_add_u32_e32 v118, 0x1080, v122
	ds_read_b32 v116, v116
	ds_read2_b32 v[186:187], v118 offset1:1
	ds_read2_b32 v[190:191], v137 offset0:2 offset1:3
	ds_read2_b32 v[192:193], v137 offset0:4 offset1:5
	;; [unrolled: 1-line block ×3, first 2 shown]
	ds_read2_b32 v[196:197], v202 offset1:1
	s_waitcnt lgkmcnt(4)
	v_ashrrev_i32_e32 v118, s20, v186
	v_bfe_u32 v120, v118, 24, 2
	v_and_b32_e32 v118, 0x3030303, v118
	v_sub_u16_e32 v186, v118, v185
	v_sub_u16_sdwa v188, v118, v185 dst_sel:BYTE_1 dst_unused:UNUSED_PAD src0_sel:BYTE_1 src1_sel:BYTE_1
	v_sub_u16_sdwa v118, v118, v185 dst_sel:DWORD dst_unused:UNUSED_PAD src0_sel:WORD_1 src1_sel:WORD_1
	v_sub_u16_sdwa v120, v120, v185 dst_sel:BYTE_1 dst_unused:UNUSED_PAD src0_sel:DWORD src1_sel:BYTE_3
	v_bitop3_b16 v186, v186, v188, s9 bitop3:0xec
	v_bitop3_b16 v118, v118, v120, s9 bitop3:0xec
	v_lshlrev_b32_e32 v118, 16, v118
	v_or_b32_sdwa v185, v186, v118 dst_sel:DWORD dst_unused:UNUSED_PAD src0_sel:WORD_0 src1_sel:DWORD
	v_ashrrev_i32_e32 v186, s18, v189
	v_ashrrev_i32_e32 v118, s20, v187
	v_lshlrev_b32_e32 v186, 2, v186
	v_bfe_u32 v120, v118, 24, 2
	v_and_b32_e32 v118, 0x3030303, v118
	v_and_b32_e32 v186, 0x4040404, v186
	v_sub_u16_e32 v187, v118, v186
	v_sub_u16_sdwa v188, v118, v186 dst_sel:BYTE_1 dst_unused:UNUSED_PAD src0_sel:BYTE_1 src1_sel:BYTE_1
	v_sub_u16_sdwa v118, v118, v186 dst_sel:DWORD dst_unused:UNUSED_PAD src0_sel:WORD_1 src1_sel:WORD_1
	v_sub_u16_sdwa v120, v120, v186 dst_sel:BYTE_1 dst_unused:UNUSED_PAD src0_sel:DWORD src1_sel:BYTE_3
	v_bitop3_b16 v187, v187, v188, s9 bitop3:0xec
	v_bitop3_b16 v118, v118, v120, s9 bitop3:0xec
	v_lshlrev_b32_e32 v118, 16, v118
	v_or_b32_sdwa v186, v187, v118 dst_sel:DWORD dst_unused:UNUSED_PAD src0_sel:WORD_0 src1_sel:DWORD
	v_add_u32_e32 v118, 0x1088, v122
	ds_read2_b32 v[188:189], v118 offset1:1
	s_waitcnt lgkmcnt(4)
	v_ashrrev_i32_e32 v187, s18, v190
	v_lshlrev_b32_e32 v187, 2, v187
	v_and_b32_e32 v187, 0x4040404, v187
	s_waitcnt lgkmcnt(2)
	v_ashrrev_i32_e32 v137, s18, v194
	s_waitcnt lgkmcnt(0)
	v_ashrrev_i32_e32 v118, s20, v188
	v_bfe_u32 v120, v118, 24, 2
	v_and_b32_e32 v118, 0x3030303, v118
	v_sub_u16_e32 v188, v118, v187
	v_sub_u16_sdwa v190, v118, v187 dst_sel:BYTE_1 dst_unused:UNUSED_PAD src0_sel:BYTE_1 src1_sel:BYTE_1
	v_sub_u16_sdwa v118, v118, v187 dst_sel:DWORD dst_unused:UNUSED_PAD src0_sel:WORD_1 src1_sel:WORD_1
	v_sub_u16_sdwa v120, v120, v187 dst_sel:BYTE_1 dst_unused:UNUSED_PAD src0_sel:DWORD src1_sel:BYTE_3
	v_bitop3_b16 v188, v188, v190, s9 bitop3:0xec
	v_bitop3_b16 v118, v118, v120, s9 bitop3:0xec
	v_lshlrev_b32_e32 v118, 16, v118
	v_or_b32_sdwa v187, v188, v118 dst_sel:DWORD dst_unused:UNUSED_PAD src0_sel:WORD_0 src1_sel:DWORD
	v_ashrrev_i32_e32 v188, s18, v191
	v_ashrrev_i32_e32 v118, s20, v189
	v_lshlrev_b32_e32 v188, 2, v188
	v_bfe_u32 v120, v118, 24, 2
	v_and_b32_e32 v118, 0x3030303, v118
	v_and_b32_e32 v188, 0x4040404, v188
	v_sub_u16_e32 v189, v118, v188
	v_sub_u16_sdwa v190, v118, v188 dst_sel:BYTE_1 dst_unused:UNUSED_PAD src0_sel:BYTE_1 src1_sel:BYTE_1
	v_sub_u16_sdwa v118, v118, v188 dst_sel:DWORD dst_unused:UNUSED_PAD src0_sel:WORD_1 src1_sel:WORD_1
	v_sub_u16_sdwa v120, v120, v188 dst_sel:BYTE_1 dst_unused:UNUSED_PAD src0_sel:DWORD src1_sel:BYTE_3
	v_bitop3_b16 v189, v189, v190, s9 bitop3:0xec
	v_bitop3_b16 v118, v118, v120, s9 bitop3:0xec
	v_lshlrev_b32_e32 v118, 16, v118
	v_or_b32_sdwa v188, v189, v118 dst_sel:DWORD dst_unused:UNUSED_PAD src0_sel:WORD_0 src1_sel:DWORD
	v_add_u32_e32 v118, 0x1090, v122
	ds_read2_b32 v[190:191], v118 offset1:1
	v_ashrrev_i32_e32 v189, s18, v192
	v_lshlrev_b32_e32 v189, 2, v189
	v_and_b32_e32 v189, 0x4040404, v189
	v_lshlrev_b32_e32 v137, 2, v137
	s_waitcnt lgkmcnt(0)
	v_ashrrev_i32_e32 v118, s20, v190
	v_bfe_u32 v120, v118, 24, 2
	v_and_b32_e32 v118, 0x3030303, v118
	v_sub_u16_e32 v190, v118, v189
	v_sub_u16_sdwa v192, v118, v189 dst_sel:BYTE_1 dst_unused:UNUSED_PAD src0_sel:BYTE_1 src1_sel:BYTE_1
	v_sub_u16_sdwa v118, v118, v189 dst_sel:DWORD dst_unused:UNUSED_PAD src0_sel:WORD_1 src1_sel:WORD_1
	v_sub_u16_sdwa v120, v120, v189 dst_sel:BYTE_1 dst_unused:UNUSED_PAD src0_sel:DWORD src1_sel:BYTE_3
	v_bitop3_b16 v190, v190, v192, s9 bitop3:0xec
	v_bitop3_b16 v118, v118, v120, s9 bitop3:0xec
	v_lshlrev_b32_e32 v118, 16, v118
	v_or_b32_sdwa v189, v190, v118 dst_sel:DWORD dst_unused:UNUSED_PAD src0_sel:WORD_0 src1_sel:DWORD
	v_ashrrev_i32_e32 v190, s18, v193
	v_ashrrev_i32_e32 v118, s20, v191
	v_lshlrev_b32_e32 v190, 2, v190
	v_bfe_u32 v120, v118, 24, 2
	v_and_b32_e32 v118, 0x3030303, v118
	v_and_b32_e32 v190, 0x4040404, v190
	v_sub_u16_e32 v191, v118, v190
	v_sub_u16_sdwa v192, v118, v190 dst_sel:BYTE_1 dst_unused:UNUSED_PAD src0_sel:BYTE_1 src1_sel:BYTE_1
	v_sub_u16_sdwa v118, v118, v190 dst_sel:DWORD dst_unused:UNUSED_PAD src0_sel:WORD_1 src1_sel:WORD_1
	v_sub_u16_sdwa v120, v120, v190 dst_sel:BYTE_1 dst_unused:UNUSED_PAD src0_sel:DWORD src1_sel:BYTE_3
	v_bitop3_b16 v191, v191, v192, s9 bitop3:0xec
	v_bitop3_b16 v118, v118, v120, s9 bitop3:0xec
	v_lshlrev_b32_e32 v118, 16, v118
	v_or_b32_sdwa v190, v191, v118 dst_sel:DWORD dst_unused:UNUSED_PAD src0_sel:WORD_0 src1_sel:DWORD
	v_add_u32_e32 v118, 0x1098, v122
	ds_read2_b32 v[192:193], v118 offset1:1
	v_and_b32_e32 v137, 0x4040404, v137
	v_mov_b32_e32 v135, 0
	v_mov_b32_e32 v209, 0
	;; [unrolled: 1-line block ×3, first 2 shown]
	s_waitcnt lgkmcnt(0)
	v_ashrrev_i32_e32 v118, s20, v192
	v_bfe_u32 v120, v118, 24, 2
	v_and_b32_e32 v118, 0x3030303, v118
	v_sub_u16_e32 v191, v118, v137
	v_sub_u16_sdwa v192, v118, v137 dst_sel:BYTE_1 dst_unused:UNUSED_PAD src0_sel:BYTE_1 src1_sel:BYTE_1
	v_sub_u16_sdwa v118, v118, v137 dst_sel:DWORD dst_unused:UNUSED_PAD src0_sel:WORD_1 src1_sel:WORD_1
	v_sub_u16_sdwa v120, v120, v137 dst_sel:BYTE_1 dst_unused:UNUSED_PAD src0_sel:DWORD src1_sel:BYTE_3
	v_bitop3_b16 v191, v191, v192, s9 bitop3:0xec
	v_bitop3_b16 v118, v118, v120, s9 bitop3:0xec
	v_lshlrev_b32_e32 v118, 16, v118
	v_ashrrev_i32_e32 v137, s18, v195
	v_or_b32_sdwa v191, v191, v118 dst_sel:DWORD dst_unused:UNUSED_PAD src0_sel:WORD_0 src1_sel:DWORD
	v_ashrrev_i32_e32 v118, s20, v193
	v_lshlrev_b32_e32 v137, 2, v137
	v_bfe_u32 v120, v118, 24, 2
	v_and_b32_e32 v118, 0x3030303, v118
	v_and_b32_e32 v137, 0x4040404, v137
	v_sub_u16_e32 v192, v118, v137
	v_sub_u16_sdwa v193, v118, v137 dst_sel:BYTE_1 dst_unused:UNUSED_PAD src0_sel:BYTE_1 src1_sel:BYTE_1
	v_sub_u16_sdwa v118, v118, v137 dst_sel:DWORD dst_unused:UNUSED_PAD src0_sel:WORD_1 src1_sel:WORD_1
	v_sub_u16_sdwa v120, v120, v137 dst_sel:BYTE_1 dst_unused:UNUSED_PAD src0_sel:DWORD src1_sel:BYTE_3
	v_bitop3_b16 v192, v192, v193, s9 bitop3:0xec
	v_bitop3_b16 v118, v118, v120, s9 bitop3:0xec
	v_lshlrev_b32_e32 v118, 16, v118
	v_or_b32_sdwa v192, v192, v118 dst_sel:DWORD dst_unused:UNUSED_PAD src0_sel:WORD_0 src1_sel:DWORD
	v_add3_u32 v118, s23, v179, v119
	v_add_u32_e32 v120, 0x2100, v122
	ds_read_b32 v118, v118
	ds_read2_b32 v[194:195], v120 offset1:1
	v_mov_b32_e32 v216, 0
	v_mov_b32_e32 v217, 0
	;; [unrolled: 1-line block ×4, first 2 shown]
	s_waitcnt lgkmcnt(0)
	v_ashrrev_i32_e32 v120, s20, v194
	v_ashrrev_i32_e32 v194, s18, v196
	v_lshlrev_b32_e32 v194, 2, v194
	v_bfe_u32 v193, v120, 24, 2
	v_and_b32_e32 v120, 0x3030303, v120
	v_and_b32_e32 v194, 0x4040404, v194
	v_sub_u16_e32 v196, v120, v194
	v_sub_u16_sdwa v198, v120, v194 dst_sel:BYTE_1 dst_unused:UNUSED_PAD src0_sel:BYTE_1 src1_sel:BYTE_1
	v_sub_u16_sdwa v120, v120, v194 dst_sel:DWORD dst_unused:UNUSED_PAD src0_sel:WORD_1 src1_sel:WORD_1
	v_sub_u16_sdwa v193, v193, v194 dst_sel:BYTE_1 dst_unused:UNUSED_PAD src0_sel:DWORD src1_sel:BYTE_3
	v_bitop3_b16 v196, v196, v198, s9 bitop3:0xec
	v_bitop3_b16 v120, v120, v193, s9 bitop3:0xec
	v_lshlrev_b32_e32 v120, 16, v120
	v_or_b32_sdwa v193, v196, v120 dst_sel:DWORD dst_unused:UNUSED_PAD src0_sel:WORD_0 src1_sel:DWORD
	v_ashrrev_i32_e32 v120, s20, v195
	v_ashrrev_i32_e32 v195, s18, v197
	v_lshlrev_b32_e32 v195, 2, v195
	v_bfe_u32 v194, v120, 24, 2
	v_and_b32_e32 v120, 0x3030303, v120
	v_and_b32_e32 v195, 0x4040404, v195
	v_sub_u16_e32 v196, v120, v195
	v_sub_u16_sdwa v197, v120, v195 dst_sel:BYTE_1 dst_unused:UNUSED_PAD src0_sel:BYTE_1 src1_sel:BYTE_1
	v_sub_u16_sdwa v120, v120, v195 dst_sel:DWORD dst_unused:UNUSED_PAD src0_sel:WORD_1 src1_sel:WORD_1
	v_sub_u16_sdwa v194, v194, v195 dst_sel:BYTE_1 dst_unused:UNUSED_PAD src0_sel:DWORD src1_sel:BYTE_3
	v_bitop3_b16 v196, v196, v197, s9 bitop3:0xec
	v_bitop3_b16 v120, v120, v194, s9 bitop3:0xec
	v_lshlrev_b32_e32 v120, 16, v120
	v_or_b32_sdwa v194, v196, v120 dst_sel:DWORD dst_unused:UNUSED_PAD src0_sel:WORD_0 src1_sel:DWORD
	v_add_u32_e32 v120, 0x2108, v122
	ds_read2_b32 v[196:197], v120 offset1:1
	ds_read2_b32 v[198:199], v202 offset0:2 offset1:3
	v_dot4c_i32_i8_e32 v135, v126, v36
	v_dot4c_i32_i8_e32 v136, v130, v32
	v_dot4c_i32_i8_e32 v209, v185, v36
	s_waitcnt lgkmcnt(1)
	v_ashrrev_i32_e32 v120, s20, v196
	s_waitcnt lgkmcnt(0)
	v_ashrrev_i32_e32 v196, s18, v198
	v_lshlrev_b32_e32 v196, 2, v196
	v_bfe_u32 v195, v120, 24, 2
	v_and_b32_e32 v120, 0x3030303, v120
	v_and_b32_e32 v196, 0x4040404, v196
	v_sub_u16_e32 v198, v120, v196
	v_sub_u16_sdwa v200, v120, v196 dst_sel:BYTE_1 dst_unused:UNUSED_PAD src0_sel:BYTE_1 src1_sel:BYTE_1
	v_sub_u16_sdwa v120, v120, v196 dst_sel:DWORD dst_unused:UNUSED_PAD src0_sel:WORD_1 src1_sel:WORD_1
	v_sub_u16_sdwa v195, v195, v196 dst_sel:BYTE_1 dst_unused:UNUSED_PAD src0_sel:DWORD src1_sel:BYTE_3
	v_bitop3_b16 v198, v198, v200, s9 bitop3:0xec
	v_bitop3_b16 v120, v120, v195, s9 bitop3:0xec
	v_lshlrev_b32_e32 v120, 16, v120
	v_or_b32_sdwa v195, v198, v120 dst_sel:DWORD dst_unused:UNUSED_PAD src0_sel:WORD_0 src1_sel:DWORD
	v_ashrrev_i32_e32 v120, s20, v197
	v_ashrrev_i32_e32 v197, s18, v199
	v_lshlrev_b32_e32 v197, 2, v197
	v_bfe_u32 v196, v120, 24, 2
	v_and_b32_e32 v120, 0x3030303, v120
	v_and_b32_e32 v197, 0x4040404, v197
	v_sub_u16_e32 v198, v120, v197
	v_sub_u16_sdwa v199, v120, v197 dst_sel:BYTE_1 dst_unused:UNUSED_PAD src0_sel:BYTE_1 src1_sel:BYTE_1
	v_sub_u16_sdwa v120, v120, v197 dst_sel:DWORD dst_unused:UNUSED_PAD src0_sel:WORD_1 src1_sel:WORD_1
	v_sub_u16_sdwa v196, v196, v197 dst_sel:BYTE_1 dst_unused:UNUSED_PAD src0_sel:DWORD src1_sel:BYTE_3
	v_bitop3_b16 v198, v198, v199, s9 bitop3:0xec
	v_bitop3_b16 v120, v120, v196, s9 bitop3:0xec
	v_lshlrev_b32_e32 v120, 16, v120
	v_or_b32_sdwa v196, v198, v120 dst_sel:DWORD dst_unused:UNUSED_PAD src0_sel:WORD_0 src1_sel:DWORD
	v_add_u32_e32 v120, 0x2110, v122
	ds_read2_b32 v[198:199], v120 offset1:1
	ds_read2_b32 v[200:201], v202 offset0:4 offset1:5
	v_dot4c_i32_i8_e32 v210, v189, v32
	v_dot4c_i32_i8_e32 v216, v193, v36
	v_dot4c_i32_i8_e32 v135, v127, v37
	s_waitcnt lgkmcnt(1)
	v_ashrrev_i32_e32 v120, s20, v198
	s_waitcnt lgkmcnt(0)
	;; [unrolled: 36-line block ×3, first 2 shown]
	v_ashrrev_i32_e32 v200, s18, v202
	v_lshlrev_b32_e32 v200, 2, v200
	v_bfe_u32 v199, v120, 24, 2
	v_and_b32_e32 v120, 0x3030303, v120
	v_and_b32_e32 v200, 0x4040404, v200
	v_sub_u16_e32 v202, v120, v200
	v_sub_u16_sdwa v204, v120, v200 dst_sel:BYTE_1 dst_unused:UNUSED_PAD src0_sel:BYTE_1 src1_sel:BYTE_1
	v_sub_u16_sdwa v120, v120, v200 dst_sel:DWORD dst_unused:UNUSED_PAD src0_sel:WORD_1 src1_sel:WORD_1
	v_sub_u16_sdwa v199, v199, v200 dst_sel:BYTE_1 dst_unused:UNUSED_PAD src0_sel:DWORD src1_sel:BYTE_3
	v_bitop3_b16 v202, v202, v204, s9 bitop3:0xec
	v_bitop3_b16 v120, v120, v199, s9 bitop3:0xec
	v_lshlrev_b32_e32 v120, 16, v120
	v_or_b32_sdwa v199, v202, v120 dst_sel:DWORD dst_unused:UNUSED_PAD src0_sel:WORD_0 src1_sel:DWORD
	v_ashrrev_i32_e32 v120, s20, v201
	v_ashrrev_i32_e32 v201, s18, v203
	v_lshlrev_b32_e32 v201, 2, v201
	v_bfe_u32 v200, v120, 24, 2
	v_and_b32_e32 v120, 0x3030303, v120
	v_and_b32_e32 v201, 0x4040404, v201
	v_sub_u16_e32 v202, v120, v201
	v_sub_u16_sdwa v203, v120, v201 dst_sel:BYTE_1 dst_unused:UNUSED_PAD src0_sel:BYTE_1 src1_sel:BYTE_1
	v_sub_u16_sdwa v120, v120, v201 dst_sel:DWORD dst_unused:UNUSED_PAD src0_sel:WORD_1 src1_sel:WORD_1
	v_sub_u16_sdwa v200, v200, v201 dst_sel:BYTE_1 dst_unused:UNUSED_PAD src0_sel:DWORD src1_sel:BYTE_3
	v_bitop3_b16 v202, v202, v203, s9 bitop3:0xec
	v_bitop3_b16 v120, v120, v200, s9 bitop3:0xec
	v_lshlrev_b32_e32 v120, 16, v120
	v_add_u32_e32 v201, 0x3180, v122
	v_or_b32_sdwa v200, v202, v120 dst_sel:DWORD dst_unused:UNUSED_PAD src0_sel:WORD_0 src1_sel:DWORD
	ds_read2_b32 v[202:203], v201 offset1:1
	ds_read2_b32 v[204:205], v208 offset1:1
	v_add3_u32 v120, s23, v181, v144
	ds_read_b32 v120, v120
	v_dot4c_i32_i8_e32 v210, v190, v33
	s_waitcnt lgkmcnt(2)
	v_ashrrev_i32_e32 v201, s20, v202
	s_waitcnt lgkmcnt(1)
	v_ashrrev_i32_e32 v204, s18, v204
	v_lshlrev_b32_e32 v204, 2, v204
	v_bfe_u32 v202, v201, 24, 2
	v_and_b32_e32 v201, 0x3030303, v201
	v_and_b32_e32 v204, 0x4040404, v204
	v_sub_u16_e32 v206, v201, v204
	v_sub_u16_sdwa v207, v201, v204 dst_sel:BYTE_1 dst_unused:UNUSED_PAD src0_sel:BYTE_1 src1_sel:BYTE_1
	v_sub_u16_sdwa v201, v201, v204 dst_sel:DWORD dst_unused:UNUSED_PAD src0_sel:WORD_1 src1_sel:WORD_1
	v_sub_u16_sdwa v202, v202, v204 dst_sel:BYTE_1 dst_unused:UNUSED_PAD src0_sel:DWORD src1_sel:BYTE_3
	v_ashrrev_i32_e32 v204, s18, v205
	v_bitop3_b16 v201, v201, v202, s9 bitop3:0xec
	v_ashrrev_i32_e32 v202, s20, v203
	v_lshlrev_b32_e32 v204, 2, v204
	v_bitop3_b16 v206, v206, v207, s9 bitop3:0xec
	v_lshlrev_b32_e32 v201, 16, v201
	v_bfe_u32 v203, v202, 24, 2
	v_and_b32_e32 v202, 0x3030303, v202
	v_and_b32_e32 v204, 0x4040404, v204
	v_or_b32_sdwa v201, v206, v201 dst_sel:DWORD dst_unused:UNUSED_PAD src0_sel:WORD_0 src1_sel:DWORD
	v_sub_u16_e32 v205, v202, v204
	v_sub_u16_sdwa v206, v202, v204 dst_sel:BYTE_1 dst_unused:UNUSED_PAD src0_sel:BYTE_1 src1_sel:BYTE_1
	v_sub_u16_sdwa v202, v202, v204 dst_sel:DWORD dst_unused:UNUSED_PAD src0_sel:WORD_1 src1_sel:WORD_1
	v_sub_u16_sdwa v203, v203, v204 dst_sel:BYTE_1 dst_unused:UNUSED_PAD src0_sel:DWORD src1_sel:BYTE_3
	v_bitop3_b16 v205, v205, v206, s9 bitop3:0xec
	v_bitop3_b16 v202, v202, v203, s9 bitop3:0xec
	v_lshlrev_b32_e32 v202, 16, v202
	v_add_u32_e32 v203, 0x3188, v122
	v_or_b32_sdwa v202, v205, v202 dst_sel:DWORD dst_unused:UNUSED_PAD src0_sel:WORD_0 src1_sel:DWORD
	ds_read2_b32 v[204:205], v203 offset1:1
	ds_read2_b32 v[206:207], v208 offset0:2 offset1:3
	v_dot4c_i32_i8_e32 v219, v201, v36
	v_dot4c_i32_i8_e32 v216, v194, v37
	v_dot4c_i32_i8_e32 v217, v198, v33
	s_waitcnt lgkmcnt(1)
	v_ashrrev_i32_e32 v203, s20, v204
	s_waitcnt lgkmcnt(0)
	v_ashrrev_i32_e32 v206, s18, v206
	v_lshlrev_b32_e32 v206, 2, v206
	v_bfe_u32 v204, v203, 24, 2
	v_and_b32_e32 v203, 0x3030303, v203
	v_and_b32_e32 v206, 0x4040404, v206
	v_sub_u16_e32 v212, v203, v206
	v_sub_u16_sdwa v213, v203, v206 dst_sel:BYTE_1 dst_unused:UNUSED_PAD src0_sel:BYTE_1 src1_sel:BYTE_1
	v_sub_u16_sdwa v203, v203, v206 dst_sel:DWORD dst_unused:UNUSED_PAD src0_sel:WORD_1 src1_sel:WORD_1
	v_sub_u16_sdwa v204, v204, v206 dst_sel:BYTE_1 dst_unused:UNUSED_PAD src0_sel:DWORD src1_sel:BYTE_3
	v_ashrrev_i32_e32 v206, s18, v207
	v_bitop3_b16 v203, v203, v204, s9 bitop3:0xec
	v_ashrrev_i32_e32 v204, s20, v205
	v_lshlrev_b32_e32 v206, 2, v206
	v_bitop3_b16 v212, v212, v213, s9 bitop3:0xec
	v_lshlrev_b32_e32 v203, 16, v203
	v_bfe_u32 v205, v204, 24, 2
	v_and_b32_e32 v204, 0x3030303, v204
	v_and_b32_e32 v206, 0x4040404, v206
	v_or_b32_sdwa v203, v212, v203 dst_sel:DWORD dst_unused:UNUSED_PAD src0_sel:WORD_0 src1_sel:DWORD
	v_sub_u16_e32 v207, v204, v206
	v_sub_u16_sdwa v212, v204, v206 dst_sel:BYTE_1 dst_unused:UNUSED_PAD src0_sel:BYTE_1 src1_sel:BYTE_1
	v_sub_u16_sdwa v204, v204, v206 dst_sel:DWORD dst_unused:UNUSED_PAD src0_sel:WORD_1 src1_sel:WORD_1
	v_sub_u16_sdwa v205, v205, v206 dst_sel:BYTE_1 dst_unused:UNUSED_PAD src0_sel:DWORD src1_sel:BYTE_3
	v_bitop3_b16 v207, v207, v212, s9 bitop3:0xec
	v_bitop3_b16 v204, v204, v205, s9 bitop3:0xec
	v_lshlrev_b32_e32 v204, 16, v204
	v_add_u32_e32 v205, 0x3190, v122
	v_or_b32_sdwa v204, v207, v204 dst_sel:DWORD dst_unused:UNUSED_PAD src0_sel:WORD_0 src1_sel:DWORD
	ds_read2_b32 v[206:207], v205 offset1:1
	ds_read2_b32 v[212:213], v208 offset0:4 offset1:5
	v_add_u32_e32 v122, 0x3198, v122
	v_dot4c_i32_i8_e32 v219, v202, v37
	v_dot4c_i32_i8_e32 v135, v128, v38
	s_waitcnt lgkmcnt(1)
	v_ashrrev_i32_e32 v205, s20, v206
	s_waitcnt lgkmcnt(0)
	v_ashrrev_i32_e32 v212, s18, v212
	v_lshlrev_b32_e32 v212, 2, v212
	v_bfe_u32 v206, v205, 24, 2
	v_and_b32_e32 v205, 0x3030303, v205
	v_and_b32_e32 v212, 0x4040404, v212
	v_sub_u16_e32 v214, v205, v212
	v_sub_u16_sdwa v215, v205, v212 dst_sel:BYTE_1 dst_unused:UNUSED_PAD src0_sel:BYTE_1 src1_sel:BYTE_1
	v_sub_u16_sdwa v205, v205, v212 dst_sel:DWORD dst_unused:UNUSED_PAD src0_sel:WORD_1 src1_sel:WORD_1
	v_sub_u16_sdwa v206, v206, v212 dst_sel:BYTE_1 dst_unused:UNUSED_PAD src0_sel:DWORD src1_sel:BYTE_3
	v_ashrrev_i32_e32 v212, s18, v213
	v_bitop3_b16 v205, v205, v206, s9 bitop3:0xec
	v_ashrrev_i32_e32 v206, s20, v207
	v_lshlrev_b32_e32 v212, 2, v212
	v_bitop3_b16 v214, v214, v215, s9 bitop3:0xec
	v_lshlrev_b32_e32 v205, 16, v205
	v_bfe_u32 v207, v206, 24, 2
	v_and_b32_e32 v206, 0x3030303, v206
	v_and_b32_e32 v212, 0x4040404, v212
	v_or_b32_sdwa v205, v214, v205 dst_sel:DWORD dst_unused:UNUSED_PAD src0_sel:WORD_0 src1_sel:DWORD
	v_sub_u16_e32 v213, v206, v212
	v_sub_u16_sdwa v214, v206, v212 dst_sel:BYTE_1 dst_unused:UNUSED_PAD src0_sel:BYTE_1 src1_sel:BYTE_1
	v_sub_u16_sdwa v206, v206, v212 dst_sel:DWORD dst_unused:UNUSED_PAD src0_sel:WORD_1 src1_sel:WORD_1
	v_sub_u16_sdwa v207, v207, v212 dst_sel:BYTE_1 dst_unused:UNUSED_PAD src0_sel:DWORD src1_sel:BYTE_3
	v_bitop3_b16 v213, v213, v214, s9 bitop3:0xec
	v_bitop3_b16 v206, v206, v207, s9 bitop3:0xec
	v_lshlrev_b32_e32 v206, 16, v206
	v_or_b32_sdwa v206, v213, v206 dst_sel:DWORD dst_unused:UNUSED_PAD src0_sel:WORD_0 src1_sel:DWORD
	ds_read2_b32 v[212:213], v122 offset1:1
	ds_read2_b32 v[214:215], v208 offset0:6 offset1:7
	v_dot4c_i32_i8_e32 v232, v205, v32
	v_dot4c_i32_i8_e32 v232, v206, v33
	;; [unrolled: 1-line block ×3, first 2 shown]
	s_waitcnt lgkmcnt(1)
	v_ashrrev_i32_e32 v122, s20, v212
	s_waitcnt lgkmcnt(0)
	v_ashrrev_i32_e32 v208, s18, v214
	v_lshlrev_b32_e32 v208, 2, v208
	v_bfe_u32 v207, v122, 24, 2
	v_and_b32_e32 v122, 0x3030303, v122
	v_and_b32_e32 v208, 0x4040404, v208
	v_sub_u16_e32 v212, v122, v208
	v_sub_u16_sdwa v214, v122, v208 dst_sel:BYTE_1 dst_unused:UNUSED_PAD src0_sel:BYTE_1 src1_sel:BYTE_1
	v_sub_u16_sdwa v122, v122, v208 dst_sel:DWORD dst_unused:UNUSED_PAD src0_sel:WORD_1 src1_sel:WORD_1
	v_sub_u16_sdwa v207, v207, v208 dst_sel:BYTE_1 dst_unused:UNUSED_PAD src0_sel:DWORD src1_sel:BYTE_3
	v_bitop3_b16 v212, v212, v214, s9 bitop3:0xec
	v_bitop3_b16 v122, v122, v207, s9 bitop3:0xec
	v_lshlrev_b32_e32 v122, 16, v122
	v_or_b32_sdwa v207, v212, v122 dst_sel:DWORD dst_unused:UNUSED_PAD src0_sel:WORD_0 src1_sel:DWORD
	v_ashrrev_i32_e32 v212, s18, v215
	v_ashrrev_i32_e32 v122, s20, v213
	v_lshlrev_b32_e32 v212, 2, v212
	v_bfe_u32 v208, v122, 24, 2
	v_and_b32_e32 v122, 0x3030303, v122
	v_and_b32_e32 v212, 0x4040404, v212
	v_sub_u16_e32 v213, v122, v212
	v_sub_u16_sdwa v214, v122, v212 dst_sel:BYTE_1 dst_unused:UNUSED_PAD src0_sel:BYTE_1 src1_sel:BYTE_1
	v_sub_u16_sdwa v122, v122, v212 dst_sel:DWORD dst_unused:UNUSED_PAD src0_sel:WORD_1 src1_sel:WORD_1
	v_sub_u16_sdwa v208, v208, v212 dst_sel:BYTE_1 dst_unused:UNUSED_PAD src0_sel:DWORD src1_sel:BYTE_3
	v_bitop3_b16 v213, v213, v214, s9 bitop3:0xec
	v_bitop3_b16 v122, v122, v208, s9 bitop3:0xec
	v_lshlrev_b32_e32 v122, 16, v122
	v_dot4c_i32_i8_e32 v209, v187, v38
	v_dot4c_i32_i8_e32 v210, v191, v34
	;; [unrolled: 1-line block ×4, first 2 shown]
	v_or_b32_sdwa v208, v213, v122 dst_sel:DWORD dst_unused:UNUSED_PAD src0_sel:WORD_0 src1_sel:DWORD
	v_add3_u32 v122, s23, v183, v148
	v_dot4c_i32_i8_e32 v219, v203, v38
	v_dot4c_i32_i8_e32 v232, v207, v34
	;; [unrolled: 1-line block ×8, first 2 shown]
	ds_read_b32 v122, v122
	v_dot4c_i32_i8_e32 v219, v204, v39
	v_dot4c_i32_i8_e32 v232, v208, v35
	ds_read_b128 v[32:35], v138 offset:1024
	ds_read_b128 v[36:39], v138 offset:1040
	v_mov_b32_e32 v214, 0
	v_mov_b32_e32 v224, 0
	;; [unrolled: 1-line block ×8, first 2 shown]
	s_waitcnt lgkmcnt(1)
	v_dot4c_i32_i8_e32 v214, v126, v32
	s_waitcnt lgkmcnt(0)
	v_dot4c_i32_i8_e32 v224, v130, v36
	v_dot4c_i32_i8_e32 v233, v185, v32
	;; [unrolled: 1-line block ×31, first 2 shown]
	ds_read2_b32 v[212:213], v139 offset0:64 offset1:96
	ds_read_b128 v[32:35], v138 offset:2048
	ds_read_b128 v[36:39], v138 offset:2064
	v_mov_b32_e32 v221, 0
	v_mov_b32_e32 v220, 0
	;; [unrolled: 1-line block ×8, first 2 shown]
	s_waitcnt lgkmcnt(1)
	v_dot4c_i32_i8_e32 v221, v126, v32
	s_waitcnt lgkmcnt(0)
	v_dot4c_i32_i8_e32 v220, v130, v36
	v_dot4c_i32_i8_e32 v239, v185, v32
	;; [unrolled: 1-line block ×15, first 2 shown]
	v_add_u32_e32 v134, s21, v153
	v_dot4c_i32_i8_e32 v221, v128, v34
	v_dot4c_i32_i8_e32 v220, v132, v38
	;; [unrolled: 1-line block ×16, first 2 shown]
	ds_read_b128 v[32:35], v138 offset:3072
	ds_read_b128 v[36:39], v138 offset:3088
	ds_read_u16 v134, v134 offset:2
	v_add_u32_e32 v137, s21, v155
	v_mov_b32_e32 v222, 0
	s_waitcnt lgkmcnt(2)
	v_dot4c_i32_i8_e32 v222, v126, v32
	v_mov_b32_e32 v223, 0
	s_waitcnt lgkmcnt(0)
	v_lshrrev_b16_e32 v215, 8, v134
	v_bfe_i32 v134, v134, 0, 8
	v_bfe_i32 v215, v215, 0, 8
	v_mul_lo_u32 v136, v136, v215
	v_mul_lo_u32 v214, v214, v134
	v_mad_u64_u32 v[224:225], s[22:23], v224, v215, v[214:215]
	v_mad_u64_u32 v[226:227], s[22:23], v135, v134, v[136:137]
	v_cvt_f32_i32_e32 v225, v226
	v_cvt_f32_i32_e32 v224, v224
	v_dot4c_i32_i8_e32 v222, v127, v33
	v_dot4c_i32_i8_e32 v223, v130, v36
	;; [unrolled: 1-line block ×4, first 2 shown]
	v_mov_b32_e32 v228, v125
	v_mov_b32_e32 v229, v124
	v_dot4c_i32_i8_e32 v222, v129, v35
	v_dot4c_i32_i8_e32 v223, v132, v38
	v_pk_mul_f32 v[124:125], v[116:117], v[228:229] op_sel_hi:[0,1]
	v_dot4c_i32_i8_e32 v223, v133, v39
	v_mul_lo_u32 v220, v220, v215
	v_mul_lo_u32 v222, v222, v134
	v_pk_fma_f32 v[16:17], v[124:125], v[224:225], v[16:17]
	ds_read_u16 v124, v137 offset:2
	v_mad_u64_u32 v[222:223], s[22:23], v223, v215, v[222:223]
	v_mad_u64_u32 v[220:221], s[22:23], v221, v134, v[220:221]
	v_cvt_f32_i32_e32 v221, v220
	v_cvt_f32_i32_e32 v220, v222
	v_mov_b32_e32 v125, 0
	v_mov_b32_e32 v230, v213
	;; [unrolled: 1-line block ×3, first 2 shown]
	v_dot4c_i32_i8_e32 v125, v185, v32
	v_pk_mul_f32 v[212:213], v[116:117], v[230:231] op_sel_hi:[0,1]
	v_dot4c_i32_i8_e32 v125, v186, v33
	s_waitcnt lgkmcnt(0)
	v_lshrrev_b16_e32 v136, 8, v124
	v_pk_fma_f32 v[18:19], v[212:213], v[220:221], v[18:19]
	v_dot4c_i32_i8_e32 v125, v187, v34
	v_bfe_i32 v213, v124, 0, 8
	v_bfe_i32 v214, v136, 0, 8
	v_dot4c_i32_i8_e32 v125, v188, v35
	v_mul_lo_u32 v124, v210, v214
	v_mul_lo_u32 v136, v233, v213
	v_mov_b32_e32 v135, 0
	v_mul_lo_u32 v212, v125, v213
	v_mad_u64_u32 v[136:137], s[22:23], v234, v214, v[136:137]
	v_mad_u64_u32 v[124:125], s[22:23], v209, v213, v[124:125]
	v_dot4c_i32_i8_e32 v135, v189, v36
	v_cvt_f32_i32_e32 v125, v124
	v_cvt_f32_i32_e32 v124, v136
	v_dot4c_i32_i8_e32 v135, v190, v37
	v_dot4c_i32_i8_e32 v135, v191, v38
	v_add_u32_e32 v211, s21, v157
	v_dot4c_i32_i8_e32 v135, v192, v39
	v_mul_lo_u32 v210, v240, v214
	v_pk_mul_f32 v[224:225], v[118:119], v[228:229] op_sel_hi:[0,1]
	v_mad_u64_u32 v[222:223], s[22:23], v239, v213, v[210:211]
	v_mad_u64_u32 v[220:221], s[22:23], v135, v214, v[212:213]
	v_pk_fma_f32 v[28:29], v[224:225], v[124:125], v[28:29]
	ds_read_u16 v124, v211 offset:2
	v_cvt_f32_i32_e32 v137, v222
	v_cvt_f32_i32_e32 v136, v220
	v_mov_b32_e32 v125, 0
	v_pk_mul_f32 v[226:227], v[118:119], v[230:231] op_sel_hi:[0,1]
	v_dot4c_i32_i8_e32 v125, v193, v32
	v_pk_fma_f32 v[30:31], v[226:227], v[136:137], v[30:31]
	v_dot4c_i32_i8_e32 v125, v194, v33
	s_waitcnt lgkmcnt(0)
	v_lshrrev_b16_e32 v136, 8, v124
	v_dot4c_i32_i8_e32 v125, v195, v34
	v_bfe_i32 v211, v124, 0, 8
	v_bfe_i32 v212, v136, 0, 8
	v_dot4c_i32_i8_e32 v125, v196, v35
	v_mul_lo_u32 v124, v217, v212
	v_mul_lo_u32 v136, v235, v211
	v_mad_u64_u32 v[136:137], s[22:23], v236, v212, v[136:137]
	v_mul_lo_u32 v220, v125, v211
	v_mad_u64_u32 v[124:125], s[22:23], v216, v211, v[124:125]
	v_cvt_f32_i32_e32 v125, v124
	v_cvt_f32_i32_e32 v124, v136
	v_pk_mul_f32 v[216:217], v[120:121], v[228:229] op_sel_hi:[0,1]
	v_add_u32_e32 v218, s21, v159
	v_mov_b32_e32 v135, 0
	v_pk_fma_f32 v[24:25], v[216:217], v[124:125], v[24:25]
	v_mov_b32_e32 v124, 0
	v_dot4c_i32_i8_e32 v124, v201, v32
	ds_read_u16 v32, v218 offset:2
	v_dot4c_i32_i8_e32 v135, v197, v36
	v_dot4c_i32_i8_e32 v124, v202, v33
	v_mov_b32_e32 v33, 0
	v_dot4c_i32_i8_e32 v135, v198, v37
	v_dot4c_i32_i8_e32 v33, v205, v36
	;; [unrolled: 1-line block ×3, first 2 shown]
	v_mul_lo_u32 v210, v242, v212
	v_dot4c_i32_i8_e32 v124, v203, v34
	v_dot4c_i32_i8_e32 v33, v206, v37
	s_waitcnt lgkmcnt(0)
	v_lshrrev_b16_e32 v34, 8, v32
	v_dot4c_i32_i8_e32 v135, v200, v39
	v_mad_u64_u32 v[222:223], s[22:23], v241, v211, v[210:211]
	v_dot4c_i32_i8_e32 v124, v204, v35
	v_dot4c_i32_i8_e32 v33, v207, v38
	v_bfe_i32 v209, v32, 0, 8
	v_bfe_i32 v210, v34, 0, 8
	v_mad_u64_u32 v[220:221], s[22:23], v135, v212, v[220:221]
	v_dot4c_i32_i8_e32 v33, v208, v39
	v_mul_lo_u32 v32, v232, v210
	v_mul_lo_u32 v34, v237, v209
	v_mul_lo_u32 v36, v244, v210
	v_mul_lo_u32 v38, v124, v209
	v_cvt_f32_i32_e32 v137, v222
	v_cvt_f32_i32_e32 v136, v220
	v_mad_u64_u32 v[38:39], s[22:23], v33, v210, v[38:39]
	v_mad_u64_u32 v[36:37], s[22:23], v243, v209, v[36:37]
	;; [unrolled: 1-line block ×4, first 2 shown]
	v_cvt_f32_i32_e32 v33, v32
	v_cvt_f32_i32_e32 v32, v34
	;; [unrolled: 1-line block ×4, first 2 shown]
	v_pk_mul_f32 v[224:225], v[120:121], v[230:231] op_sel_hi:[0,1]
	v_pk_fma_f32 v[26:27], v[224:225], v[136:137], v[26:27]
	v_pk_mul_f32 v[124:125], v[122:123], v[228:229] op_sel_hi:[0,1]
	v_pk_mul_f32 v[136:137], v[122:123], v[230:231] op_sel_hi:[0,1]
	v_pk_fma_f32 v[22:23], v[136:137], v[34:35], v[22:23]
	v_pk_fma_f32 v[20:21], v[124:125], v[32:33], v[20:21]
	ds_read2_b32 v[124:125], v139 offset0:128 offset1:160
	ds_read_b128 v[32:35], v138 offset:4096
	ds_read_b128 v[36:39], v138 offset:4112
	v_mov_b32_e32 v135, 0
	v_mov_b32_e32 v234, 0
	v_mov_b32_e32 v224, 0
	v_mov_b32_e32 v225, 0
	v_mov_b32_e32 v220, 0
	v_mov_b32_e32 v221, 0
	v_mov_b32_e32 v216, 0
	v_mov_b32_e32 v217, 0
	s_waitcnt lgkmcnt(1)
	v_dot4c_i32_i8_e32 v135, v126, v32
	s_waitcnt lgkmcnt(0)
	v_dot4c_i32_i8_e32 v234, v130, v36
	v_dot4c_i32_i8_e32 v224, v185, v32
	;; [unrolled: 1-line block ×31, first 2 shown]
	ds_read_b128 v[32:35], v138 offset:5120
	ds_read_b128 v[36:39], v138 offset:5136
	v_mov_b32_e32 v235, 0
	v_mov_b32_e32 v236, 0
	;; [unrolled: 1-line block ×8, first 2 shown]
	s_waitcnt lgkmcnt(1)
	v_dot4c_i32_i8_e32 v235, v126, v32
	s_waitcnt lgkmcnt(0)
	v_dot4c_i32_i8_e32 v236, v130, v36
	v_dot4c_i32_i8_e32 v226, v185, v32
	;; [unrolled: 1-line block ×31, first 2 shown]
	ds_read2_b32 v[136:137], v139 offset0:192 offset1:224
	ds_read_b128 v[32:35], v138 offset:6144
	ds_read_b128 v[36:39], v138 offset:6160
	v_mov_b32_e32 v237, 0
	v_mov_b32_e32 v238, 0
	;; [unrolled: 1-line block ×8, first 2 shown]
	s_waitcnt lgkmcnt(1)
	v_dot4c_i32_i8_e32 v237, v126, v32
	s_waitcnt lgkmcnt(0)
	v_dot4c_i32_i8_e32 v238, v130, v36
	v_dot4c_i32_i8_e32 v232, v185, v32
	;; [unrolled: 1-line block ×31, first 2 shown]
	ds_read_b128 v[36:39], v138 offset:7168
	ds_read_b128 v[32:35], v138 offset:7184
	v_mov_b32_e32 v239, 0
	s_add_i32 s19, s19, 2
	s_add_i32 s18, s18, 1
	s_waitcnt lgkmcnt(1)
	v_dot4c_i32_i8_e32 v239, v126, v36
	v_dot4c_i32_i8_e32 v239, v127, v37
	v_mov_b32_e32 v127, 0
	s_waitcnt lgkmcnt(0)
	v_dot4c_i32_i8_e32 v127, v130, v32
	v_dot4c_i32_i8_e32 v239, v128, v38
	;; [unrolled: 1-line block ×6, first 2 shown]
	v_mul_lo_u32 v130, v238, v215
	v_mul_lo_u32 v128, v239, v134
	v_mad_u64_u32 v[130:131], s[22:23], v237, v134, v[130:131]
	v_mad_u64_u32 v[128:129], s[22:23], v127, v215, v[128:129]
	v_cvt_f32_i32_e32 v129, v130
	v_cvt_f32_i32_e32 v128, v128
	v_mul_lo_u32 v126, v234, v215
	v_mul_lo_u32 v132, v235, v134
	v_mad_u64_u32 v[134:135], s[22:23], v135, v134, v[126:127]
	v_mov_b32_e32 v126, v125
	v_mov_b32_e32 v127, v124
	;; [unrolled: 1-line block ×4, first 2 shown]
	v_pk_mul_f32 v[136:137], v[116:117], v[124:125] op_sel_hi:[0,1]
	v_mad_u64_u32 v[132:133], s[22:23], v236, v215, v[132:133]
	v_pk_fma_f32 v[14:15], v[136:137], v[128:129], v[14:15]
	v_mov_b32_e32 v129, 0
	v_cvt_f32_i32_e32 v133, v134
	v_cvt_f32_i32_e32 v132, v132
	v_dot4c_i32_i8_e32 v129, v185, v36
	v_dot4c_i32_i8_e32 v129, v186, v37
	v_mov_b32_e32 v131, 0
	v_dot4c_i32_i8_e32 v129, v187, v38
	v_dot4c_i32_i8_e32 v131, v189, v32
	v_pk_mul_f32 v[234:235], v[116:117], v[126:127] op_sel_hi:[0,1]
	v_dot4c_i32_i8_e32 v129, v188, v39
	v_dot4c_i32_i8_e32 v131, v190, v33
	v_mul_lo_u32 v116, v225, v214
	v_mul_lo_u32 v128, v226, v213
	v_pk_fma_f32 v[12:13], v[234:235], v[132:133], v[12:13]
	v_dot4c_i32_i8_e32 v131, v191, v34
	v_mul_lo_u32 v132, v129, v213
	v_mad_u64_u32 v[128:129], s[22:23], v227, v214, v[128:129]
	v_mad_u64_u32 v[134:135], s[22:23], v224, v213, v[116:117]
	v_dot4c_i32_i8_e32 v131, v192, v35
	v_mul_lo_u32 v130, v233, v214
	v_cvt_f32_i32_e32 v129, v134
	v_cvt_f32_i32_e32 v128, v128
	v_mad_u64_u32 v[132:133], s[22:23], v131, v214, v[132:133]
	v_mad_u64_u32 v[130:131], s[22:23], v232, v213, v[130:131]
	v_cvt_f32_i32_e32 v131, v130
	v_cvt_f32_i32_e32 v130, v132
	v_pk_mul_f32 v[136:137], v[118:119], v[126:127] op_sel_hi:[0,1]
	v_mul_lo_u32 v116, v221, v212
	v_pk_fma_f32 v[8:9], v[136:137], v[128:129], v[8:9]
	v_mov_b32_e32 v129, 0
	v_mad_u64_u32 v[134:135], s[22:23], v220, v211, v[116:117]
	v_mov_b32_e32 v116, 0
	v_pk_mul_f32 v[186:187], v[118:119], v[124:125] op_sel_hi:[0,1]
	v_dot4c_i32_i8_e32 v129, v193, v36
	v_dot4c_i32_i8_e32 v116, v201, v36
	v_pk_fma_f32 v[10:11], v[186:187], v[130:131], v[10:11]
	v_dot4c_i32_i8_e32 v129, v194, v37
	v_mov_b32_e32 v131, 0
	v_dot4c_i32_i8_e32 v116, v202, v37
	v_mov_b32_e32 v37, 0
	v_dot4c_i32_i8_e32 v131, v197, v32
	v_dot4c_i32_i8_e32 v37, v205, v32
	;; [unrolled: 1-line block ×11, first 2 shown]
	v_mul_lo_u32 v118, v223, v211
	v_mul_lo_u32 v128, v231, v212
	;; [unrolled: 1-line block ×3, first 2 shown]
                                        ; kill: def $vgpr129 killed $sgpr0 killed $exec
	v_dot4c_i32_i8_e32 v37, v208, v35
	v_mul_lo_u32 v32, v217, v210
	v_mul_lo_u32 v34, v219, v209
	;; [unrolled: 1-line block ×4, first 2 shown]
                                        ; kill: def $vgpr33 killed $sgpr0 killed $exec
	v_mad_u64_u32 v[130:131], s[22:23], v131, v212, v[130:131]
	v_mad_u64_u32 v[128:129], s[22:23], v230, v211, v[128:129]
	;; [unrolled: 1-line block ×7, first 2 shown]
	v_cvt_f32_i32_e32 v133, v134
	v_cvt_f32_i32_e32 v132, v132
	;; [unrolled: 1-line block ×8, first 2 shown]
	v_pk_mul_f32 v[136:137], v[120:121], v[126:127] op_sel_hi:[0,1]
	v_pk_mul_f32 v[186:187], v[120:121], v[124:125] op_sel_hi:[0,1]
	;; [unrolled: 1-line block ×4, first 2 shown]
	v_pk_fma_f32 v[6:7], v[186:187], v[128:129], v[6:7]
	v_pk_fma_f32 v[4:5], v[136:137], v[132:133], v[4:5]
	;; [unrolled: 1-line block ×4, first 2 shown]
	v_add_u32_e32 v139, 4, v139
	v_add_u32_e32 v138, 32, v138
	s_cmp_lt_u32 s20, 6
	s_mov_b32 s21, s20
	s_cbranch_scc1 .LBB169_7
; %bb.8:                                ;   in Loop: Header=BB169_6 Depth=1
	v_add_u32_e32 v116, s17, v149
	v_add_u32_e32 v118, v116, v105
	v_mad_i64_i32 v[124:125], s[18:19], v118, 36, v[76:77]
	v_add_u32_e32 v118, v116, v107
	v_add_u32_e32 v32, v116, v97
	v_add_u32_e32 v34, v116, v99
	v_add_u32_e32 v36, v116, v101
	v_add_u32_e32 v38, v116, v103
	v_mad_i64_i32 v[126:127], s[18:19], v118, 36, v[76:77]
	v_add_u32_e32 v118, v116, v109
	v_add_u32_e32 v116, v116, v111
	v_mad_i64_i32 v[130:131], s[18:19], v116, 36, v[76:77]
	v_add_u32_e32 v116, 4, v184
	v_mad_i64_i32 v[32:33], s[18:19], v32, 36, v[76:77]
	v_mad_i64_i32 v[34:35], s[18:19], v34, 36, v[76:77]
	;; [unrolled: 1-line block ×4, first 2 shown]
	v_mad_u64_u32 v[132:133], s[18:19], v116, 36, s[2:3]
	s_barrier
	v_mad_i64_i32 v[128:129], s[18:19], v118, 36, v[76:77]
	global_load_dword v116, v[132:133], off
	s_nop 0
	global_load_dword v32, v[32:33], off offset:4
	s_nop 0
	global_load_dword v33, v[34:35], off offset:4
	;; [unrolled: 2-line block ×3, first 2 shown]
	global_load_dword v35, v[38:39], off offset:4
	s_nop 0
	global_load_dword v36, v[124:125], off offset:4
	global_load_dword v37, v[126:127], off offset:4
	;; [unrolled: 1-line block ×4, first 2 shown]
	s_mov_b32 s18, 4
	s_mov_b32 s19, 8
	;; [unrolled: 1-line block ×3, first 2 shown]
	v_mov_b32_e32 v185, v162
	v_mov_b32_e32 v186, v160
	s_waitcnt vmcnt(8)
	v_cvt_f32_f16_e32 v116, v116
	s_waitcnt vmcnt(7)
	ds_write_b32 v167, v32
	s_waitcnt vmcnt(6)
	ds_write_b32 v168, v33
	;; [unrolled: 2-line block ×8, first 2 shown]
	ds_write_b32 v75, v116
	s_waitcnt lgkmcnt(0)
	s_barrier
.LBB169_9:                              ;   Parent Loop BB169_6 Depth=1
                                        ; =>  This Inner Loop Header: Depth=2
	s_add_i32 s20, s22, 2
	s_lshr_b32 s25, s20, 4
	s_and_b32 s23, s20, 0x3ffffff8
	v_lshl_add_u32 v122, s23, 2, v113
	s_lshl_b32 s23, s25, 5
	s_addk_i32 s23, 0x4200
	v_add3_u32 v120, s23, v175, v115
	v_add3_u32 v210, s23, v182, v146
	ds_read2_b32 v[124:125], v186 offset1:32
	ds_read_b128 v[36:39], v185
	ds_read_b128 v[32:35], v185 offset:16
	ds_read2_b32 v[126:127], v122 offset1:1
	ds_read2_b32 v[218:219], v210 offset0:6 offset1:7
	ds_read2_b32 v[128:129], v120 offset1:1
	s_add_i32 s21, s22, -6
	s_and_b32 s24, s19, -16
	s_waitcnt lgkmcnt(2)
	v_ashrrev_i32_e32 v116, s21, v126
	v_bfe_u32 v118, v116, 24, 2
	s_waitcnt lgkmcnt(0)
	v_ashrrev_i32_e32 v126, s18, v128
	v_lshlrev_b32_e32 v126, 2, v126
	v_and_b32_e32 v116, 0x3030303, v116
	v_and_b32_e32 v126, 0x4040404, v126
	v_sub_u16_e32 v128, v116, v126
	v_sub_u16_sdwa v130, v116, v126 dst_sel:BYTE_1 dst_unused:UNUSED_PAD src0_sel:BYTE_1 src1_sel:BYTE_1
	v_sub_u16_sdwa v116, v116, v126 dst_sel:DWORD dst_unused:UNUSED_PAD src0_sel:WORD_1 src1_sel:WORD_1
	v_sub_u16_sdwa v118, v118, v126 dst_sel:BYTE_1 dst_unused:UNUSED_PAD src0_sel:DWORD src1_sel:BYTE_3
	v_bitop3_b16 v128, v128, v130, s9 bitop3:0xec
	v_bitop3_b16 v116, v116, v118, s9 bitop3:0xec
	v_lshlrev_b32_e32 v116, 16, v116
	v_or_b32_sdwa v126, v128, v116 dst_sel:DWORD dst_unused:UNUSED_PAD src0_sel:WORD_0 src1_sel:DWORD
	v_ashrrev_i32_e32 v116, s21, v127
	v_ashrrev_i32_e32 v127, s18, v129
	v_lshlrev_b32_e32 v127, 2, v127
	v_bfe_u32 v118, v116, 24, 2
	v_and_b32_e32 v116, 0x3030303, v116
	v_and_b32_e32 v127, 0x4040404, v127
	v_sub_u16_e32 v128, v116, v127
	v_sub_u16_sdwa v129, v116, v127 dst_sel:BYTE_1 dst_unused:UNUSED_PAD src0_sel:BYTE_1 src1_sel:BYTE_1
	v_sub_u16_sdwa v116, v116, v127 dst_sel:DWORD dst_unused:UNUSED_PAD src0_sel:WORD_1 src1_sel:WORD_1
	v_sub_u16_sdwa v118, v118, v127 dst_sel:BYTE_1 dst_unused:UNUSED_PAD src0_sel:DWORD src1_sel:BYTE_3
	v_bitop3_b16 v128, v128, v129, s9 bitop3:0xec
	v_bitop3_b16 v116, v116, v118, s9 bitop3:0xec
	v_lshlrev_b32_e32 v116, 16, v116
	v_or_b32_sdwa v127, v128, v116 dst_sel:DWORD dst_unused:UNUSED_PAD src0_sel:WORD_0 src1_sel:DWORD
	ds_read2_b32 v[128:129], v122 offset0:2 offset1:3
	ds_read2_b32 v[130:131], v120 offset0:2 offset1:3
	s_add_i32 s22, s22, s24
	s_lshl_b32 s24, s25, 2
	s_add_i32 s24, s24, 0x9380
	s_waitcnt lgkmcnt(1)
	v_ashrrev_i32_e32 v116, s21, v128
	s_waitcnt lgkmcnt(0)
	v_ashrrev_i32_e32 v128, s18, v130
	v_lshlrev_b32_e32 v128, 2, v128
	v_bfe_u32 v118, v116, 24, 2
	v_and_b32_e32 v116, 0x3030303, v116
	v_and_b32_e32 v128, 0x4040404, v128
	v_sub_u16_e32 v130, v116, v128
	v_sub_u16_sdwa v132, v116, v128 dst_sel:BYTE_1 dst_unused:UNUSED_PAD src0_sel:BYTE_1 src1_sel:BYTE_1
	v_sub_u16_sdwa v116, v116, v128 dst_sel:DWORD dst_unused:UNUSED_PAD src0_sel:WORD_1 src1_sel:WORD_1
	v_sub_u16_sdwa v118, v118, v128 dst_sel:BYTE_1 dst_unused:UNUSED_PAD src0_sel:DWORD src1_sel:BYTE_3
	v_bitop3_b16 v130, v130, v132, s9 bitop3:0xec
	v_bitop3_b16 v116, v116, v118, s9 bitop3:0xec
	v_lshlrev_b32_e32 v116, 16, v116
	v_or_b32_sdwa v128, v130, v116 dst_sel:DWORD dst_unused:UNUSED_PAD src0_sel:WORD_0 src1_sel:DWORD
	v_ashrrev_i32_e32 v116, s21, v129
	v_ashrrev_i32_e32 v129, s18, v131
	v_lshlrev_b32_e32 v129, 2, v129
	v_bfe_u32 v118, v116, 24, 2
	v_and_b32_e32 v116, 0x3030303, v116
	v_and_b32_e32 v129, 0x4040404, v129
	v_sub_u16_e32 v130, v116, v129
	v_sub_u16_sdwa v131, v116, v129 dst_sel:BYTE_1 dst_unused:UNUSED_PAD src0_sel:BYTE_1 src1_sel:BYTE_1
	v_sub_u16_sdwa v116, v116, v129 dst_sel:DWORD dst_unused:UNUSED_PAD src0_sel:WORD_1 src1_sel:WORD_1
	v_sub_u16_sdwa v118, v118, v129 dst_sel:BYTE_1 dst_unused:UNUSED_PAD src0_sel:DWORD src1_sel:BYTE_3
	v_bitop3_b16 v130, v130, v131, s9 bitop3:0xec
	v_bitop3_b16 v116, v116, v118, s9 bitop3:0xec
	v_lshlrev_b32_e32 v116, 16, v116
	v_or_b32_sdwa v129, v130, v116 dst_sel:DWORD dst_unused:UNUSED_PAD src0_sel:WORD_0 src1_sel:DWORD
	ds_read2_b32 v[130:131], v122 offset0:4 offset1:5
	ds_read2_b32 v[132:133], v120 offset0:4 offset1:5
	v_add3_u32 v137, s23, v178, v117
	ds_read2_b32 v[188:189], v137 offset1:1
	v_add3_u32 v204, s23, v180, v142
	s_waitcnt lgkmcnt(2)
	v_ashrrev_i32_e32 v116, s21, v130
	s_waitcnt lgkmcnt(1)
	v_ashrrev_i32_e32 v130, s18, v132
	v_lshlrev_b32_e32 v130, 2, v130
	v_bfe_u32 v118, v116, 24, 2
	v_and_b32_e32 v116, 0x3030303, v116
	v_and_b32_e32 v130, 0x4040404, v130
	v_sub_u16_e32 v132, v116, v130
	v_sub_u16_sdwa v134, v116, v130 dst_sel:BYTE_1 dst_unused:UNUSED_PAD src0_sel:BYTE_1 src1_sel:BYTE_1
	v_sub_u16_sdwa v116, v116, v130 dst_sel:DWORD dst_unused:UNUSED_PAD src0_sel:WORD_1 src1_sel:WORD_1
	v_sub_u16_sdwa v118, v118, v130 dst_sel:BYTE_1 dst_unused:UNUSED_PAD src0_sel:DWORD src1_sel:BYTE_3
	v_bitop3_b16 v132, v132, v134, s9 bitop3:0xec
	v_bitop3_b16 v116, v116, v118, s9 bitop3:0xec
	v_lshlrev_b32_e32 v116, 16, v116
	v_or_b32_sdwa v130, v132, v116 dst_sel:DWORD dst_unused:UNUSED_PAD src0_sel:WORD_0 src1_sel:DWORD
	v_ashrrev_i32_e32 v116, s21, v131
	v_ashrrev_i32_e32 v131, s18, v133
	v_lshlrev_b32_e32 v131, 2, v131
	v_bfe_u32 v118, v116, 24, 2
	v_and_b32_e32 v116, 0x3030303, v116
	v_and_b32_e32 v131, 0x4040404, v131
	v_sub_u16_e32 v132, v116, v131
	v_sub_u16_sdwa v133, v116, v131 dst_sel:BYTE_1 dst_unused:UNUSED_PAD src0_sel:BYTE_1 src1_sel:BYTE_1
	v_sub_u16_sdwa v116, v116, v131 dst_sel:DWORD dst_unused:UNUSED_PAD src0_sel:WORD_1 src1_sel:WORD_1
	v_sub_u16_sdwa v118, v118, v131 dst_sel:BYTE_1 dst_unused:UNUSED_PAD src0_sel:DWORD src1_sel:BYTE_3
	v_bitop3_b16 v132, v132, v133, s9 bitop3:0xec
	v_bitop3_b16 v116, v116, v118, s9 bitop3:0xec
	v_lshlrev_b32_e32 v116, 16, v116
	v_or_b32_sdwa v131, v132, v116 dst_sel:DWORD dst_unused:UNUSED_PAD src0_sel:WORD_0 src1_sel:DWORD
	ds_read2_b32 v[132:133], v122 offset0:6 offset1:7
	ds_read2_b32 v[134:135], v120 offset0:6 offset1:7
	ds_read2_b32 v[190:191], v137 offset0:2 offset1:3
	ds_read2_b32 v[192:193], v137 offset0:4 offset1:5
	v_mov_b32_e32 v136, 0
	s_waitcnt lgkmcnt(3)
	v_ashrrev_i32_e32 v116, s21, v132
	s_waitcnt lgkmcnt(2)
	v_ashrrev_i32_e32 v120, s18, v134
	v_lshlrev_b32_e32 v120, 2, v120
	v_bfe_u32 v118, v116, 24, 2
	v_and_b32_e32 v116, 0x3030303, v116
	v_and_b32_e32 v120, 0x4040404, v120
	v_sub_u16_e32 v132, v116, v120
	v_sub_u16_sdwa v134, v116, v120 dst_sel:BYTE_1 dst_unused:UNUSED_PAD src0_sel:BYTE_1 src1_sel:BYTE_1
	v_sub_u16_sdwa v116, v116, v120 dst_sel:DWORD dst_unused:UNUSED_PAD src0_sel:WORD_1 src1_sel:WORD_1
	v_sub_u16_sdwa v118, v118, v120 dst_sel:BYTE_1 dst_unused:UNUSED_PAD src0_sel:DWORD src1_sel:BYTE_3
	v_bitop3_b16 v132, v132, v134, s9 bitop3:0xec
	v_bitop3_b16 v116, v116, v118, s9 bitop3:0xec
	v_lshlrev_b32_e32 v116, 16, v116
	v_ashrrev_i32_e32 v120, s18, v135
	v_or_b32_sdwa v132, v132, v116 dst_sel:DWORD dst_unused:UNUSED_PAD src0_sel:WORD_0 src1_sel:DWORD
	v_ashrrev_i32_e32 v116, s21, v133
	v_lshlrev_b32_e32 v120, 2, v120
	v_bfe_u32 v118, v116, 24, 2
	v_and_b32_e32 v116, 0x3030303, v116
	v_and_b32_e32 v120, 0x4040404, v120
	v_sub_u16_e32 v133, v116, v120
	v_sub_u16_sdwa v134, v116, v120 dst_sel:BYTE_1 dst_unused:UNUSED_PAD src0_sel:BYTE_1 src1_sel:BYTE_1
	v_sub_u16_sdwa v116, v116, v120 dst_sel:DWORD dst_unused:UNUSED_PAD src0_sel:WORD_1 src1_sel:WORD_1
	v_sub_u16_sdwa v118, v118, v120 dst_sel:BYTE_1 dst_unused:UNUSED_PAD src0_sel:DWORD src1_sel:BYTE_3
	v_bitop3_b16 v133, v133, v134, s9 bitop3:0xec
	v_bitop3_b16 v116, v116, v118, s9 bitop3:0xec
	v_lshlrev_b32_e32 v116, 16, v116
	v_or_b32_sdwa v133, v133, v116 dst_sel:DWORD dst_unused:UNUSED_PAD src0_sel:WORD_0 src1_sel:DWORD
	v_add3_u32 v116, s24, v176, v177
	v_add_u32_e32 v118, 0x1080, v122
	ds_read_b32 v116, v116
	ds_read2_b32 v[138:139], v118 offset1:1
	ds_read2_b32 v[194:195], v137 offset0:6 offset1:7
	ds_read2_b32 v[198:199], v204 offset1:1
	v_mov_b32_e32 v135, 0
	v_mov_b32_e32 v212, 0
	s_waitcnt lgkmcnt(2)
	v_ashrrev_i32_e32 v118, s21, v138
	v_ashrrev_i32_e32 v138, s18, v188
	v_lshlrev_b32_e32 v138, 2, v138
	v_bfe_u32 v120, v118, 24, 2
	v_and_b32_e32 v118, 0x3030303, v118
	v_and_b32_e32 v138, 0x4040404, v138
	v_sub_u16_e32 v187, v118, v138
	v_sub_u16_sdwa v188, v118, v138 dst_sel:BYTE_1 dst_unused:UNUSED_PAD src0_sel:BYTE_1 src1_sel:BYTE_1
	v_sub_u16_sdwa v118, v118, v138 dst_sel:DWORD dst_unused:UNUSED_PAD src0_sel:WORD_1 src1_sel:WORD_1
	v_sub_u16_sdwa v120, v120, v138 dst_sel:BYTE_1 dst_unused:UNUSED_PAD src0_sel:DWORD src1_sel:BYTE_3
	v_bitop3_b16 v187, v187, v188, s9 bitop3:0xec
	v_bitop3_b16 v118, v118, v120, s9 bitop3:0xec
	v_lshlrev_b32_e32 v118, 16, v118
	v_ashrrev_i32_e32 v138, s18, v189
	v_or_b32_sdwa v187, v187, v118 dst_sel:DWORD dst_unused:UNUSED_PAD src0_sel:WORD_0 src1_sel:DWORD
	v_ashrrev_i32_e32 v118, s21, v139
	v_lshlrev_b32_e32 v138, 2, v138
	v_bfe_u32 v120, v118, 24, 2
	v_and_b32_e32 v118, 0x3030303, v118
	v_and_b32_e32 v138, 0x4040404, v138
	v_sub_u16_e32 v139, v118, v138
	v_sub_u16_sdwa v188, v118, v138 dst_sel:BYTE_1 dst_unused:UNUSED_PAD src0_sel:BYTE_1 src1_sel:BYTE_1
	v_sub_u16_sdwa v118, v118, v138 dst_sel:DWORD dst_unused:UNUSED_PAD src0_sel:WORD_1 src1_sel:WORD_1
	v_sub_u16_sdwa v120, v120, v138 dst_sel:BYTE_1 dst_unused:UNUSED_PAD src0_sel:DWORD src1_sel:BYTE_3
	v_bitop3_b16 v139, v139, v188, s9 bitop3:0xec
	v_bitop3_b16 v118, v118, v120, s9 bitop3:0xec
	v_lshlrev_b32_e32 v118, 16, v118
	v_or_b32_sdwa v188, v139, v118 dst_sel:DWORD dst_unused:UNUSED_PAD src0_sel:WORD_0 src1_sel:DWORD
	v_add_u32_e32 v118, 0x1088, v122
	ds_read2_b32 v[138:139], v118 offset1:1
	s_waitcnt lgkmcnt(2)
	v_ashrrev_i32_e32 v137, s18, v194
	v_lshlrev_b32_e32 v137, 2, v137
	v_and_b32_e32 v137, 0x4040404, v137
	v_mov_b32_e32 v217, 0
	s_waitcnt lgkmcnt(0)
	v_ashrrev_i32_e32 v118, s21, v138
	v_ashrrev_i32_e32 v138, s18, v190
	v_lshlrev_b32_e32 v138, 2, v138
	v_bfe_u32 v120, v118, 24, 2
	v_and_b32_e32 v118, 0x3030303, v118
	v_and_b32_e32 v138, 0x4040404, v138
	v_sub_u16_e32 v189, v118, v138
	v_sub_u16_sdwa v190, v118, v138 dst_sel:BYTE_1 dst_unused:UNUSED_PAD src0_sel:BYTE_1 src1_sel:BYTE_1
	v_sub_u16_sdwa v118, v118, v138 dst_sel:DWORD dst_unused:UNUSED_PAD src0_sel:WORD_1 src1_sel:WORD_1
	v_sub_u16_sdwa v120, v120, v138 dst_sel:BYTE_1 dst_unused:UNUSED_PAD src0_sel:DWORD src1_sel:BYTE_3
	v_bitop3_b16 v189, v189, v190, s9 bitop3:0xec
	v_bitop3_b16 v118, v118, v120, s9 bitop3:0xec
	v_lshlrev_b32_e32 v118, 16, v118
	v_ashrrev_i32_e32 v138, s18, v191
	v_or_b32_sdwa v189, v189, v118 dst_sel:DWORD dst_unused:UNUSED_PAD src0_sel:WORD_0 src1_sel:DWORD
	v_ashrrev_i32_e32 v118, s21, v139
	v_lshlrev_b32_e32 v138, 2, v138
	v_bfe_u32 v120, v118, 24, 2
	v_and_b32_e32 v118, 0x3030303, v118
	v_and_b32_e32 v138, 0x4040404, v138
	v_sub_u16_e32 v139, v118, v138
	v_sub_u16_sdwa v190, v118, v138 dst_sel:BYTE_1 dst_unused:UNUSED_PAD src0_sel:BYTE_1 src1_sel:BYTE_1
	v_sub_u16_sdwa v118, v118, v138 dst_sel:DWORD dst_unused:UNUSED_PAD src0_sel:WORD_1 src1_sel:WORD_1
	v_sub_u16_sdwa v120, v120, v138 dst_sel:BYTE_1 dst_unused:UNUSED_PAD src0_sel:DWORD src1_sel:BYTE_3
	v_bitop3_b16 v139, v139, v190, s9 bitop3:0xec
	v_bitop3_b16 v118, v118, v120, s9 bitop3:0xec
	v_lshlrev_b32_e32 v118, 16, v118
	v_or_b32_sdwa v190, v139, v118 dst_sel:DWORD dst_unused:UNUSED_PAD src0_sel:WORD_0 src1_sel:DWORD
	v_add_u32_e32 v118, 0x1090, v122
	ds_read2_b32 v[138:139], v118 offset1:1
	v_mov_b32_e32 v228, 0
	v_dot4c_i32_i8_e32 v135, v126, v36
	v_dot4c_i32_i8_e32 v136, v130, v32
	;; [unrolled: 1-line block ×3, first 2 shown]
	s_waitcnt lgkmcnt(0)
	v_ashrrev_i32_e32 v118, s21, v138
	v_ashrrev_i32_e32 v138, s18, v192
	v_lshlrev_b32_e32 v138, 2, v138
	v_bfe_u32 v120, v118, 24, 2
	v_and_b32_e32 v118, 0x3030303, v118
	v_and_b32_e32 v138, 0x4040404, v138
	v_sub_u16_e32 v191, v118, v138
	v_sub_u16_sdwa v192, v118, v138 dst_sel:BYTE_1 dst_unused:UNUSED_PAD src0_sel:BYTE_1 src1_sel:BYTE_1
	v_sub_u16_sdwa v118, v118, v138 dst_sel:DWORD dst_unused:UNUSED_PAD src0_sel:WORD_1 src1_sel:WORD_1
	v_sub_u16_sdwa v120, v120, v138 dst_sel:BYTE_1 dst_unused:UNUSED_PAD src0_sel:DWORD src1_sel:BYTE_3
	v_bitop3_b16 v191, v191, v192, s9 bitop3:0xec
	v_bitop3_b16 v118, v118, v120, s9 bitop3:0xec
	v_lshlrev_b32_e32 v118, 16, v118
	v_ashrrev_i32_e32 v138, s18, v193
	v_or_b32_sdwa v191, v191, v118 dst_sel:DWORD dst_unused:UNUSED_PAD src0_sel:WORD_0 src1_sel:DWORD
	v_ashrrev_i32_e32 v118, s21, v139
	v_lshlrev_b32_e32 v138, 2, v138
	v_bfe_u32 v120, v118, 24, 2
	v_and_b32_e32 v118, 0x3030303, v118
	v_and_b32_e32 v138, 0x4040404, v138
	v_sub_u16_e32 v139, v118, v138
	v_sub_u16_sdwa v192, v118, v138 dst_sel:BYTE_1 dst_unused:UNUSED_PAD src0_sel:BYTE_1 src1_sel:BYTE_1
	v_sub_u16_sdwa v118, v118, v138 dst_sel:DWORD dst_unused:UNUSED_PAD src0_sel:WORD_1 src1_sel:WORD_1
	v_sub_u16_sdwa v120, v120, v138 dst_sel:BYTE_1 dst_unused:UNUSED_PAD src0_sel:DWORD src1_sel:BYTE_3
	v_bitop3_b16 v139, v139, v192, s9 bitop3:0xec
	v_bitop3_b16 v118, v118, v120, s9 bitop3:0xec
	v_lshlrev_b32_e32 v118, 16, v118
	v_or_b32_sdwa v192, v139, v118 dst_sel:DWORD dst_unused:UNUSED_PAD src0_sel:WORD_0 src1_sel:DWORD
	v_add_u32_e32 v118, 0x1098, v122
	ds_read2_b32 v[138:139], v118 offset1:1
	v_dot4c_i32_i8_e32 v136, v131, v33
	v_dot4c_i32_i8_e32 v135, v128, v38
	;; [unrolled: 1-line block ×4, first 2 shown]
	s_waitcnt lgkmcnt(0)
	v_ashrrev_i32_e32 v118, s21, v138
	v_bfe_u32 v120, v118, 24, 2
	v_and_b32_e32 v118, 0x3030303, v118
	v_sub_u16_e32 v138, v118, v137
	v_sub_u16_sdwa v193, v118, v137 dst_sel:BYTE_1 dst_unused:UNUSED_PAD src0_sel:BYTE_1 src1_sel:BYTE_1
	v_sub_u16_sdwa v118, v118, v137 dst_sel:DWORD dst_unused:UNUSED_PAD src0_sel:WORD_1 src1_sel:WORD_1
	v_sub_u16_sdwa v120, v120, v137 dst_sel:BYTE_1 dst_unused:UNUSED_PAD src0_sel:DWORD src1_sel:BYTE_3
	v_bitop3_b16 v138, v138, v193, s9 bitop3:0xec
	v_bitop3_b16 v118, v118, v120, s9 bitop3:0xec
	v_lshlrev_b32_e32 v118, 16, v118
	v_ashrrev_i32_e32 v137, s18, v195
	v_or_b32_sdwa v193, v138, v118 dst_sel:DWORD dst_unused:UNUSED_PAD src0_sel:WORD_0 src1_sel:DWORD
	v_ashrrev_i32_e32 v118, s21, v139
	v_lshlrev_b32_e32 v137, 2, v137
	v_bfe_u32 v120, v118, 24, 2
	v_and_b32_e32 v118, 0x3030303, v118
	v_and_b32_e32 v137, 0x4040404, v137
	v_sub_u16_e32 v138, v118, v137
	v_sub_u16_sdwa v139, v118, v137 dst_sel:BYTE_1 dst_unused:UNUSED_PAD src0_sel:BYTE_1 src1_sel:BYTE_1
	v_sub_u16_sdwa v118, v118, v137 dst_sel:DWORD dst_unused:UNUSED_PAD src0_sel:WORD_1 src1_sel:WORD_1
	v_sub_u16_sdwa v120, v120, v137 dst_sel:BYTE_1 dst_unused:UNUSED_PAD src0_sel:DWORD src1_sel:BYTE_3
	v_bitop3_b16 v138, v138, v139, s9 bitop3:0xec
	v_bitop3_b16 v118, v118, v120, s9 bitop3:0xec
	v_lshlrev_b32_e32 v118, 16, v118
	v_or_b32_sdwa v194, v138, v118 dst_sel:DWORD dst_unused:UNUSED_PAD src0_sel:WORD_0 src1_sel:DWORD
	v_add3_u32 v118, s24, v179, v119
	v_add_u32_e32 v120, 0x2100, v122
	ds_read_b32 v118, v118
	ds_read2_b32 v[196:197], v120 offset1:1
	v_mov_b32_e32 v138, 0
	v_mov_b32_e32 v139, 0
	v_dot4c_i32_i8_e32 v138, v187, v36
	v_dot4c_i32_i8_e32 v139, v191, v32
	s_waitcnt lgkmcnt(0)
	v_ashrrev_i32_e32 v120, s21, v196
	v_ashrrev_i32_e32 v196, s18, v198
	v_lshlrev_b32_e32 v196, 2, v196
	v_bfe_u32 v195, v120, 24, 2
	v_and_b32_e32 v120, 0x3030303, v120
	v_and_b32_e32 v196, 0x4040404, v196
	v_sub_u16_e32 v198, v120, v196
	v_sub_u16_sdwa v200, v120, v196 dst_sel:BYTE_1 dst_unused:UNUSED_PAD src0_sel:BYTE_1 src1_sel:BYTE_1
	v_sub_u16_sdwa v120, v120, v196 dst_sel:DWORD dst_unused:UNUSED_PAD src0_sel:WORD_1 src1_sel:WORD_1
	v_sub_u16_sdwa v195, v195, v196 dst_sel:BYTE_1 dst_unused:UNUSED_PAD src0_sel:DWORD src1_sel:BYTE_3
	v_bitop3_b16 v198, v198, v200, s9 bitop3:0xec
	v_bitop3_b16 v120, v120, v195, s9 bitop3:0xec
	v_lshlrev_b32_e32 v120, 16, v120
	v_or_b32_sdwa v195, v198, v120 dst_sel:DWORD dst_unused:UNUSED_PAD src0_sel:WORD_0 src1_sel:DWORD
	v_ashrrev_i32_e32 v120, s21, v197
	v_ashrrev_i32_e32 v197, s18, v199
	v_lshlrev_b32_e32 v197, 2, v197
	v_bfe_u32 v196, v120, 24, 2
	v_and_b32_e32 v120, 0x3030303, v120
	v_and_b32_e32 v197, 0x4040404, v197
	v_sub_u16_e32 v198, v120, v197
	v_sub_u16_sdwa v199, v120, v197 dst_sel:BYTE_1 dst_unused:UNUSED_PAD src0_sel:BYTE_1 src1_sel:BYTE_1
	v_sub_u16_sdwa v120, v120, v197 dst_sel:DWORD dst_unused:UNUSED_PAD src0_sel:WORD_1 src1_sel:WORD_1
	v_sub_u16_sdwa v196, v196, v197 dst_sel:BYTE_1 dst_unused:UNUSED_PAD src0_sel:DWORD src1_sel:BYTE_3
	v_bitop3_b16 v198, v198, v199, s9 bitop3:0xec
	v_bitop3_b16 v120, v120, v196, s9 bitop3:0xec
	v_lshlrev_b32_e32 v120, 16, v120
	v_or_b32_sdwa v196, v198, v120 dst_sel:DWORD dst_unused:UNUSED_PAD src0_sel:WORD_0 src1_sel:DWORD
	v_add_u32_e32 v120, 0x2108, v122
	ds_read2_b32 v[198:199], v120 offset1:1
	ds_read2_b32 v[200:201], v204 offset0:2 offset1:3
	v_dot4c_i32_i8_e32 v212, v195, v36
	v_dot4c_i32_i8_e32 v138, v188, v37
	v_dot4c_i32_i8_e32 v139, v192, v33
	s_waitcnt lgkmcnt(1)
	v_ashrrev_i32_e32 v120, s21, v198
	s_waitcnt lgkmcnt(0)
	v_ashrrev_i32_e32 v198, s18, v200
	v_lshlrev_b32_e32 v198, 2, v198
	v_bfe_u32 v197, v120, 24, 2
	v_and_b32_e32 v120, 0x3030303, v120
	v_and_b32_e32 v198, 0x4040404, v198
	v_sub_u16_e32 v200, v120, v198
	v_sub_u16_sdwa v202, v120, v198 dst_sel:BYTE_1 dst_unused:UNUSED_PAD src0_sel:BYTE_1 src1_sel:BYTE_1
	v_sub_u16_sdwa v120, v120, v198 dst_sel:DWORD dst_unused:UNUSED_PAD src0_sel:WORD_1 src1_sel:WORD_1
	v_sub_u16_sdwa v197, v197, v198 dst_sel:BYTE_1 dst_unused:UNUSED_PAD src0_sel:DWORD src1_sel:BYTE_3
	v_bitop3_b16 v200, v200, v202, s9 bitop3:0xec
	v_bitop3_b16 v120, v120, v197, s9 bitop3:0xec
	v_lshlrev_b32_e32 v120, 16, v120
	v_or_b32_sdwa v197, v200, v120 dst_sel:DWORD dst_unused:UNUSED_PAD src0_sel:WORD_0 src1_sel:DWORD
	v_ashrrev_i32_e32 v120, s21, v199
	v_ashrrev_i32_e32 v199, s18, v201
	v_lshlrev_b32_e32 v199, 2, v199
	v_bfe_u32 v198, v120, 24, 2
	v_and_b32_e32 v120, 0x3030303, v120
	v_and_b32_e32 v199, 0x4040404, v199
	v_sub_u16_e32 v200, v120, v199
	v_sub_u16_sdwa v201, v120, v199 dst_sel:BYTE_1 dst_unused:UNUSED_PAD src0_sel:BYTE_1 src1_sel:BYTE_1
	v_sub_u16_sdwa v120, v120, v199 dst_sel:DWORD dst_unused:UNUSED_PAD src0_sel:WORD_1 src1_sel:WORD_1
	v_sub_u16_sdwa v198, v198, v199 dst_sel:BYTE_1 dst_unused:UNUSED_PAD src0_sel:DWORD src1_sel:BYTE_3
	v_bitop3_b16 v200, v200, v201, s9 bitop3:0xec
	v_bitop3_b16 v120, v120, v198, s9 bitop3:0xec
	v_lshlrev_b32_e32 v120, 16, v120
	v_or_b32_sdwa v198, v200, v120 dst_sel:DWORD dst_unused:UNUSED_PAD src0_sel:WORD_0 src1_sel:DWORD
	v_add_u32_e32 v120, 0x2110, v122
	ds_read2_b32 v[200:201], v120 offset1:1
	ds_read2_b32 v[202:203], v204 offset0:4 offset1:5
	v_dot4c_i32_i8_e32 v212, v196, v37
	v_dot4c_i32_i8_e32 v138, v189, v38
	v_dot4c_i32_i8_e32 v139, v193, v34
	s_waitcnt lgkmcnt(1)
	v_ashrrev_i32_e32 v120, s21, v200
	s_waitcnt lgkmcnt(0)
	;; [unrolled: 36-line block ×3, first 2 shown]
	v_ashrrev_i32_e32 v202, s18, v204
	v_lshlrev_b32_e32 v202, 2, v202
	v_bfe_u32 v201, v120, 24, 2
	v_and_b32_e32 v120, 0x3030303, v120
	v_and_b32_e32 v202, 0x4040404, v202
	v_sub_u16_e32 v204, v120, v202
	v_sub_u16_sdwa v206, v120, v202 dst_sel:BYTE_1 dst_unused:UNUSED_PAD src0_sel:BYTE_1 src1_sel:BYTE_1
	v_sub_u16_sdwa v120, v120, v202 dst_sel:DWORD dst_unused:UNUSED_PAD src0_sel:WORD_1 src1_sel:WORD_1
	v_sub_u16_sdwa v201, v201, v202 dst_sel:BYTE_1 dst_unused:UNUSED_PAD src0_sel:DWORD src1_sel:BYTE_3
	v_bitop3_b16 v204, v204, v206, s9 bitop3:0xec
	v_bitop3_b16 v120, v120, v201, s9 bitop3:0xec
	v_lshlrev_b32_e32 v120, 16, v120
	v_or_b32_sdwa v201, v204, v120 dst_sel:DWORD dst_unused:UNUSED_PAD src0_sel:WORD_0 src1_sel:DWORD
	v_ashrrev_i32_e32 v120, s21, v203
	v_ashrrev_i32_e32 v203, s18, v205
	v_lshlrev_b32_e32 v203, 2, v203
	v_bfe_u32 v202, v120, 24, 2
	v_and_b32_e32 v120, 0x3030303, v120
	v_and_b32_e32 v203, 0x4040404, v203
	v_sub_u16_e32 v204, v120, v203
	v_sub_u16_sdwa v205, v120, v203 dst_sel:BYTE_1 dst_unused:UNUSED_PAD src0_sel:BYTE_1 src1_sel:BYTE_1
	v_sub_u16_sdwa v120, v120, v203 dst_sel:DWORD dst_unused:UNUSED_PAD src0_sel:WORD_1 src1_sel:WORD_1
	v_sub_u16_sdwa v202, v202, v203 dst_sel:BYTE_1 dst_unused:UNUSED_PAD src0_sel:DWORD src1_sel:BYTE_3
	v_bitop3_b16 v204, v204, v205, s9 bitop3:0xec
	v_bitop3_b16 v120, v120, v202, s9 bitop3:0xec
	v_lshlrev_b32_e32 v120, 16, v120
	v_add_u32_e32 v203, 0x3180, v122
	v_or_b32_sdwa v202, v204, v120 dst_sel:DWORD dst_unused:UNUSED_PAD src0_sel:WORD_0 src1_sel:DWORD
	ds_read2_b32 v[204:205], v203 offset1:1
	ds_read2_b32 v[206:207], v210 offset1:1
	v_add3_u32 v120, s24, v181, v144
	ds_read_b32 v120, v120
	v_dot4c_i32_i8_e32 v217, v201, v34
	s_waitcnt lgkmcnt(2)
	v_ashrrev_i32_e32 v203, s21, v204
	s_waitcnt lgkmcnt(1)
	v_ashrrev_i32_e32 v206, s18, v206
	v_lshlrev_b32_e32 v206, 2, v206
	v_bfe_u32 v204, v203, 24, 2
	v_and_b32_e32 v203, 0x3030303, v203
	v_and_b32_e32 v206, 0x4040404, v206
	v_sub_u16_e32 v208, v203, v206
	v_sub_u16_sdwa v209, v203, v206 dst_sel:BYTE_1 dst_unused:UNUSED_PAD src0_sel:BYTE_1 src1_sel:BYTE_1
	v_sub_u16_sdwa v203, v203, v206 dst_sel:DWORD dst_unused:UNUSED_PAD src0_sel:WORD_1 src1_sel:WORD_1
	v_sub_u16_sdwa v204, v204, v206 dst_sel:BYTE_1 dst_unused:UNUSED_PAD src0_sel:DWORD src1_sel:BYTE_3
	v_ashrrev_i32_e32 v206, s18, v207
	v_bitop3_b16 v203, v203, v204, s9 bitop3:0xec
	v_ashrrev_i32_e32 v204, s21, v205
	v_lshlrev_b32_e32 v206, 2, v206
	v_bitop3_b16 v208, v208, v209, s9 bitop3:0xec
	v_lshlrev_b32_e32 v203, 16, v203
	v_bfe_u32 v205, v204, 24, 2
	v_and_b32_e32 v204, 0x3030303, v204
	v_and_b32_e32 v206, 0x4040404, v206
	v_or_b32_sdwa v203, v208, v203 dst_sel:DWORD dst_unused:UNUSED_PAD src0_sel:WORD_0 src1_sel:DWORD
	v_sub_u16_e32 v207, v204, v206
	v_sub_u16_sdwa v208, v204, v206 dst_sel:BYTE_1 dst_unused:UNUSED_PAD src0_sel:BYTE_1 src1_sel:BYTE_1
	v_sub_u16_sdwa v204, v204, v206 dst_sel:DWORD dst_unused:UNUSED_PAD src0_sel:WORD_1 src1_sel:WORD_1
	v_sub_u16_sdwa v205, v205, v206 dst_sel:BYTE_1 dst_unused:UNUSED_PAD src0_sel:DWORD src1_sel:BYTE_3
	v_bitop3_b16 v207, v207, v208, s9 bitop3:0xec
	v_bitop3_b16 v204, v204, v205, s9 bitop3:0xec
	v_lshlrev_b32_e32 v204, 16, v204
	v_add_u32_e32 v205, 0x3188, v122
	v_or_b32_sdwa v204, v207, v204 dst_sel:DWORD dst_unused:UNUSED_PAD src0_sel:WORD_0 src1_sel:DWORD
	ds_read2_b32 v[206:207], v205 offset1:1
	ds_read2_b32 v[208:209], v210 offset0:2 offset1:3
	v_dot4c_i32_i8_e32 v136, v133, v35
	v_dot4c_i32_i8_e32 v138, v190, v39
	;; [unrolled: 1-line block ×3, first 2 shown]
	s_waitcnt lgkmcnt(1)
	v_ashrrev_i32_e32 v205, s21, v206
	s_waitcnt lgkmcnt(0)
	v_ashrrev_i32_e32 v208, s18, v208
	v_lshlrev_b32_e32 v208, 2, v208
	v_bfe_u32 v206, v205, 24, 2
	v_and_b32_e32 v205, 0x3030303, v205
	v_and_b32_e32 v208, 0x4040404, v208
	v_sub_u16_e32 v213, v205, v208
	v_sub_u16_sdwa v214, v205, v208 dst_sel:BYTE_1 dst_unused:UNUSED_PAD src0_sel:BYTE_1 src1_sel:BYTE_1
	v_sub_u16_sdwa v205, v205, v208 dst_sel:DWORD dst_unused:UNUSED_PAD src0_sel:WORD_1 src1_sel:WORD_1
	v_sub_u16_sdwa v206, v206, v208 dst_sel:BYTE_1 dst_unused:UNUSED_PAD src0_sel:DWORD src1_sel:BYTE_3
	v_ashrrev_i32_e32 v208, s18, v209
	v_bitop3_b16 v205, v205, v206, s9 bitop3:0xec
	v_ashrrev_i32_e32 v206, s21, v207
	v_lshlrev_b32_e32 v208, 2, v208
	v_bitop3_b16 v213, v213, v214, s9 bitop3:0xec
	v_lshlrev_b32_e32 v205, 16, v205
	v_bfe_u32 v207, v206, 24, 2
	v_and_b32_e32 v206, 0x3030303, v206
	v_and_b32_e32 v208, 0x4040404, v208
	v_or_b32_sdwa v205, v213, v205 dst_sel:DWORD dst_unused:UNUSED_PAD src0_sel:WORD_0 src1_sel:DWORD
	v_sub_u16_e32 v209, v206, v208
	v_sub_u16_sdwa v213, v206, v208 dst_sel:BYTE_1 dst_unused:UNUSED_PAD src0_sel:BYTE_1 src1_sel:BYTE_1
	v_sub_u16_sdwa v206, v206, v208 dst_sel:DWORD dst_unused:UNUSED_PAD src0_sel:WORD_1 src1_sel:WORD_1
	v_sub_u16_sdwa v207, v207, v208 dst_sel:BYTE_1 dst_unused:UNUSED_PAD src0_sel:DWORD src1_sel:BYTE_3
	v_bitop3_b16 v209, v209, v213, s9 bitop3:0xec
	v_bitop3_b16 v206, v206, v207, s9 bitop3:0xec
	v_lshlrev_b32_e32 v206, 16, v206
	v_add_u32_e32 v207, 0x3190, v122
	v_or_b32_sdwa v206, v209, v206 dst_sel:DWORD dst_unused:UNUSED_PAD src0_sel:WORD_0 src1_sel:DWORD
	ds_read2_b32 v[208:209], v207 offset1:1
	ds_read2_b32 v[214:215], v210 offset0:4 offset1:5
	v_add_u32_e32 v122, 0x3198, v122
	v_ashrrev_i32_e32 v210, s18, v218
	v_lshlrev_b32_e32 v210, 2, v210
	s_waitcnt lgkmcnt(1)
	v_ashrrev_i32_e32 v207, s21, v208
	s_waitcnt lgkmcnt(0)
	v_ashrrev_i32_e32 v213, s18, v214
	v_lshlrev_b32_e32 v213, 2, v213
	v_bfe_u32 v208, v207, 24, 2
	v_and_b32_e32 v207, 0x3030303, v207
	v_and_b32_e32 v213, 0x4040404, v213
	v_sub_u16_e32 v214, v207, v213
	v_sub_u16_sdwa v216, v207, v213 dst_sel:BYTE_1 dst_unused:UNUSED_PAD src0_sel:BYTE_1 src1_sel:BYTE_1
	v_sub_u16_sdwa v207, v207, v213 dst_sel:DWORD dst_unused:UNUSED_PAD src0_sel:WORD_1 src1_sel:WORD_1
	v_sub_u16_sdwa v208, v208, v213 dst_sel:BYTE_1 dst_unused:UNUSED_PAD src0_sel:DWORD src1_sel:BYTE_3
	v_ashrrev_i32_e32 v213, s18, v215
	v_bitop3_b16 v207, v207, v208, s9 bitop3:0xec
	v_ashrrev_i32_e32 v208, s21, v209
	v_lshlrev_b32_e32 v213, 2, v213
	v_bitop3_b16 v214, v214, v216, s9 bitop3:0xec
	v_lshlrev_b32_e32 v207, 16, v207
	v_bfe_u32 v209, v208, 24, 2
	v_and_b32_e32 v208, 0x3030303, v208
	v_and_b32_e32 v213, 0x4040404, v213
	v_or_b32_sdwa v207, v214, v207 dst_sel:DWORD dst_unused:UNUSED_PAD src0_sel:WORD_0 src1_sel:DWORD
	v_sub_u16_e32 v214, v208, v213
	v_sub_u16_sdwa v215, v208, v213 dst_sel:BYTE_1 dst_unused:UNUSED_PAD src0_sel:BYTE_1 src1_sel:BYTE_1
	v_sub_u16_sdwa v208, v208, v213 dst_sel:DWORD dst_unused:UNUSED_PAD src0_sel:WORD_1 src1_sel:WORD_1
	v_sub_u16_sdwa v209, v209, v213 dst_sel:BYTE_1 dst_unused:UNUSED_PAD src0_sel:DWORD src1_sel:BYTE_3
	v_bitop3_b16 v214, v214, v215, s9 bitop3:0xec
	v_bitop3_b16 v208, v208, v209, s9 bitop3:0xec
	v_lshlrev_b32_e32 v208, 16, v208
	v_or_b32_sdwa v208, v214, v208 dst_sel:DWORD dst_unused:UNUSED_PAD src0_sel:WORD_0 src1_sel:DWORD
	ds_read2_b32 v[214:215], v122 offset1:1
	v_and_b32_e32 v210, 0x4040404, v210
	v_dot4c_i32_i8_e32 v228, v207, v32
	v_dot4c_i32_i8_e32 v228, v208, v33
	;; [unrolled: 1-line block ×3, first 2 shown]
	s_waitcnt lgkmcnt(0)
	v_ashrrev_i32_e32 v122, s21, v214
	v_bfe_u32 v209, v122, 24, 2
	v_and_b32_e32 v122, 0x3030303, v122
	v_sub_u16_e32 v213, v122, v210
	v_sub_u16_sdwa v214, v122, v210 dst_sel:BYTE_1 dst_unused:UNUSED_PAD src0_sel:BYTE_1 src1_sel:BYTE_1
	v_sub_u16_sdwa v122, v122, v210 dst_sel:DWORD dst_unused:UNUSED_PAD src0_sel:WORD_1 src1_sel:WORD_1
	v_sub_u16_sdwa v209, v209, v210 dst_sel:BYTE_1 dst_unused:UNUSED_PAD src0_sel:DWORD src1_sel:BYTE_3
	v_bitop3_b16 v213, v213, v214, s9 bitop3:0xec
	v_bitop3_b16 v122, v122, v209, s9 bitop3:0xec
	v_lshlrev_b32_e32 v122, 16, v122
	v_or_b32_sdwa v209, v213, v122 dst_sel:DWORD dst_unused:UNUSED_PAD src0_sel:WORD_0 src1_sel:DWORD
	v_ashrrev_i32_e32 v213, s18, v219
	v_ashrrev_i32_e32 v122, s21, v215
	v_lshlrev_b32_e32 v213, 2, v213
	v_bfe_u32 v210, v122, 24, 2
	v_and_b32_e32 v122, 0x3030303, v122
	v_and_b32_e32 v213, 0x4040404, v213
	v_sub_u16_e32 v214, v122, v213
	v_sub_u16_sdwa v215, v122, v213 dst_sel:BYTE_1 dst_unused:UNUSED_PAD src0_sel:BYTE_1 src1_sel:BYTE_1
	v_sub_u16_sdwa v122, v122, v213 dst_sel:DWORD dst_unused:UNUSED_PAD src0_sel:WORD_1 src1_sel:WORD_1
	v_sub_u16_sdwa v210, v210, v213 dst_sel:BYTE_1 dst_unused:UNUSED_PAD src0_sel:DWORD src1_sel:BYTE_3
	v_mov_b32_e32 v219, 0
	v_bitop3_b16 v122, v122, v210, s9 bitop3:0xec
	v_dot4c_i32_i8_e32 v219, v203, v36
	v_bitop3_b16 v214, v214, v215, s9 bitop3:0xec
	v_lshlrev_b32_e32 v122, 16, v122
	v_dot4c_i32_i8_e32 v219, v204, v37
	v_or_b32_sdwa v210, v214, v122 dst_sel:DWORD dst_unused:UNUSED_PAD src0_sel:WORD_0 src1_sel:DWORD
	v_add3_u32 v122, s24, v183, v148
	v_dot4c_i32_i8_e32 v219, v205, v38
	v_dot4c_i32_i8_e32 v228, v209, v34
	;; [unrolled: 1-line block ×3, first 2 shown]
	ds_read_b32 v122, v122
	v_dot4c_i32_i8_e32 v219, v206, v39
	v_dot4c_i32_i8_e32 v228, v210, v35
	ds_read_b128 v[32:35], v185 offset:1024
	ds_read_b128 v[36:39], v185 offset:1040
	v_mov_b32_e32 v213, 0
	v_mov_b32_e32 v224, 0
	;; [unrolled: 1-line block ×8, first 2 shown]
	s_waitcnt lgkmcnt(1)
	v_dot4c_i32_i8_e32 v213, v126, v32
	s_waitcnt lgkmcnt(0)
	v_dot4c_i32_i8_e32 v224, v130, v36
	v_dot4c_i32_i8_e32 v234, v187, v32
	v_dot4c_i32_i8_e32 v235, v191, v36
	v_dot4c_i32_i8_e32 v236, v195, v32
	v_dot4c_i32_i8_e32 v237, v199, v36
	v_dot4c_i32_i8_e32 v238, v203, v32
	v_dot4c_i32_i8_e32 v239, v207, v36
	v_dot4c_i32_i8_e32 v213, v127, v33
	v_dot4c_i32_i8_e32 v224, v131, v37
	v_dot4c_i32_i8_e32 v234, v188, v33
	v_dot4c_i32_i8_e32 v235, v192, v37
	v_dot4c_i32_i8_e32 v236, v196, v33
	v_dot4c_i32_i8_e32 v237, v200, v37
	v_dot4c_i32_i8_e32 v238, v204, v33
	v_dot4c_i32_i8_e32 v239, v208, v37
	v_dot4c_i32_i8_e32 v213, v128, v34
	v_dot4c_i32_i8_e32 v224, v132, v38
	v_dot4c_i32_i8_e32 v234, v189, v34
	v_dot4c_i32_i8_e32 v235, v193, v38
	v_dot4c_i32_i8_e32 v236, v197, v34
	v_dot4c_i32_i8_e32 v237, v201, v38
	v_dot4c_i32_i8_e32 v238, v205, v34
	v_dot4c_i32_i8_e32 v239, v209, v38
	v_dot4c_i32_i8_e32 v213, v129, v35
	v_dot4c_i32_i8_e32 v224, v133, v39
	v_dot4c_i32_i8_e32 v234, v190, v35
	v_dot4c_i32_i8_e32 v235, v194, v39
	v_dot4c_i32_i8_e32 v236, v198, v35
	v_dot4c_i32_i8_e32 v237, v202, v39
	v_dot4c_i32_i8_e32 v238, v206, v35
	v_dot4c_i32_i8_e32 v239, v210, v39
	ds_read2_b32 v[214:215], v186 offset0:64 offset1:96
	ds_read_b128 v[32:35], v185 offset:2048
	ds_read_b128 v[36:39], v185 offset:2064
	v_mov_b32_e32 v221, 0
	v_mov_b32_e32 v220, 0
	;; [unrolled: 1-line block ×8, first 2 shown]
	s_waitcnt lgkmcnt(1)
	v_dot4c_i32_i8_e32 v221, v126, v32
	s_waitcnt lgkmcnt(0)
	v_dot4c_i32_i8_e32 v220, v130, v36
	v_dot4c_i32_i8_e32 v240, v187, v32
	;; [unrolled: 1-line block ×15, first 2 shown]
	v_add_u32_e32 v134, s22, v121
	v_dot4c_i32_i8_e32 v221, v128, v34
	v_dot4c_i32_i8_e32 v220, v132, v38
	;; [unrolled: 1-line block ×16, first 2 shown]
	ds_read_b128 v[32:35], v185 offset:3072
	ds_read_b128 v[36:39], v185 offset:3088
	ds_read_u16 v134, v134 offset:33538
	v_add_u32_e32 v137, s22, v123
	v_add_u32_e32 v211, s22, v140
	;; [unrolled: 1-line block ×3, first 2 shown]
	v_mov_b32_e32 v222, 0
	s_waitcnt lgkmcnt(0)
	v_lshrrev_b16_e32 v216, 8, v134
	v_bfe_i32 v134, v134, 0, 8
	v_bfe_i32 v229, v216, 0, 8
	v_mul_lo_u32 v136, v136, v229
	v_mul_lo_u32 v216, v213, v134
	v_mad_u64_u32 v[224:225], s[22:23], v224, v229, v[216:217]
	v_mad_u64_u32 v[226:227], s[22:23], v135, v134, v[136:137]
	v_dot4c_i32_i8_e32 v222, v126, v32
	v_mov_b32_e32 v223, 0
	v_cvt_f32_i32_e32 v225, v226
	v_cvt_f32_i32_e32 v224, v224
	v_dot4c_i32_i8_e32 v222, v127, v33
	v_dot4c_i32_i8_e32 v223, v130, v36
	;; [unrolled: 1-line block ×4, first 2 shown]
	v_mov_b32_e32 v230, v125
	v_mov_b32_e32 v231, v124
	v_dot4c_i32_i8_e32 v222, v129, v35
	v_dot4c_i32_i8_e32 v223, v132, v38
	v_pk_mul_f32 v[124:125], v[116:117], v[230:231] op_sel_hi:[0,1]
	v_dot4c_i32_i8_e32 v223, v133, v39
	v_mul_lo_u32 v220, v220, v229
	v_mul_lo_u32 v222, v222, v134
	v_pk_fma_f32 v[16:17], v[124:125], v[224:225], v[16:17]
	ds_read_u16 v124, v137 offset:34562
	v_mad_u64_u32 v[222:223], s[22:23], v223, v229, v[222:223]
	v_mad_u64_u32 v[220:221], s[22:23], v221, v134, v[220:221]
	v_cvt_f32_i32_e32 v221, v220
	v_cvt_f32_i32_e32 v220, v222
	v_mov_b32_e32 v125, 0
	v_dot4c_i32_i8_e32 v125, v187, v32
	v_mov_b32_e32 v232, v215
	v_mov_b32_e32 v233, v214
	v_dot4c_i32_i8_e32 v125, v188, v33
	v_pk_mul_f32 v[214:215], v[116:117], v[232:233] op_sel_hi:[0,1]
	v_dot4c_i32_i8_e32 v125, v189, v34
	s_waitcnt lgkmcnt(0)
	v_lshrrev_b16_e32 v136, 8, v124
	v_pk_fma_f32 v[18:19], v[214:215], v[220:221], v[18:19]
	v_dot4c_i32_i8_e32 v125, v190, v35
	v_bfe_i32 v215, v124, 0, 8
	v_bfe_i32 v216, v136, 0, 8
	v_mul_lo_u32 v124, v139, v216
	v_mul_lo_u32 v136, v234, v215
	;; [unrolled: 1-line block ×3, first 2 shown]
                                        ; kill: def $vgpr125 killed $sgpr0 killed $exec
	v_mov_b32_e32 v135, 0
	v_mad_u64_u32 v[136:137], s[22:23], v235, v216, v[136:137]
	v_mad_u64_u32 v[124:125], s[22:23], v138, v215, v[124:125]
	v_dot4c_i32_i8_e32 v135, v191, v36
	v_cvt_f32_i32_e32 v125, v124
	v_cvt_f32_i32_e32 v124, v136
	v_dot4c_i32_i8_e32 v135, v192, v37
	v_dot4c_i32_i8_e32 v135, v193, v38
	;; [unrolled: 1-line block ×3, first 2 shown]
	v_mul_lo_u32 v214, v241, v216
	v_pk_mul_f32 v[138:139], v[118:119], v[230:231] op_sel_hi:[0,1]
	v_mad_u64_u32 v[222:223], s[22:23], v240, v215, v[214:215]
	v_mad_u64_u32 v[220:221], s[22:23], v135, v216, v[220:221]
	v_pk_fma_f32 v[28:29], v[138:139], v[124:125], v[28:29]
	ds_read_u16 v124, v211 offset:35586
	v_cvt_f32_i32_e32 v137, v222
	v_cvt_f32_i32_e32 v136, v220
	v_mov_b32_e32 v125, 0
	v_dot4c_i32_i8_e32 v125, v195, v32
	v_pk_mul_f32 v[224:225], v[118:119], v[232:233] op_sel_hi:[0,1]
	v_dot4c_i32_i8_e32 v125, v196, v33
	v_pk_fma_f32 v[30:31], v[224:225], v[136:137], v[30:31]
	v_dot4c_i32_i8_e32 v125, v197, v34
	s_waitcnt lgkmcnt(0)
	v_lshrrev_b16_e32 v136, 8, v124
	v_dot4c_i32_i8_e32 v125, v198, v35
	v_bfe_i32 v213, v124, 0, 8
	v_bfe_i32 v214, v136, 0, 8
	v_mul_lo_u32 v124, v217, v214
	v_mul_lo_u32 v136, v236, v213
	;; [unrolled: 1-line block ×3, first 2 shown]
                                        ; kill: def $vgpr125 killed $sgpr0 killed $exec
	v_mad_u64_u32 v[136:137], s[22:23], v237, v214, v[136:137]
	v_mad_u64_u32 v[124:125], s[22:23], v212, v213, v[124:125]
	v_cvt_f32_i32_e32 v125, v124
	v_cvt_f32_i32_e32 v124, v136
	v_pk_mul_f32 v[222:223], v[120:121], v[230:231] op_sel_hi:[0,1]
	v_mov_b32_e32 v135, 0
	v_dot4c_i32_i8_e32 v135, v199, v36
	v_pk_fma_f32 v[24:25], v[222:223], v[124:125], v[24:25]
	v_mov_b32_e32 v124, 0
	v_dot4c_i32_i8_e32 v124, v203, v32
	ds_read_u16 v32, v218 offset:36610
	v_dot4c_i32_i8_e32 v124, v204, v33
	v_mov_b32_e32 v33, 0
	v_dot4c_i32_i8_e32 v33, v207, v36
	v_dot4c_i32_i8_e32 v135, v200, v37
	;; [unrolled: 1-line block ×7, first 2 shown]
	s_waitcnt lgkmcnt(0)
	v_lshrrev_b16_e32 v34, 8, v32
	v_bfe_i32 v211, v32, 0, 8
	v_dot4c_i32_i8_e32 v135, v202, v39
	v_mul_lo_u32 v138, v243, v214
	v_dot4c_i32_i8_e32 v33, v210, v39
	v_bfe_i32 v212, v34, 0, 8
	v_mul_lo_u32 v38, v124, v211
	v_mad_u64_u32 v[220:221], s[22:23], v135, v214, v[220:221]
	v_mad_u64_u32 v[138:139], s[22:23], v242, v213, v[138:139]
	v_mul_lo_u32 v32, v228, v212
	v_mul_lo_u32 v34, v238, v211
	;; [unrolled: 1-line block ×3, first 2 shown]
                                        ; kill: def $vgpr35 killed $sgpr0 killed $exec
	v_mad_u64_u32 v[38:39], s[22:23], v33, v212, v[38:39]
                                        ; kill: def $vgpr33 killed $sgpr0 killed $exec
	v_cvt_f32_i32_e32 v137, v138
	v_cvt_f32_i32_e32 v136, v220
	v_mad_u64_u32 v[36:37], s[22:23], v244, v211, v[36:37]
	v_mad_u64_u32 v[34:35], s[22:23], v239, v212, v[34:35]
	;; [unrolled: 1-line block ×3, first 2 shown]
	v_cvt_f32_i32_e32 v33, v32
	v_cvt_f32_i32_e32 v32, v34
	;; [unrolled: 1-line block ×4, first 2 shown]
	v_pk_mul_f32 v[224:225], v[120:121], v[232:233] op_sel_hi:[0,1]
	v_pk_fma_f32 v[26:27], v[224:225], v[136:137], v[26:27]
	v_pk_mul_f32 v[124:125], v[122:123], v[230:231] op_sel_hi:[0,1]
	v_pk_mul_f32 v[136:137], v[122:123], v[232:233] op_sel_hi:[0,1]
	v_pk_fma_f32 v[22:23], v[136:137], v[34:35], v[22:23]
	v_pk_fma_f32 v[20:21], v[124:125], v[32:33], v[20:21]
	ds_read2_b32 v[124:125], v186 offset0:128 offset1:160
	ds_read_b128 v[32:35], v185 offset:4096
	ds_read_b128 v[36:39], v185 offset:4112
	v_mov_b32_e32 v135, 0
	v_mov_b32_e32 v138, 0
	;; [unrolled: 1-line block ×8, first 2 shown]
	s_waitcnt lgkmcnt(1)
	v_dot4c_i32_i8_e32 v135, v126, v32
	s_waitcnt lgkmcnt(0)
	v_dot4c_i32_i8_e32 v138, v130, v36
	v_dot4c_i32_i8_e32 v225, v187, v32
	;; [unrolled: 1-line block ×31, first 2 shown]
	ds_read_b128 v[32:35], v185 offset:5120
	ds_read_b128 v[36:39], v185 offset:5136
	v_mov_b32_e32 v139, 0
	v_mov_b32_e32 v236, 0
	;; [unrolled: 1-line block ×8, first 2 shown]
	s_waitcnt lgkmcnt(1)
	v_dot4c_i32_i8_e32 v139, v126, v32
	s_waitcnt lgkmcnt(0)
	v_dot4c_i32_i8_e32 v236, v130, v36
	v_dot4c_i32_i8_e32 v228, v187, v32
	;; [unrolled: 1-line block ×31, first 2 shown]
	ds_read2_b32 v[136:137], v186 offset0:192 offset1:224
	ds_read_b128 v[32:35], v185 offset:6144
	ds_read_b128 v[36:39], v185 offset:6160
	v_mov_b32_e32 v237, 0
	v_mov_b32_e32 v238, 0
	;; [unrolled: 1-line block ×8, first 2 shown]
	s_waitcnt lgkmcnt(1)
	v_dot4c_i32_i8_e32 v237, v126, v32
	s_waitcnt lgkmcnt(0)
	v_dot4c_i32_i8_e32 v238, v130, v36
	v_dot4c_i32_i8_e32 v234, v187, v32
	;; [unrolled: 1-line block ×31, first 2 shown]
	ds_read_b128 v[36:39], v185 offset:7168
	ds_read_b128 v[32:35], v185 offset:7184
	v_mov_b32_e32 v239, 0
	s_add_i32 s19, s19, 2
	s_add_i32 s18, s18, 1
	s_waitcnt lgkmcnt(1)
	v_dot4c_i32_i8_e32 v239, v126, v36
	v_dot4c_i32_i8_e32 v239, v127, v37
	v_mov_b32_e32 v127, 0
	s_waitcnt lgkmcnt(0)
	v_dot4c_i32_i8_e32 v127, v130, v32
	v_dot4c_i32_i8_e32 v239, v128, v38
	;; [unrolled: 1-line block ×6, first 2 shown]
	v_mul_lo_u32 v128, v238, v229
	v_mul_lo_u32 v126, v239, v134
                                        ; kill: def $vgpr129 killed $sgpr0 killed $exec
	v_mul_lo_u32 v132, v138, v229
	v_mad_u64_u32 v[126:127], s[22:23], v127, v229, v[126:127]
	v_mad_u64_u32 v[128:129], s[22:23], v237, v134, v[128:129]
	v_cvt_f32_i32_e32 v127, v128
	v_cvt_f32_i32_e32 v126, v126
	v_mul_lo_u32 v130, v139, v134
	v_mad_u64_u32 v[132:133], s[22:23], v135, v134, v[132:133]
	v_mov_b32_e32 v134, v125
	v_mov_b32_e32 v135, v124
	;; [unrolled: 1-line block ×4, first 2 shown]
	v_pk_mul_f32 v[136:137], v[116:117], v[124:125] op_sel_hi:[0,1]
	v_mad_u64_u32 v[130:131], s[22:23], v236, v229, v[130:131]
	v_pk_fma_f32 v[14:15], v[136:137], v[126:127], v[14:15]
	v_mov_b32_e32 v127, 0
	v_cvt_f32_i32_e32 v131, v132
	v_cvt_f32_i32_e32 v130, v130
	v_dot4c_i32_i8_e32 v127, v187, v36
	v_dot4c_i32_i8_e32 v127, v188, v37
	v_mov_b32_e32 v129, 0
	v_dot4c_i32_i8_e32 v127, v189, v38
	v_dot4c_i32_i8_e32 v129, v191, v32
	v_pk_mul_f32 v[138:139], v[116:117], v[134:135] op_sel_hi:[0,1]
	v_dot4c_i32_i8_e32 v127, v190, v39
	v_dot4c_i32_i8_e32 v129, v192, v33
	v_pk_fma_f32 v[12:13], v[138:139], v[130:131], v[12:13]
	v_dot4c_i32_i8_e32 v129, v193, v34
	v_mul_lo_u32 v116, v226, v216
	v_mul_lo_u32 v126, v228, v215
	;; [unrolled: 1-line block ×3, first 2 shown]
                                        ; kill: def $vgpr127 killed $sgpr0 killed $exec
	v_dot4c_i32_i8_e32 v129, v194, v35
	v_mul_lo_u32 v128, v235, v216
	v_mad_u64_u32 v[126:127], s[22:23], v227, v216, v[126:127]
	v_mad_u64_u32 v[132:133], s[22:23], v225, v215, v[116:117]
	v_mad_u64_u32 v[130:131], s[22:23], v129, v216, v[130:131]
	v_mad_u64_u32 v[128:129], s[22:23], v234, v215, v[128:129]
	v_cvt_f32_i32_e32 v127, v132
	v_cvt_f32_i32_e32 v126, v126
	;; [unrolled: 1-line block ×4, first 2 shown]
	v_pk_mul_f32 v[136:137], v[118:119], v[134:135] op_sel_hi:[0,1]
	v_mul_lo_u32 v116, v222, v214
	v_pk_mul_f32 v[138:139], v[118:119], v[124:125] op_sel_hi:[0,1]
	v_pk_fma_f32 v[8:9], v[136:137], v[126:127], v[8:9]
	v_mov_b32_e32 v127, 0
	v_mad_u64_u32 v[132:133], s[22:23], v221, v213, v[116:117]
	v_mov_b32_e32 v116, 0
	v_pk_fma_f32 v[10:11], v[138:139], v[128:129], v[10:11]
	v_dot4c_i32_i8_e32 v127, v195, v36
	v_mov_b32_e32 v129, 0
	v_dot4c_i32_i8_e32 v116, v203, v36
	v_dot4c_i32_i8_e32 v127, v196, v37
	;; [unrolled: 1-line block ×4, first 2 shown]
	v_mov_b32_e32 v37, 0
	v_dot4c_i32_i8_e32 v127, v197, v38
	v_dot4c_i32_i8_e32 v129, v200, v33
	;; [unrolled: 1-line block ×8, first 2 shown]
	v_mul_lo_u32 v126, v233, v214
	v_mul_lo_u32 v128, v127, v213
                                        ; kill: def $vgpr127 killed $sgpr0 killed $exec
	v_dot4c_i32_i8_e32 v116, v206, v39
	v_dot4c_i32_i8_e32 v37, v209, v34
	v_mul_lo_u32 v118, v224, v213
	v_mad_u64_u32 v[128:129], s[22:23], v129, v214, v[128:129]
	v_mad_u64_u32 v[126:127], s[22:23], v232, v213, v[126:127]
	v_dot4c_i32_i8_e32 v37, v210, v35
	v_mul_lo_u32 v32, v218, v212
	v_mul_lo_u32 v34, v220, v211
	;; [unrolled: 1-line block ×4, first 2 shown]
                                        ; kill: def $vgpr33 killed $sgpr0 killed $exec
	v_mad_u64_u32 v[130:131], s[22:23], v223, v214, v[118:119]
	v_cvt_f32_i32_e32 v127, v126
	v_cvt_f32_i32_e32 v126, v128
	v_mad_u64_u32 v[38:39], s[22:23], v37, v212, v[38:39]
	v_mad_u64_u32 v[36:37], s[22:23], v230, v211, v[36:37]
	;; [unrolled: 1-line block ×4, first 2 shown]
	v_cvt_f32_i32_e32 v131, v132
	v_cvt_f32_i32_e32 v130, v130
	;; [unrolled: 1-line block ×6, first 2 shown]
	v_pk_mul_f32 v[138:139], v[120:121], v[124:125] op_sel_hi:[0,1]
	v_pk_mul_f32 v[136:137], v[120:121], v[134:135] op_sel_hi:[0,1]
	v_pk_fma_f32 v[6:7], v[138:139], v[126:127], v[6:7]
	v_pk_mul_f32 v[126:127], v[122:123], v[134:135] op_sel_hi:[0,1]
	v_pk_mul_f32 v[124:125], v[122:123], v[124:125] op_sel_hi:[0,1]
	v_pk_fma_f32 v[4:5], v[136:137], v[130:131], v[4:5]
	v_pk_fma_f32 v[2:3], v[124:125], v[34:35], v[2:3]
	;; [unrolled: 1-line block ×3, first 2 shown]
	v_add_u32_e32 v186, 4, v186
	v_add_u32_e32 v185, 32, v185
	s_cmp_lt_u32 s20, 14
	s_mov_b32 s22, s20
	s_cbranch_scc1 .LBB169_9
; %bb.10:                               ;   in Loop: Header=BB169_6 Depth=1
	s_or_b32 s18, s4, 1
	s_cmp_ge_i32 s18, s5
	s_barrier
	s_cbranch_scc1 .LBB169_5
; %bb.11:                               ;   in Loop: Header=BB169_6 Depth=1
	v_add_u32_e32 v116, s17, v150
	v_add_u32_e32 v118, v116, v105
	v_mad_i64_i32 v[124:125], s[18:19], v118, 36, v[76:77]
	v_add_u32_e32 v118, v116, v107
	v_add_u32_e32 v32, v116, v97
	;; [unrolled: 1-line block ×5, first 2 shown]
	v_mad_i64_i32 v[126:127], s[18:19], v118, 36, v[76:77]
	v_add_u32_e32 v118, v116, v109
	v_add_u32_e32 v116, v116, v111
	v_mad_i64_i32 v[130:131], s[18:19], v116, 36, v[76:77]
	v_add_u32_e32 v116, 8, v184
	v_mad_i64_i32 v[32:33], s[18:19], v32, 36, v[76:77]
	v_mad_i64_i32 v[34:35], s[18:19], v34, 36, v[76:77]
	v_mad_i64_i32 v[36:37], s[18:19], v36, 36, v[76:77]
	v_mad_i64_i32 v[38:39], s[18:19], v38, 36, v[76:77]
	v_mad_u64_u32 v[132:133], s[18:19], v116, 36, s[2:3]
	v_mad_i64_i32 v[128:129], s[18:19], v118, 36, v[76:77]
	global_load_dword v116, v[132:133], off
	s_nop 0
	global_load_dword v32, v[32:33], off offset:4
	s_nop 0
	global_load_dword v33, v[34:35], off offset:4
	;; [unrolled: 2-line block ×3, first 2 shown]
	global_load_dword v35, v[38:39], off offset:4
	s_nop 0
	global_load_dword v36, v[124:125], off offset:4
	global_load_dword v37, v[126:127], off offset:4
	;; [unrolled: 1-line block ×4, first 2 shown]
	s_mov_b32 s18, 16
	s_mov_b32 s22, 14
	;; [unrolled: 1-line block ×3, first 2 shown]
	v_mov_b32_e32 v185, v162
	v_mov_b32_e32 v186, v160
	s_waitcnt vmcnt(8)
	v_cvt_f32_f16_e32 v116, v116
	s_waitcnt vmcnt(7)
	ds_write_b32 v167, v32
	s_waitcnt vmcnt(6)
	ds_write_b32 v168, v33
	;; [unrolled: 2-line block ×8, first 2 shown]
	ds_write_b32 v75, v116
	s_waitcnt lgkmcnt(0)
	s_barrier
.LBB169_12:                             ;   Parent Loop BB169_6 Depth=1
                                        ; =>  This Inner Loop Header: Depth=2
	s_add_i32 s20, s22, 2
	s_lshr_b32 s25, s20, 4
	s_and_b32 s23, s20, 0x3ffffff8
	v_lshl_add_u32 v122, s23, 2, v113
	s_lshl_b32 s23, s25, 5
	s_addk_i32 s23, 0x4200
	v_add3_u32 v120, s23, v175, v115
	v_add3_u32 v210, s23, v182, v146
	ds_read2_b32 v[124:125], v186 offset1:32
	ds_read_b128 v[36:39], v185
	ds_read_b128 v[32:35], v185 offset:16
	ds_read2_b32 v[126:127], v122 offset1:1
	ds_read2_b32 v[218:219], v210 offset0:6 offset1:7
	ds_read2_b32 v[128:129], v120 offset1:1
	s_add_i32 s21, s22, -14
	s_and_b32 s24, s18, -16
	s_waitcnt lgkmcnt(2)
	v_ashrrev_i32_e32 v116, s21, v126
	v_bfe_u32 v118, v116, 24, 2
	s_waitcnt lgkmcnt(0)
	v_ashrrev_i32_e32 v126, s19, v128
	v_lshlrev_b32_e32 v126, 2, v126
	v_and_b32_e32 v116, 0x3030303, v116
	v_and_b32_e32 v126, 0x4040404, v126
	v_sub_u16_e32 v128, v116, v126
	v_sub_u16_sdwa v130, v116, v126 dst_sel:BYTE_1 dst_unused:UNUSED_PAD src0_sel:BYTE_1 src1_sel:BYTE_1
	v_sub_u16_sdwa v116, v116, v126 dst_sel:DWORD dst_unused:UNUSED_PAD src0_sel:WORD_1 src1_sel:WORD_1
	v_sub_u16_sdwa v118, v118, v126 dst_sel:BYTE_1 dst_unused:UNUSED_PAD src0_sel:DWORD src1_sel:BYTE_3
	v_bitop3_b16 v128, v128, v130, s9 bitop3:0xec
	v_bitop3_b16 v116, v116, v118, s9 bitop3:0xec
	v_lshlrev_b32_e32 v116, 16, v116
	v_or_b32_sdwa v126, v128, v116 dst_sel:DWORD dst_unused:UNUSED_PAD src0_sel:WORD_0 src1_sel:DWORD
	v_ashrrev_i32_e32 v116, s21, v127
	v_ashrrev_i32_e32 v127, s19, v129
	v_lshlrev_b32_e32 v127, 2, v127
	v_bfe_u32 v118, v116, 24, 2
	v_and_b32_e32 v116, 0x3030303, v116
	v_and_b32_e32 v127, 0x4040404, v127
	v_sub_u16_e32 v128, v116, v127
	v_sub_u16_sdwa v129, v116, v127 dst_sel:BYTE_1 dst_unused:UNUSED_PAD src0_sel:BYTE_1 src1_sel:BYTE_1
	v_sub_u16_sdwa v116, v116, v127 dst_sel:DWORD dst_unused:UNUSED_PAD src0_sel:WORD_1 src1_sel:WORD_1
	v_sub_u16_sdwa v118, v118, v127 dst_sel:BYTE_1 dst_unused:UNUSED_PAD src0_sel:DWORD src1_sel:BYTE_3
	v_bitop3_b16 v128, v128, v129, s9 bitop3:0xec
	v_bitop3_b16 v116, v116, v118, s9 bitop3:0xec
	v_lshlrev_b32_e32 v116, 16, v116
	v_or_b32_sdwa v127, v128, v116 dst_sel:DWORD dst_unused:UNUSED_PAD src0_sel:WORD_0 src1_sel:DWORD
	ds_read2_b32 v[128:129], v122 offset0:2 offset1:3
	ds_read2_b32 v[130:131], v120 offset0:2 offset1:3
	s_add_i32 s22, s22, s24
	s_lshl_b32 s24, s25, 2
	s_add_i32 s24, s24, 0x9380
	s_waitcnt lgkmcnt(1)
	v_ashrrev_i32_e32 v116, s21, v128
	s_waitcnt lgkmcnt(0)
	v_ashrrev_i32_e32 v128, s19, v130
	v_lshlrev_b32_e32 v128, 2, v128
	v_bfe_u32 v118, v116, 24, 2
	v_and_b32_e32 v116, 0x3030303, v116
	v_and_b32_e32 v128, 0x4040404, v128
	v_sub_u16_e32 v130, v116, v128
	v_sub_u16_sdwa v132, v116, v128 dst_sel:BYTE_1 dst_unused:UNUSED_PAD src0_sel:BYTE_1 src1_sel:BYTE_1
	v_sub_u16_sdwa v116, v116, v128 dst_sel:DWORD dst_unused:UNUSED_PAD src0_sel:WORD_1 src1_sel:WORD_1
	v_sub_u16_sdwa v118, v118, v128 dst_sel:BYTE_1 dst_unused:UNUSED_PAD src0_sel:DWORD src1_sel:BYTE_3
	v_bitop3_b16 v130, v130, v132, s9 bitop3:0xec
	v_bitop3_b16 v116, v116, v118, s9 bitop3:0xec
	v_lshlrev_b32_e32 v116, 16, v116
	v_or_b32_sdwa v128, v130, v116 dst_sel:DWORD dst_unused:UNUSED_PAD src0_sel:WORD_0 src1_sel:DWORD
	v_ashrrev_i32_e32 v116, s21, v129
	v_ashrrev_i32_e32 v129, s19, v131
	v_lshlrev_b32_e32 v129, 2, v129
	v_bfe_u32 v118, v116, 24, 2
	v_and_b32_e32 v116, 0x3030303, v116
	v_and_b32_e32 v129, 0x4040404, v129
	v_sub_u16_e32 v130, v116, v129
	v_sub_u16_sdwa v131, v116, v129 dst_sel:BYTE_1 dst_unused:UNUSED_PAD src0_sel:BYTE_1 src1_sel:BYTE_1
	v_sub_u16_sdwa v116, v116, v129 dst_sel:DWORD dst_unused:UNUSED_PAD src0_sel:WORD_1 src1_sel:WORD_1
	v_sub_u16_sdwa v118, v118, v129 dst_sel:BYTE_1 dst_unused:UNUSED_PAD src0_sel:DWORD src1_sel:BYTE_3
	v_bitop3_b16 v130, v130, v131, s9 bitop3:0xec
	v_bitop3_b16 v116, v116, v118, s9 bitop3:0xec
	v_lshlrev_b32_e32 v116, 16, v116
	v_or_b32_sdwa v129, v130, v116 dst_sel:DWORD dst_unused:UNUSED_PAD src0_sel:WORD_0 src1_sel:DWORD
	ds_read2_b32 v[130:131], v122 offset0:4 offset1:5
	ds_read2_b32 v[132:133], v120 offset0:4 offset1:5
	v_add3_u32 v137, s23, v178, v117
	ds_read2_b32 v[188:189], v137 offset1:1
	v_add3_u32 v204, s23, v180, v142
	s_waitcnt lgkmcnt(2)
	v_ashrrev_i32_e32 v116, s21, v130
	s_waitcnt lgkmcnt(1)
	v_ashrrev_i32_e32 v130, s19, v132
	v_lshlrev_b32_e32 v130, 2, v130
	v_bfe_u32 v118, v116, 24, 2
	v_and_b32_e32 v116, 0x3030303, v116
	v_and_b32_e32 v130, 0x4040404, v130
	v_sub_u16_e32 v132, v116, v130
	v_sub_u16_sdwa v134, v116, v130 dst_sel:BYTE_1 dst_unused:UNUSED_PAD src0_sel:BYTE_1 src1_sel:BYTE_1
	v_sub_u16_sdwa v116, v116, v130 dst_sel:DWORD dst_unused:UNUSED_PAD src0_sel:WORD_1 src1_sel:WORD_1
	v_sub_u16_sdwa v118, v118, v130 dst_sel:BYTE_1 dst_unused:UNUSED_PAD src0_sel:DWORD src1_sel:BYTE_3
	v_bitop3_b16 v132, v132, v134, s9 bitop3:0xec
	v_bitop3_b16 v116, v116, v118, s9 bitop3:0xec
	v_lshlrev_b32_e32 v116, 16, v116
	v_or_b32_sdwa v130, v132, v116 dst_sel:DWORD dst_unused:UNUSED_PAD src0_sel:WORD_0 src1_sel:DWORD
	v_ashrrev_i32_e32 v116, s21, v131
	v_ashrrev_i32_e32 v131, s19, v133
	v_lshlrev_b32_e32 v131, 2, v131
	v_bfe_u32 v118, v116, 24, 2
	v_and_b32_e32 v116, 0x3030303, v116
	v_and_b32_e32 v131, 0x4040404, v131
	v_sub_u16_e32 v132, v116, v131
	v_sub_u16_sdwa v133, v116, v131 dst_sel:BYTE_1 dst_unused:UNUSED_PAD src0_sel:BYTE_1 src1_sel:BYTE_1
	v_sub_u16_sdwa v116, v116, v131 dst_sel:DWORD dst_unused:UNUSED_PAD src0_sel:WORD_1 src1_sel:WORD_1
	v_sub_u16_sdwa v118, v118, v131 dst_sel:BYTE_1 dst_unused:UNUSED_PAD src0_sel:DWORD src1_sel:BYTE_3
	v_bitop3_b16 v132, v132, v133, s9 bitop3:0xec
	v_bitop3_b16 v116, v116, v118, s9 bitop3:0xec
	v_lshlrev_b32_e32 v116, 16, v116
	v_or_b32_sdwa v131, v132, v116 dst_sel:DWORD dst_unused:UNUSED_PAD src0_sel:WORD_0 src1_sel:DWORD
	ds_read2_b32 v[132:133], v122 offset0:6 offset1:7
	ds_read2_b32 v[134:135], v120 offset0:6 offset1:7
	;; [unrolled: 1-line block ×4, first 2 shown]
	v_mov_b32_e32 v136, 0
	s_waitcnt lgkmcnt(3)
	v_ashrrev_i32_e32 v116, s21, v132
	s_waitcnt lgkmcnt(2)
	v_ashrrev_i32_e32 v120, s19, v134
	v_lshlrev_b32_e32 v120, 2, v120
	v_bfe_u32 v118, v116, 24, 2
	v_and_b32_e32 v116, 0x3030303, v116
	v_and_b32_e32 v120, 0x4040404, v120
	v_sub_u16_e32 v132, v116, v120
	v_sub_u16_sdwa v134, v116, v120 dst_sel:BYTE_1 dst_unused:UNUSED_PAD src0_sel:BYTE_1 src1_sel:BYTE_1
	v_sub_u16_sdwa v116, v116, v120 dst_sel:DWORD dst_unused:UNUSED_PAD src0_sel:WORD_1 src1_sel:WORD_1
	v_sub_u16_sdwa v118, v118, v120 dst_sel:BYTE_1 dst_unused:UNUSED_PAD src0_sel:DWORD src1_sel:BYTE_3
	v_bitop3_b16 v132, v132, v134, s9 bitop3:0xec
	v_bitop3_b16 v116, v116, v118, s9 bitop3:0xec
	v_lshlrev_b32_e32 v116, 16, v116
	v_ashrrev_i32_e32 v120, s19, v135
	v_or_b32_sdwa v132, v132, v116 dst_sel:DWORD dst_unused:UNUSED_PAD src0_sel:WORD_0 src1_sel:DWORD
	v_ashrrev_i32_e32 v116, s21, v133
	v_lshlrev_b32_e32 v120, 2, v120
	v_bfe_u32 v118, v116, 24, 2
	v_and_b32_e32 v116, 0x3030303, v116
	v_and_b32_e32 v120, 0x4040404, v120
	v_sub_u16_e32 v133, v116, v120
	v_sub_u16_sdwa v134, v116, v120 dst_sel:BYTE_1 dst_unused:UNUSED_PAD src0_sel:BYTE_1 src1_sel:BYTE_1
	v_sub_u16_sdwa v116, v116, v120 dst_sel:DWORD dst_unused:UNUSED_PAD src0_sel:WORD_1 src1_sel:WORD_1
	v_sub_u16_sdwa v118, v118, v120 dst_sel:BYTE_1 dst_unused:UNUSED_PAD src0_sel:DWORD src1_sel:BYTE_3
	v_bitop3_b16 v133, v133, v134, s9 bitop3:0xec
	v_bitop3_b16 v116, v116, v118, s9 bitop3:0xec
	v_lshlrev_b32_e32 v116, 16, v116
	v_or_b32_sdwa v133, v133, v116 dst_sel:DWORD dst_unused:UNUSED_PAD src0_sel:WORD_0 src1_sel:DWORD
	v_add3_u32 v116, s24, v176, v177
	v_add_u32_e32 v118, 0x1080, v122
	ds_read_b32 v116, v116
	ds_read2_b32 v[138:139], v118 offset1:1
	ds_read2_b32 v[194:195], v137 offset0:6 offset1:7
	ds_read2_b32 v[198:199], v204 offset1:1
	v_mov_b32_e32 v135, 0
	v_mov_b32_e32 v212, 0
	s_waitcnt lgkmcnt(2)
	v_ashrrev_i32_e32 v118, s21, v138
	v_ashrrev_i32_e32 v138, s19, v188
	v_lshlrev_b32_e32 v138, 2, v138
	v_bfe_u32 v120, v118, 24, 2
	v_and_b32_e32 v118, 0x3030303, v118
	v_and_b32_e32 v138, 0x4040404, v138
	v_sub_u16_e32 v187, v118, v138
	v_sub_u16_sdwa v188, v118, v138 dst_sel:BYTE_1 dst_unused:UNUSED_PAD src0_sel:BYTE_1 src1_sel:BYTE_1
	v_sub_u16_sdwa v118, v118, v138 dst_sel:DWORD dst_unused:UNUSED_PAD src0_sel:WORD_1 src1_sel:WORD_1
	v_sub_u16_sdwa v120, v120, v138 dst_sel:BYTE_1 dst_unused:UNUSED_PAD src0_sel:DWORD src1_sel:BYTE_3
	v_bitop3_b16 v187, v187, v188, s9 bitop3:0xec
	v_bitop3_b16 v118, v118, v120, s9 bitop3:0xec
	v_lshlrev_b32_e32 v118, 16, v118
	v_ashrrev_i32_e32 v138, s19, v189
	v_or_b32_sdwa v187, v187, v118 dst_sel:DWORD dst_unused:UNUSED_PAD src0_sel:WORD_0 src1_sel:DWORD
	v_ashrrev_i32_e32 v118, s21, v139
	v_lshlrev_b32_e32 v138, 2, v138
	v_bfe_u32 v120, v118, 24, 2
	v_and_b32_e32 v118, 0x3030303, v118
	v_and_b32_e32 v138, 0x4040404, v138
	v_sub_u16_e32 v139, v118, v138
	v_sub_u16_sdwa v188, v118, v138 dst_sel:BYTE_1 dst_unused:UNUSED_PAD src0_sel:BYTE_1 src1_sel:BYTE_1
	v_sub_u16_sdwa v118, v118, v138 dst_sel:DWORD dst_unused:UNUSED_PAD src0_sel:WORD_1 src1_sel:WORD_1
	v_sub_u16_sdwa v120, v120, v138 dst_sel:BYTE_1 dst_unused:UNUSED_PAD src0_sel:DWORD src1_sel:BYTE_3
	v_bitop3_b16 v139, v139, v188, s9 bitop3:0xec
	v_bitop3_b16 v118, v118, v120, s9 bitop3:0xec
	v_lshlrev_b32_e32 v118, 16, v118
	v_or_b32_sdwa v188, v139, v118 dst_sel:DWORD dst_unused:UNUSED_PAD src0_sel:WORD_0 src1_sel:DWORD
	v_add_u32_e32 v118, 0x1088, v122
	ds_read2_b32 v[138:139], v118 offset1:1
	s_waitcnt lgkmcnt(2)
	v_ashrrev_i32_e32 v137, s19, v194
	v_lshlrev_b32_e32 v137, 2, v137
	v_and_b32_e32 v137, 0x4040404, v137
	v_mov_b32_e32 v217, 0
	s_waitcnt lgkmcnt(0)
	v_ashrrev_i32_e32 v118, s21, v138
	v_ashrrev_i32_e32 v138, s19, v190
	v_lshlrev_b32_e32 v138, 2, v138
	v_bfe_u32 v120, v118, 24, 2
	v_and_b32_e32 v118, 0x3030303, v118
	v_and_b32_e32 v138, 0x4040404, v138
	v_sub_u16_e32 v189, v118, v138
	v_sub_u16_sdwa v190, v118, v138 dst_sel:BYTE_1 dst_unused:UNUSED_PAD src0_sel:BYTE_1 src1_sel:BYTE_1
	v_sub_u16_sdwa v118, v118, v138 dst_sel:DWORD dst_unused:UNUSED_PAD src0_sel:WORD_1 src1_sel:WORD_1
	v_sub_u16_sdwa v120, v120, v138 dst_sel:BYTE_1 dst_unused:UNUSED_PAD src0_sel:DWORD src1_sel:BYTE_3
	v_bitop3_b16 v189, v189, v190, s9 bitop3:0xec
	v_bitop3_b16 v118, v118, v120, s9 bitop3:0xec
	v_lshlrev_b32_e32 v118, 16, v118
	v_ashrrev_i32_e32 v138, s19, v191
	v_or_b32_sdwa v189, v189, v118 dst_sel:DWORD dst_unused:UNUSED_PAD src0_sel:WORD_0 src1_sel:DWORD
	v_ashrrev_i32_e32 v118, s21, v139
	v_lshlrev_b32_e32 v138, 2, v138
	v_bfe_u32 v120, v118, 24, 2
	v_and_b32_e32 v118, 0x3030303, v118
	v_and_b32_e32 v138, 0x4040404, v138
	v_sub_u16_e32 v139, v118, v138
	v_sub_u16_sdwa v190, v118, v138 dst_sel:BYTE_1 dst_unused:UNUSED_PAD src0_sel:BYTE_1 src1_sel:BYTE_1
	v_sub_u16_sdwa v118, v118, v138 dst_sel:DWORD dst_unused:UNUSED_PAD src0_sel:WORD_1 src1_sel:WORD_1
	v_sub_u16_sdwa v120, v120, v138 dst_sel:BYTE_1 dst_unused:UNUSED_PAD src0_sel:DWORD src1_sel:BYTE_3
	v_bitop3_b16 v139, v139, v190, s9 bitop3:0xec
	v_bitop3_b16 v118, v118, v120, s9 bitop3:0xec
	v_lshlrev_b32_e32 v118, 16, v118
	v_or_b32_sdwa v190, v139, v118 dst_sel:DWORD dst_unused:UNUSED_PAD src0_sel:WORD_0 src1_sel:DWORD
	v_add_u32_e32 v118, 0x1090, v122
	ds_read2_b32 v[138:139], v118 offset1:1
	v_mov_b32_e32 v228, 0
	v_dot4c_i32_i8_e32 v135, v126, v36
	v_dot4c_i32_i8_e32 v136, v130, v32
	;; [unrolled: 1-line block ×3, first 2 shown]
	s_waitcnt lgkmcnt(0)
	v_ashrrev_i32_e32 v118, s21, v138
	v_ashrrev_i32_e32 v138, s19, v192
	v_lshlrev_b32_e32 v138, 2, v138
	v_bfe_u32 v120, v118, 24, 2
	v_and_b32_e32 v118, 0x3030303, v118
	v_and_b32_e32 v138, 0x4040404, v138
	v_sub_u16_e32 v191, v118, v138
	v_sub_u16_sdwa v192, v118, v138 dst_sel:BYTE_1 dst_unused:UNUSED_PAD src0_sel:BYTE_1 src1_sel:BYTE_1
	v_sub_u16_sdwa v118, v118, v138 dst_sel:DWORD dst_unused:UNUSED_PAD src0_sel:WORD_1 src1_sel:WORD_1
	v_sub_u16_sdwa v120, v120, v138 dst_sel:BYTE_1 dst_unused:UNUSED_PAD src0_sel:DWORD src1_sel:BYTE_3
	v_bitop3_b16 v191, v191, v192, s9 bitop3:0xec
	v_bitop3_b16 v118, v118, v120, s9 bitop3:0xec
	v_lshlrev_b32_e32 v118, 16, v118
	v_ashrrev_i32_e32 v138, s19, v193
	v_or_b32_sdwa v191, v191, v118 dst_sel:DWORD dst_unused:UNUSED_PAD src0_sel:WORD_0 src1_sel:DWORD
	v_ashrrev_i32_e32 v118, s21, v139
	v_lshlrev_b32_e32 v138, 2, v138
	v_bfe_u32 v120, v118, 24, 2
	v_and_b32_e32 v118, 0x3030303, v118
	v_and_b32_e32 v138, 0x4040404, v138
	v_sub_u16_e32 v139, v118, v138
	v_sub_u16_sdwa v192, v118, v138 dst_sel:BYTE_1 dst_unused:UNUSED_PAD src0_sel:BYTE_1 src1_sel:BYTE_1
	v_sub_u16_sdwa v118, v118, v138 dst_sel:DWORD dst_unused:UNUSED_PAD src0_sel:WORD_1 src1_sel:WORD_1
	v_sub_u16_sdwa v120, v120, v138 dst_sel:BYTE_1 dst_unused:UNUSED_PAD src0_sel:DWORD src1_sel:BYTE_3
	v_bitop3_b16 v139, v139, v192, s9 bitop3:0xec
	v_bitop3_b16 v118, v118, v120, s9 bitop3:0xec
	v_lshlrev_b32_e32 v118, 16, v118
	v_or_b32_sdwa v192, v139, v118 dst_sel:DWORD dst_unused:UNUSED_PAD src0_sel:WORD_0 src1_sel:DWORD
	v_add_u32_e32 v118, 0x1098, v122
	ds_read2_b32 v[138:139], v118 offset1:1
	v_dot4c_i32_i8_e32 v136, v131, v33
	v_dot4c_i32_i8_e32 v135, v128, v38
	;; [unrolled: 1-line block ×4, first 2 shown]
	s_waitcnt lgkmcnt(0)
	v_ashrrev_i32_e32 v118, s21, v138
	v_bfe_u32 v120, v118, 24, 2
	v_and_b32_e32 v118, 0x3030303, v118
	v_sub_u16_e32 v138, v118, v137
	v_sub_u16_sdwa v193, v118, v137 dst_sel:BYTE_1 dst_unused:UNUSED_PAD src0_sel:BYTE_1 src1_sel:BYTE_1
	v_sub_u16_sdwa v118, v118, v137 dst_sel:DWORD dst_unused:UNUSED_PAD src0_sel:WORD_1 src1_sel:WORD_1
	v_sub_u16_sdwa v120, v120, v137 dst_sel:BYTE_1 dst_unused:UNUSED_PAD src0_sel:DWORD src1_sel:BYTE_3
	v_bitop3_b16 v138, v138, v193, s9 bitop3:0xec
	v_bitop3_b16 v118, v118, v120, s9 bitop3:0xec
	v_lshlrev_b32_e32 v118, 16, v118
	v_ashrrev_i32_e32 v137, s19, v195
	v_or_b32_sdwa v193, v138, v118 dst_sel:DWORD dst_unused:UNUSED_PAD src0_sel:WORD_0 src1_sel:DWORD
	v_ashrrev_i32_e32 v118, s21, v139
	v_lshlrev_b32_e32 v137, 2, v137
	v_bfe_u32 v120, v118, 24, 2
	v_and_b32_e32 v118, 0x3030303, v118
	v_and_b32_e32 v137, 0x4040404, v137
	v_sub_u16_e32 v138, v118, v137
	v_sub_u16_sdwa v139, v118, v137 dst_sel:BYTE_1 dst_unused:UNUSED_PAD src0_sel:BYTE_1 src1_sel:BYTE_1
	v_sub_u16_sdwa v118, v118, v137 dst_sel:DWORD dst_unused:UNUSED_PAD src0_sel:WORD_1 src1_sel:WORD_1
	v_sub_u16_sdwa v120, v120, v137 dst_sel:BYTE_1 dst_unused:UNUSED_PAD src0_sel:DWORD src1_sel:BYTE_3
	v_bitop3_b16 v138, v138, v139, s9 bitop3:0xec
	v_bitop3_b16 v118, v118, v120, s9 bitop3:0xec
	v_lshlrev_b32_e32 v118, 16, v118
	v_or_b32_sdwa v194, v138, v118 dst_sel:DWORD dst_unused:UNUSED_PAD src0_sel:WORD_0 src1_sel:DWORD
	v_add3_u32 v118, s24, v179, v119
	v_add_u32_e32 v120, 0x2100, v122
	ds_read_b32 v118, v118
	ds_read2_b32 v[196:197], v120 offset1:1
	v_mov_b32_e32 v138, 0
	v_mov_b32_e32 v139, 0
	v_dot4c_i32_i8_e32 v138, v187, v36
	v_dot4c_i32_i8_e32 v139, v191, v32
	s_waitcnt lgkmcnt(0)
	v_ashrrev_i32_e32 v120, s21, v196
	v_ashrrev_i32_e32 v196, s19, v198
	v_lshlrev_b32_e32 v196, 2, v196
	v_bfe_u32 v195, v120, 24, 2
	v_and_b32_e32 v120, 0x3030303, v120
	v_and_b32_e32 v196, 0x4040404, v196
	v_sub_u16_e32 v198, v120, v196
	v_sub_u16_sdwa v200, v120, v196 dst_sel:BYTE_1 dst_unused:UNUSED_PAD src0_sel:BYTE_1 src1_sel:BYTE_1
	v_sub_u16_sdwa v120, v120, v196 dst_sel:DWORD dst_unused:UNUSED_PAD src0_sel:WORD_1 src1_sel:WORD_1
	v_sub_u16_sdwa v195, v195, v196 dst_sel:BYTE_1 dst_unused:UNUSED_PAD src0_sel:DWORD src1_sel:BYTE_3
	v_bitop3_b16 v198, v198, v200, s9 bitop3:0xec
	v_bitop3_b16 v120, v120, v195, s9 bitop3:0xec
	v_lshlrev_b32_e32 v120, 16, v120
	v_or_b32_sdwa v195, v198, v120 dst_sel:DWORD dst_unused:UNUSED_PAD src0_sel:WORD_0 src1_sel:DWORD
	v_ashrrev_i32_e32 v120, s21, v197
	v_ashrrev_i32_e32 v197, s19, v199
	v_lshlrev_b32_e32 v197, 2, v197
	v_bfe_u32 v196, v120, 24, 2
	v_and_b32_e32 v120, 0x3030303, v120
	v_and_b32_e32 v197, 0x4040404, v197
	v_sub_u16_e32 v198, v120, v197
	v_sub_u16_sdwa v199, v120, v197 dst_sel:BYTE_1 dst_unused:UNUSED_PAD src0_sel:BYTE_1 src1_sel:BYTE_1
	v_sub_u16_sdwa v120, v120, v197 dst_sel:DWORD dst_unused:UNUSED_PAD src0_sel:WORD_1 src1_sel:WORD_1
	v_sub_u16_sdwa v196, v196, v197 dst_sel:BYTE_1 dst_unused:UNUSED_PAD src0_sel:DWORD src1_sel:BYTE_3
	v_bitop3_b16 v198, v198, v199, s9 bitop3:0xec
	v_bitop3_b16 v120, v120, v196, s9 bitop3:0xec
	v_lshlrev_b32_e32 v120, 16, v120
	v_or_b32_sdwa v196, v198, v120 dst_sel:DWORD dst_unused:UNUSED_PAD src0_sel:WORD_0 src1_sel:DWORD
	v_add_u32_e32 v120, 0x2108, v122
	ds_read2_b32 v[198:199], v120 offset1:1
	ds_read2_b32 v[200:201], v204 offset0:2 offset1:3
	v_dot4c_i32_i8_e32 v212, v195, v36
	v_dot4c_i32_i8_e32 v138, v188, v37
	v_dot4c_i32_i8_e32 v139, v192, v33
	s_waitcnt lgkmcnt(1)
	v_ashrrev_i32_e32 v120, s21, v198
	s_waitcnt lgkmcnt(0)
	v_ashrrev_i32_e32 v198, s19, v200
	v_lshlrev_b32_e32 v198, 2, v198
	v_bfe_u32 v197, v120, 24, 2
	v_and_b32_e32 v120, 0x3030303, v120
	v_and_b32_e32 v198, 0x4040404, v198
	v_sub_u16_e32 v200, v120, v198
	v_sub_u16_sdwa v202, v120, v198 dst_sel:BYTE_1 dst_unused:UNUSED_PAD src0_sel:BYTE_1 src1_sel:BYTE_1
	v_sub_u16_sdwa v120, v120, v198 dst_sel:DWORD dst_unused:UNUSED_PAD src0_sel:WORD_1 src1_sel:WORD_1
	v_sub_u16_sdwa v197, v197, v198 dst_sel:BYTE_1 dst_unused:UNUSED_PAD src0_sel:DWORD src1_sel:BYTE_3
	v_bitop3_b16 v200, v200, v202, s9 bitop3:0xec
	v_bitop3_b16 v120, v120, v197, s9 bitop3:0xec
	v_lshlrev_b32_e32 v120, 16, v120
	v_or_b32_sdwa v197, v200, v120 dst_sel:DWORD dst_unused:UNUSED_PAD src0_sel:WORD_0 src1_sel:DWORD
	v_ashrrev_i32_e32 v120, s21, v199
	v_ashrrev_i32_e32 v199, s19, v201
	v_lshlrev_b32_e32 v199, 2, v199
	v_bfe_u32 v198, v120, 24, 2
	v_and_b32_e32 v120, 0x3030303, v120
	v_and_b32_e32 v199, 0x4040404, v199
	v_sub_u16_e32 v200, v120, v199
	v_sub_u16_sdwa v201, v120, v199 dst_sel:BYTE_1 dst_unused:UNUSED_PAD src0_sel:BYTE_1 src1_sel:BYTE_1
	v_sub_u16_sdwa v120, v120, v199 dst_sel:DWORD dst_unused:UNUSED_PAD src0_sel:WORD_1 src1_sel:WORD_1
	v_sub_u16_sdwa v198, v198, v199 dst_sel:BYTE_1 dst_unused:UNUSED_PAD src0_sel:DWORD src1_sel:BYTE_3
	v_bitop3_b16 v200, v200, v201, s9 bitop3:0xec
	v_bitop3_b16 v120, v120, v198, s9 bitop3:0xec
	v_lshlrev_b32_e32 v120, 16, v120
	v_or_b32_sdwa v198, v200, v120 dst_sel:DWORD dst_unused:UNUSED_PAD src0_sel:WORD_0 src1_sel:DWORD
	v_add_u32_e32 v120, 0x2110, v122
	ds_read2_b32 v[200:201], v120 offset1:1
	ds_read2_b32 v[202:203], v204 offset0:4 offset1:5
	v_dot4c_i32_i8_e32 v212, v196, v37
	v_dot4c_i32_i8_e32 v138, v189, v38
	v_dot4c_i32_i8_e32 v139, v193, v34
	s_waitcnt lgkmcnt(1)
	v_ashrrev_i32_e32 v120, s21, v200
	s_waitcnt lgkmcnt(0)
	;; [unrolled: 36-line block ×3, first 2 shown]
	v_ashrrev_i32_e32 v202, s19, v204
	v_lshlrev_b32_e32 v202, 2, v202
	v_bfe_u32 v201, v120, 24, 2
	v_and_b32_e32 v120, 0x3030303, v120
	v_and_b32_e32 v202, 0x4040404, v202
	v_sub_u16_e32 v204, v120, v202
	v_sub_u16_sdwa v206, v120, v202 dst_sel:BYTE_1 dst_unused:UNUSED_PAD src0_sel:BYTE_1 src1_sel:BYTE_1
	v_sub_u16_sdwa v120, v120, v202 dst_sel:DWORD dst_unused:UNUSED_PAD src0_sel:WORD_1 src1_sel:WORD_1
	v_sub_u16_sdwa v201, v201, v202 dst_sel:BYTE_1 dst_unused:UNUSED_PAD src0_sel:DWORD src1_sel:BYTE_3
	v_bitop3_b16 v204, v204, v206, s9 bitop3:0xec
	v_bitop3_b16 v120, v120, v201, s9 bitop3:0xec
	v_lshlrev_b32_e32 v120, 16, v120
	v_or_b32_sdwa v201, v204, v120 dst_sel:DWORD dst_unused:UNUSED_PAD src0_sel:WORD_0 src1_sel:DWORD
	v_ashrrev_i32_e32 v120, s21, v203
	v_ashrrev_i32_e32 v203, s19, v205
	v_lshlrev_b32_e32 v203, 2, v203
	v_bfe_u32 v202, v120, 24, 2
	v_and_b32_e32 v120, 0x3030303, v120
	v_and_b32_e32 v203, 0x4040404, v203
	v_sub_u16_e32 v204, v120, v203
	v_sub_u16_sdwa v205, v120, v203 dst_sel:BYTE_1 dst_unused:UNUSED_PAD src0_sel:BYTE_1 src1_sel:BYTE_1
	v_sub_u16_sdwa v120, v120, v203 dst_sel:DWORD dst_unused:UNUSED_PAD src0_sel:WORD_1 src1_sel:WORD_1
	v_sub_u16_sdwa v202, v202, v203 dst_sel:BYTE_1 dst_unused:UNUSED_PAD src0_sel:DWORD src1_sel:BYTE_3
	v_bitop3_b16 v204, v204, v205, s9 bitop3:0xec
	v_bitop3_b16 v120, v120, v202, s9 bitop3:0xec
	v_lshlrev_b32_e32 v120, 16, v120
	v_add_u32_e32 v203, 0x3180, v122
	v_or_b32_sdwa v202, v204, v120 dst_sel:DWORD dst_unused:UNUSED_PAD src0_sel:WORD_0 src1_sel:DWORD
	ds_read2_b32 v[204:205], v203 offset1:1
	ds_read2_b32 v[206:207], v210 offset1:1
	v_add3_u32 v120, s24, v181, v144
	ds_read_b32 v120, v120
	v_dot4c_i32_i8_e32 v217, v201, v34
	s_waitcnt lgkmcnt(2)
	v_ashrrev_i32_e32 v203, s21, v204
	s_waitcnt lgkmcnt(1)
	v_ashrrev_i32_e32 v206, s19, v206
	v_lshlrev_b32_e32 v206, 2, v206
	v_bfe_u32 v204, v203, 24, 2
	v_and_b32_e32 v203, 0x3030303, v203
	v_and_b32_e32 v206, 0x4040404, v206
	v_sub_u16_e32 v208, v203, v206
	v_sub_u16_sdwa v209, v203, v206 dst_sel:BYTE_1 dst_unused:UNUSED_PAD src0_sel:BYTE_1 src1_sel:BYTE_1
	v_sub_u16_sdwa v203, v203, v206 dst_sel:DWORD dst_unused:UNUSED_PAD src0_sel:WORD_1 src1_sel:WORD_1
	v_sub_u16_sdwa v204, v204, v206 dst_sel:BYTE_1 dst_unused:UNUSED_PAD src0_sel:DWORD src1_sel:BYTE_3
	v_ashrrev_i32_e32 v206, s19, v207
	v_bitop3_b16 v203, v203, v204, s9 bitop3:0xec
	v_ashrrev_i32_e32 v204, s21, v205
	v_lshlrev_b32_e32 v206, 2, v206
	v_bitop3_b16 v208, v208, v209, s9 bitop3:0xec
	v_lshlrev_b32_e32 v203, 16, v203
	v_bfe_u32 v205, v204, 24, 2
	v_and_b32_e32 v204, 0x3030303, v204
	v_and_b32_e32 v206, 0x4040404, v206
	v_or_b32_sdwa v203, v208, v203 dst_sel:DWORD dst_unused:UNUSED_PAD src0_sel:WORD_0 src1_sel:DWORD
	v_sub_u16_e32 v207, v204, v206
	v_sub_u16_sdwa v208, v204, v206 dst_sel:BYTE_1 dst_unused:UNUSED_PAD src0_sel:BYTE_1 src1_sel:BYTE_1
	v_sub_u16_sdwa v204, v204, v206 dst_sel:DWORD dst_unused:UNUSED_PAD src0_sel:WORD_1 src1_sel:WORD_1
	v_sub_u16_sdwa v205, v205, v206 dst_sel:BYTE_1 dst_unused:UNUSED_PAD src0_sel:DWORD src1_sel:BYTE_3
	v_bitop3_b16 v207, v207, v208, s9 bitop3:0xec
	v_bitop3_b16 v204, v204, v205, s9 bitop3:0xec
	v_lshlrev_b32_e32 v204, 16, v204
	v_add_u32_e32 v205, 0x3188, v122
	v_or_b32_sdwa v204, v207, v204 dst_sel:DWORD dst_unused:UNUSED_PAD src0_sel:WORD_0 src1_sel:DWORD
	ds_read2_b32 v[206:207], v205 offset1:1
	ds_read2_b32 v[208:209], v210 offset0:2 offset1:3
	v_dot4c_i32_i8_e32 v136, v133, v35
	v_dot4c_i32_i8_e32 v138, v190, v39
	;; [unrolled: 1-line block ×3, first 2 shown]
	s_waitcnt lgkmcnt(1)
	v_ashrrev_i32_e32 v205, s21, v206
	s_waitcnt lgkmcnt(0)
	v_ashrrev_i32_e32 v208, s19, v208
	v_lshlrev_b32_e32 v208, 2, v208
	v_bfe_u32 v206, v205, 24, 2
	v_and_b32_e32 v205, 0x3030303, v205
	v_and_b32_e32 v208, 0x4040404, v208
	v_sub_u16_e32 v213, v205, v208
	v_sub_u16_sdwa v214, v205, v208 dst_sel:BYTE_1 dst_unused:UNUSED_PAD src0_sel:BYTE_1 src1_sel:BYTE_1
	v_sub_u16_sdwa v205, v205, v208 dst_sel:DWORD dst_unused:UNUSED_PAD src0_sel:WORD_1 src1_sel:WORD_1
	v_sub_u16_sdwa v206, v206, v208 dst_sel:BYTE_1 dst_unused:UNUSED_PAD src0_sel:DWORD src1_sel:BYTE_3
	v_ashrrev_i32_e32 v208, s19, v209
	v_bitop3_b16 v205, v205, v206, s9 bitop3:0xec
	v_ashrrev_i32_e32 v206, s21, v207
	v_lshlrev_b32_e32 v208, 2, v208
	v_bitop3_b16 v213, v213, v214, s9 bitop3:0xec
	v_lshlrev_b32_e32 v205, 16, v205
	v_bfe_u32 v207, v206, 24, 2
	v_and_b32_e32 v206, 0x3030303, v206
	v_and_b32_e32 v208, 0x4040404, v208
	v_or_b32_sdwa v205, v213, v205 dst_sel:DWORD dst_unused:UNUSED_PAD src0_sel:WORD_0 src1_sel:DWORD
	v_sub_u16_e32 v209, v206, v208
	v_sub_u16_sdwa v213, v206, v208 dst_sel:BYTE_1 dst_unused:UNUSED_PAD src0_sel:BYTE_1 src1_sel:BYTE_1
	v_sub_u16_sdwa v206, v206, v208 dst_sel:DWORD dst_unused:UNUSED_PAD src0_sel:WORD_1 src1_sel:WORD_1
	v_sub_u16_sdwa v207, v207, v208 dst_sel:BYTE_1 dst_unused:UNUSED_PAD src0_sel:DWORD src1_sel:BYTE_3
	v_bitop3_b16 v209, v209, v213, s9 bitop3:0xec
	v_bitop3_b16 v206, v206, v207, s9 bitop3:0xec
	v_lshlrev_b32_e32 v206, 16, v206
	v_add_u32_e32 v207, 0x3190, v122
	v_or_b32_sdwa v206, v209, v206 dst_sel:DWORD dst_unused:UNUSED_PAD src0_sel:WORD_0 src1_sel:DWORD
	ds_read2_b32 v[208:209], v207 offset1:1
	ds_read2_b32 v[214:215], v210 offset0:4 offset1:5
	v_add_u32_e32 v122, 0x3198, v122
	v_ashrrev_i32_e32 v210, s19, v218
	v_lshlrev_b32_e32 v210, 2, v210
	s_waitcnt lgkmcnt(1)
	v_ashrrev_i32_e32 v207, s21, v208
	s_waitcnt lgkmcnt(0)
	v_ashrrev_i32_e32 v213, s19, v214
	v_lshlrev_b32_e32 v213, 2, v213
	v_bfe_u32 v208, v207, 24, 2
	v_and_b32_e32 v207, 0x3030303, v207
	v_and_b32_e32 v213, 0x4040404, v213
	v_sub_u16_e32 v214, v207, v213
	v_sub_u16_sdwa v216, v207, v213 dst_sel:BYTE_1 dst_unused:UNUSED_PAD src0_sel:BYTE_1 src1_sel:BYTE_1
	v_sub_u16_sdwa v207, v207, v213 dst_sel:DWORD dst_unused:UNUSED_PAD src0_sel:WORD_1 src1_sel:WORD_1
	v_sub_u16_sdwa v208, v208, v213 dst_sel:BYTE_1 dst_unused:UNUSED_PAD src0_sel:DWORD src1_sel:BYTE_3
	v_ashrrev_i32_e32 v213, s19, v215
	v_bitop3_b16 v207, v207, v208, s9 bitop3:0xec
	v_ashrrev_i32_e32 v208, s21, v209
	v_lshlrev_b32_e32 v213, 2, v213
	v_bitop3_b16 v214, v214, v216, s9 bitop3:0xec
	v_lshlrev_b32_e32 v207, 16, v207
	v_bfe_u32 v209, v208, 24, 2
	v_and_b32_e32 v208, 0x3030303, v208
	v_and_b32_e32 v213, 0x4040404, v213
	v_or_b32_sdwa v207, v214, v207 dst_sel:DWORD dst_unused:UNUSED_PAD src0_sel:WORD_0 src1_sel:DWORD
	v_sub_u16_e32 v214, v208, v213
	v_sub_u16_sdwa v215, v208, v213 dst_sel:BYTE_1 dst_unused:UNUSED_PAD src0_sel:BYTE_1 src1_sel:BYTE_1
	v_sub_u16_sdwa v208, v208, v213 dst_sel:DWORD dst_unused:UNUSED_PAD src0_sel:WORD_1 src1_sel:WORD_1
	v_sub_u16_sdwa v209, v209, v213 dst_sel:BYTE_1 dst_unused:UNUSED_PAD src0_sel:DWORD src1_sel:BYTE_3
	v_bitop3_b16 v214, v214, v215, s9 bitop3:0xec
	v_bitop3_b16 v208, v208, v209, s9 bitop3:0xec
	v_lshlrev_b32_e32 v208, 16, v208
	v_or_b32_sdwa v208, v214, v208 dst_sel:DWORD dst_unused:UNUSED_PAD src0_sel:WORD_0 src1_sel:DWORD
	ds_read2_b32 v[214:215], v122 offset1:1
	v_and_b32_e32 v210, 0x4040404, v210
	v_dot4c_i32_i8_e32 v228, v207, v32
	v_dot4c_i32_i8_e32 v228, v208, v33
	;; [unrolled: 1-line block ×3, first 2 shown]
	s_waitcnt lgkmcnt(0)
	v_ashrrev_i32_e32 v122, s21, v214
	v_bfe_u32 v209, v122, 24, 2
	v_and_b32_e32 v122, 0x3030303, v122
	v_sub_u16_e32 v213, v122, v210
	v_sub_u16_sdwa v214, v122, v210 dst_sel:BYTE_1 dst_unused:UNUSED_PAD src0_sel:BYTE_1 src1_sel:BYTE_1
	v_sub_u16_sdwa v122, v122, v210 dst_sel:DWORD dst_unused:UNUSED_PAD src0_sel:WORD_1 src1_sel:WORD_1
	v_sub_u16_sdwa v209, v209, v210 dst_sel:BYTE_1 dst_unused:UNUSED_PAD src0_sel:DWORD src1_sel:BYTE_3
	v_bitop3_b16 v213, v213, v214, s9 bitop3:0xec
	v_bitop3_b16 v122, v122, v209, s9 bitop3:0xec
	v_lshlrev_b32_e32 v122, 16, v122
	v_or_b32_sdwa v209, v213, v122 dst_sel:DWORD dst_unused:UNUSED_PAD src0_sel:WORD_0 src1_sel:DWORD
	v_ashrrev_i32_e32 v213, s19, v219
	v_ashrrev_i32_e32 v122, s21, v215
	v_lshlrev_b32_e32 v213, 2, v213
	v_bfe_u32 v210, v122, 24, 2
	v_and_b32_e32 v122, 0x3030303, v122
	v_and_b32_e32 v213, 0x4040404, v213
	v_sub_u16_e32 v214, v122, v213
	v_sub_u16_sdwa v215, v122, v213 dst_sel:BYTE_1 dst_unused:UNUSED_PAD src0_sel:BYTE_1 src1_sel:BYTE_1
	v_sub_u16_sdwa v122, v122, v213 dst_sel:DWORD dst_unused:UNUSED_PAD src0_sel:WORD_1 src1_sel:WORD_1
	v_sub_u16_sdwa v210, v210, v213 dst_sel:BYTE_1 dst_unused:UNUSED_PAD src0_sel:DWORD src1_sel:BYTE_3
	v_mov_b32_e32 v219, 0
	v_bitop3_b16 v122, v122, v210, s9 bitop3:0xec
	v_dot4c_i32_i8_e32 v219, v203, v36
	v_bitop3_b16 v214, v214, v215, s9 bitop3:0xec
	v_lshlrev_b32_e32 v122, 16, v122
	v_dot4c_i32_i8_e32 v219, v204, v37
	v_or_b32_sdwa v210, v214, v122 dst_sel:DWORD dst_unused:UNUSED_PAD src0_sel:WORD_0 src1_sel:DWORD
	v_add3_u32 v122, s24, v183, v148
	v_dot4c_i32_i8_e32 v219, v205, v38
	v_dot4c_i32_i8_e32 v228, v209, v34
	v_dot4c_i32_i8_e32 v217, v202, v35
	ds_read_b32 v122, v122
	v_dot4c_i32_i8_e32 v219, v206, v39
	v_dot4c_i32_i8_e32 v228, v210, v35
	ds_read_b128 v[32:35], v185 offset:1024
	ds_read_b128 v[36:39], v185 offset:1040
	v_mov_b32_e32 v213, 0
	v_mov_b32_e32 v224, 0
	;; [unrolled: 1-line block ×8, first 2 shown]
	s_waitcnt lgkmcnt(1)
	v_dot4c_i32_i8_e32 v213, v126, v32
	s_waitcnt lgkmcnt(0)
	v_dot4c_i32_i8_e32 v224, v130, v36
	v_dot4c_i32_i8_e32 v234, v187, v32
	;; [unrolled: 1-line block ×31, first 2 shown]
	ds_read2_b32 v[214:215], v186 offset0:64 offset1:96
	ds_read_b128 v[32:35], v185 offset:2048
	ds_read_b128 v[36:39], v185 offset:2064
	v_mov_b32_e32 v221, 0
	v_mov_b32_e32 v220, 0
	;; [unrolled: 1-line block ×8, first 2 shown]
	s_waitcnt lgkmcnt(1)
	v_dot4c_i32_i8_e32 v221, v126, v32
	s_waitcnt lgkmcnt(0)
	v_dot4c_i32_i8_e32 v220, v130, v36
	v_dot4c_i32_i8_e32 v240, v187, v32
	;; [unrolled: 1-line block ×15, first 2 shown]
	v_add_u32_e32 v134, s22, v121
	v_dot4c_i32_i8_e32 v221, v128, v34
	v_dot4c_i32_i8_e32 v220, v132, v38
	;; [unrolled: 1-line block ×16, first 2 shown]
	ds_read_b128 v[32:35], v185 offset:3072
	ds_read_b128 v[36:39], v185 offset:3088
	ds_read_u16 v134, v134 offset:33522
	v_add_u32_e32 v137, s22, v123
	v_add_u32_e32 v211, s22, v140
	;; [unrolled: 1-line block ×3, first 2 shown]
	v_mov_b32_e32 v222, 0
	s_waitcnt lgkmcnt(0)
	v_lshrrev_b16_e32 v216, 8, v134
	v_bfe_i32 v134, v134, 0, 8
	v_bfe_i32 v229, v216, 0, 8
	v_mul_lo_u32 v136, v136, v229
	v_mul_lo_u32 v216, v213, v134
	v_mad_u64_u32 v[224:225], s[22:23], v224, v229, v[216:217]
	v_mad_u64_u32 v[226:227], s[22:23], v135, v134, v[136:137]
	v_dot4c_i32_i8_e32 v222, v126, v32
	v_mov_b32_e32 v223, 0
	v_cvt_f32_i32_e32 v225, v226
	v_cvt_f32_i32_e32 v224, v224
	v_dot4c_i32_i8_e32 v222, v127, v33
	v_dot4c_i32_i8_e32 v223, v130, v36
	;; [unrolled: 1-line block ×4, first 2 shown]
	v_mov_b32_e32 v230, v125
	v_mov_b32_e32 v231, v124
	v_dot4c_i32_i8_e32 v222, v129, v35
	v_dot4c_i32_i8_e32 v223, v132, v38
	v_pk_mul_f32 v[124:125], v[116:117], v[230:231] op_sel_hi:[0,1]
	v_dot4c_i32_i8_e32 v223, v133, v39
	v_mul_lo_u32 v220, v220, v229
	v_mul_lo_u32 v222, v222, v134
	v_pk_fma_f32 v[16:17], v[124:125], v[224:225], v[16:17]
	ds_read_u16 v124, v137 offset:34546
	v_mad_u64_u32 v[222:223], s[22:23], v223, v229, v[222:223]
	v_mad_u64_u32 v[220:221], s[22:23], v221, v134, v[220:221]
	v_cvt_f32_i32_e32 v221, v220
	v_cvt_f32_i32_e32 v220, v222
	v_mov_b32_e32 v125, 0
	v_dot4c_i32_i8_e32 v125, v187, v32
	v_mov_b32_e32 v232, v215
	v_mov_b32_e32 v233, v214
	v_dot4c_i32_i8_e32 v125, v188, v33
	v_pk_mul_f32 v[214:215], v[116:117], v[232:233] op_sel_hi:[0,1]
	v_dot4c_i32_i8_e32 v125, v189, v34
	s_waitcnt lgkmcnt(0)
	v_lshrrev_b16_e32 v136, 8, v124
	v_pk_fma_f32 v[18:19], v[214:215], v[220:221], v[18:19]
	v_dot4c_i32_i8_e32 v125, v190, v35
	v_bfe_i32 v215, v124, 0, 8
	v_bfe_i32 v216, v136, 0, 8
	v_mul_lo_u32 v124, v139, v216
	v_mul_lo_u32 v136, v234, v215
	;; [unrolled: 1-line block ×3, first 2 shown]
                                        ; kill: def $vgpr125 killed $sgpr0 killed $exec
	v_mov_b32_e32 v135, 0
	v_mad_u64_u32 v[136:137], s[22:23], v235, v216, v[136:137]
	v_mad_u64_u32 v[124:125], s[22:23], v138, v215, v[124:125]
	v_dot4c_i32_i8_e32 v135, v191, v36
	v_cvt_f32_i32_e32 v125, v124
	v_cvt_f32_i32_e32 v124, v136
	v_dot4c_i32_i8_e32 v135, v192, v37
	v_dot4c_i32_i8_e32 v135, v193, v38
	;; [unrolled: 1-line block ×3, first 2 shown]
	v_mul_lo_u32 v214, v241, v216
	v_pk_mul_f32 v[138:139], v[118:119], v[230:231] op_sel_hi:[0,1]
	v_mad_u64_u32 v[222:223], s[22:23], v240, v215, v[214:215]
	v_mad_u64_u32 v[220:221], s[22:23], v135, v216, v[220:221]
	v_pk_fma_f32 v[28:29], v[138:139], v[124:125], v[28:29]
	ds_read_u16 v124, v211 offset:35570
	v_cvt_f32_i32_e32 v137, v222
	v_cvt_f32_i32_e32 v136, v220
	v_mov_b32_e32 v125, 0
	v_dot4c_i32_i8_e32 v125, v195, v32
	v_pk_mul_f32 v[224:225], v[118:119], v[232:233] op_sel_hi:[0,1]
	v_dot4c_i32_i8_e32 v125, v196, v33
	v_pk_fma_f32 v[30:31], v[224:225], v[136:137], v[30:31]
	v_dot4c_i32_i8_e32 v125, v197, v34
	s_waitcnt lgkmcnt(0)
	v_lshrrev_b16_e32 v136, 8, v124
	v_dot4c_i32_i8_e32 v125, v198, v35
	v_bfe_i32 v213, v124, 0, 8
	v_bfe_i32 v214, v136, 0, 8
	v_mul_lo_u32 v124, v217, v214
	v_mul_lo_u32 v136, v236, v213
	;; [unrolled: 1-line block ×3, first 2 shown]
                                        ; kill: def $vgpr125 killed $sgpr0 killed $exec
	v_mad_u64_u32 v[136:137], s[22:23], v237, v214, v[136:137]
	v_mad_u64_u32 v[124:125], s[22:23], v212, v213, v[124:125]
	v_cvt_f32_i32_e32 v125, v124
	v_cvt_f32_i32_e32 v124, v136
	v_pk_mul_f32 v[222:223], v[120:121], v[230:231] op_sel_hi:[0,1]
	v_mov_b32_e32 v135, 0
	v_dot4c_i32_i8_e32 v135, v199, v36
	v_pk_fma_f32 v[24:25], v[222:223], v[124:125], v[24:25]
	v_mov_b32_e32 v124, 0
	v_dot4c_i32_i8_e32 v124, v203, v32
	ds_read_u16 v32, v218 offset:36594
	v_dot4c_i32_i8_e32 v124, v204, v33
	v_mov_b32_e32 v33, 0
	v_dot4c_i32_i8_e32 v33, v207, v36
	v_dot4c_i32_i8_e32 v135, v200, v37
	;; [unrolled: 1-line block ×7, first 2 shown]
	s_waitcnt lgkmcnt(0)
	v_lshrrev_b16_e32 v34, 8, v32
	v_bfe_i32 v211, v32, 0, 8
	v_dot4c_i32_i8_e32 v135, v202, v39
	v_mul_lo_u32 v138, v243, v214
	v_dot4c_i32_i8_e32 v33, v210, v39
	v_bfe_i32 v212, v34, 0, 8
	v_mul_lo_u32 v38, v124, v211
	v_mad_u64_u32 v[220:221], s[22:23], v135, v214, v[220:221]
	v_mad_u64_u32 v[138:139], s[22:23], v242, v213, v[138:139]
	v_mul_lo_u32 v32, v228, v212
	v_mul_lo_u32 v34, v238, v211
	;; [unrolled: 1-line block ×3, first 2 shown]
                                        ; kill: def $vgpr35 killed $sgpr0 killed $exec
	v_mad_u64_u32 v[38:39], s[22:23], v33, v212, v[38:39]
                                        ; kill: def $vgpr33 killed $sgpr0 killed $exec
	v_cvt_f32_i32_e32 v137, v138
	v_cvt_f32_i32_e32 v136, v220
	v_mad_u64_u32 v[36:37], s[22:23], v244, v211, v[36:37]
	v_mad_u64_u32 v[34:35], s[22:23], v239, v212, v[34:35]
	;; [unrolled: 1-line block ×3, first 2 shown]
	v_cvt_f32_i32_e32 v33, v32
	v_cvt_f32_i32_e32 v32, v34
	;; [unrolled: 1-line block ×4, first 2 shown]
	v_pk_mul_f32 v[224:225], v[120:121], v[232:233] op_sel_hi:[0,1]
	v_pk_fma_f32 v[26:27], v[224:225], v[136:137], v[26:27]
	v_pk_mul_f32 v[124:125], v[122:123], v[230:231] op_sel_hi:[0,1]
	v_pk_mul_f32 v[136:137], v[122:123], v[232:233] op_sel_hi:[0,1]
	v_pk_fma_f32 v[22:23], v[136:137], v[34:35], v[22:23]
	v_pk_fma_f32 v[20:21], v[124:125], v[32:33], v[20:21]
	ds_read2_b32 v[124:125], v186 offset0:128 offset1:160
	ds_read_b128 v[32:35], v185 offset:4096
	ds_read_b128 v[36:39], v185 offset:4112
	v_mov_b32_e32 v135, 0
	v_mov_b32_e32 v138, 0
	;; [unrolled: 1-line block ×8, first 2 shown]
	s_waitcnt lgkmcnt(1)
	v_dot4c_i32_i8_e32 v135, v126, v32
	s_waitcnt lgkmcnt(0)
	v_dot4c_i32_i8_e32 v138, v130, v36
	v_dot4c_i32_i8_e32 v225, v187, v32
	;; [unrolled: 1-line block ×31, first 2 shown]
	ds_read_b128 v[32:35], v185 offset:5120
	ds_read_b128 v[36:39], v185 offset:5136
	v_mov_b32_e32 v139, 0
	v_mov_b32_e32 v236, 0
	;; [unrolled: 1-line block ×8, first 2 shown]
	s_waitcnt lgkmcnt(1)
	v_dot4c_i32_i8_e32 v139, v126, v32
	s_waitcnt lgkmcnt(0)
	v_dot4c_i32_i8_e32 v236, v130, v36
	v_dot4c_i32_i8_e32 v228, v187, v32
	;; [unrolled: 1-line block ×31, first 2 shown]
	ds_read2_b32 v[136:137], v186 offset0:192 offset1:224
	ds_read_b128 v[32:35], v185 offset:6144
	ds_read_b128 v[36:39], v185 offset:6160
	v_mov_b32_e32 v237, 0
	v_mov_b32_e32 v238, 0
	;; [unrolled: 1-line block ×8, first 2 shown]
	s_waitcnt lgkmcnt(1)
	v_dot4c_i32_i8_e32 v237, v126, v32
	s_waitcnt lgkmcnt(0)
	v_dot4c_i32_i8_e32 v238, v130, v36
	v_dot4c_i32_i8_e32 v234, v187, v32
	;; [unrolled: 1-line block ×31, first 2 shown]
	ds_read_b128 v[36:39], v185 offset:7168
	ds_read_b128 v[32:35], v185 offset:7184
	v_mov_b32_e32 v239, 0
	s_add_i32 s18, s18, 2
	s_add_i32 s19, s19, 1
	s_waitcnt lgkmcnt(1)
	v_dot4c_i32_i8_e32 v239, v126, v36
	v_dot4c_i32_i8_e32 v239, v127, v37
	v_mov_b32_e32 v127, 0
	s_waitcnt lgkmcnt(0)
	v_dot4c_i32_i8_e32 v127, v130, v32
	v_dot4c_i32_i8_e32 v239, v128, v38
	;; [unrolled: 1-line block ×6, first 2 shown]
	v_mul_lo_u32 v128, v238, v229
	v_mul_lo_u32 v126, v239, v134
                                        ; kill: def $vgpr129 killed $sgpr0 killed $exec
	v_mul_lo_u32 v132, v138, v229
	v_mad_u64_u32 v[126:127], s[22:23], v127, v229, v[126:127]
	v_mad_u64_u32 v[128:129], s[22:23], v237, v134, v[128:129]
	v_cvt_f32_i32_e32 v127, v128
	v_cvt_f32_i32_e32 v126, v126
	v_mul_lo_u32 v130, v139, v134
	v_mad_u64_u32 v[132:133], s[22:23], v135, v134, v[132:133]
	v_mov_b32_e32 v134, v125
	v_mov_b32_e32 v135, v124
	;; [unrolled: 1-line block ×4, first 2 shown]
	v_pk_mul_f32 v[136:137], v[116:117], v[124:125] op_sel_hi:[0,1]
	v_mad_u64_u32 v[130:131], s[22:23], v236, v229, v[130:131]
	v_pk_fma_f32 v[14:15], v[136:137], v[126:127], v[14:15]
	v_mov_b32_e32 v127, 0
	v_cvt_f32_i32_e32 v131, v132
	v_cvt_f32_i32_e32 v130, v130
	v_dot4c_i32_i8_e32 v127, v187, v36
	v_dot4c_i32_i8_e32 v127, v188, v37
	v_mov_b32_e32 v129, 0
	v_dot4c_i32_i8_e32 v127, v189, v38
	v_dot4c_i32_i8_e32 v129, v191, v32
	v_pk_mul_f32 v[138:139], v[116:117], v[134:135] op_sel_hi:[0,1]
	v_dot4c_i32_i8_e32 v127, v190, v39
	v_dot4c_i32_i8_e32 v129, v192, v33
	v_pk_fma_f32 v[12:13], v[138:139], v[130:131], v[12:13]
	v_dot4c_i32_i8_e32 v129, v193, v34
	v_mul_lo_u32 v116, v226, v216
	v_mul_lo_u32 v126, v228, v215
	;; [unrolled: 1-line block ×3, first 2 shown]
                                        ; kill: def $vgpr127 killed $sgpr0 killed $exec
	v_dot4c_i32_i8_e32 v129, v194, v35
	v_mul_lo_u32 v128, v235, v216
	v_mad_u64_u32 v[126:127], s[22:23], v227, v216, v[126:127]
	v_mad_u64_u32 v[132:133], s[22:23], v225, v215, v[116:117]
	;; [unrolled: 1-line block ×4, first 2 shown]
	v_cvt_f32_i32_e32 v127, v132
	v_cvt_f32_i32_e32 v126, v126
	;; [unrolled: 1-line block ×4, first 2 shown]
	v_pk_mul_f32 v[136:137], v[118:119], v[134:135] op_sel_hi:[0,1]
	v_mul_lo_u32 v116, v222, v214
	v_pk_mul_f32 v[138:139], v[118:119], v[124:125] op_sel_hi:[0,1]
	v_pk_fma_f32 v[8:9], v[136:137], v[126:127], v[8:9]
	v_mov_b32_e32 v127, 0
	v_mad_u64_u32 v[132:133], s[22:23], v221, v213, v[116:117]
	v_mov_b32_e32 v116, 0
	v_pk_fma_f32 v[10:11], v[138:139], v[128:129], v[10:11]
	v_dot4c_i32_i8_e32 v127, v195, v36
	v_mov_b32_e32 v129, 0
	v_dot4c_i32_i8_e32 v116, v203, v36
	v_dot4c_i32_i8_e32 v127, v196, v37
	;; [unrolled: 1-line block ×4, first 2 shown]
	v_mov_b32_e32 v37, 0
	v_dot4c_i32_i8_e32 v127, v197, v38
	v_dot4c_i32_i8_e32 v129, v200, v33
	v_dot4c_i32_i8_e32 v37, v207, v32
	v_dot4c_i32_i8_e32 v127, v198, v39
	v_dot4c_i32_i8_e32 v129, v201, v34
	v_dot4c_i32_i8_e32 v116, v205, v38
	v_dot4c_i32_i8_e32 v37, v208, v33
	v_dot4c_i32_i8_e32 v129, v202, v35
	v_mul_lo_u32 v126, v233, v214
	v_mul_lo_u32 v128, v127, v213
                                        ; kill: def $vgpr127 killed $sgpr0 killed $exec
	v_dot4c_i32_i8_e32 v116, v206, v39
	v_dot4c_i32_i8_e32 v37, v209, v34
	v_mul_lo_u32 v118, v224, v213
	v_mad_u64_u32 v[128:129], s[22:23], v129, v214, v[128:129]
	v_mad_u64_u32 v[126:127], s[22:23], v232, v213, v[126:127]
	v_dot4c_i32_i8_e32 v37, v210, v35
	v_mul_lo_u32 v32, v218, v212
	v_mul_lo_u32 v34, v220, v211
	;; [unrolled: 1-line block ×4, first 2 shown]
                                        ; kill: def $vgpr33 killed $sgpr0 killed $exec
	v_mad_u64_u32 v[130:131], s[22:23], v223, v214, v[118:119]
	v_cvt_f32_i32_e32 v127, v126
	v_cvt_f32_i32_e32 v126, v128
	v_mad_u64_u32 v[38:39], s[22:23], v37, v212, v[38:39]
	v_mad_u64_u32 v[36:37], s[22:23], v230, v211, v[36:37]
	;; [unrolled: 1-line block ×4, first 2 shown]
	v_cvt_f32_i32_e32 v131, v132
	v_cvt_f32_i32_e32 v130, v130
	;; [unrolled: 1-line block ×6, first 2 shown]
	v_pk_mul_f32 v[138:139], v[120:121], v[124:125] op_sel_hi:[0,1]
	v_pk_mul_f32 v[136:137], v[120:121], v[134:135] op_sel_hi:[0,1]
	v_pk_fma_f32 v[6:7], v[138:139], v[126:127], v[6:7]
	v_pk_mul_f32 v[126:127], v[122:123], v[134:135] op_sel_hi:[0,1]
	v_pk_mul_f32 v[124:125], v[122:123], v[124:125] op_sel_hi:[0,1]
	v_pk_fma_f32 v[4:5], v[136:137], v[130:131], v[4:5]
	v_pk_fma_f32 v[2:3], v[124:125], v[34:35], v[2:3]
	;; [unrolled: 1-line block ×3, first 2 shown]
	v_add_u32_e32 v186, 4, v186
	v_add_u32_e32 v185, 32, v185
	s_cmp_lt_u32 s20, 22
	s_mov_b32 s22, s20
	s_cbranch_scc1 .LBB169_12
; %bb.13:                               ;   in Loop: Header=BB169_6 Depth=1
	v_add_u32_e32 v116, s17, v151
	v_add_u32_e32 v118, v116, v105
	v_mad_i64_i32 v[124:125], s[18:19], v118, 36, v[76:77]
	v_add_u32_e32 v118, v116, v107
	v_add_u32_e32 v32, v116, v97
	;; [unrolled: 1-line block ×5, first 2 shown]
	v_mad_i64_i32 v[126:127], s[18:19], v118, 36, v[76:77]
	v_add_u32_e32 v118, v116, v109
	v_add_u32_e32 v116, v116, v111
	v_mad_i64_i32 v[130:131], s[18:19], v116, 36, v[76:77]
	v_add_u32_e32 v116, 12, v184
	v_mad_i64_i32 v[32:33], s[18:19], v32, 36, v[76:77]
	v_mad_i64_i32 v[34:35], s[18:19], v34, 36, v[76:77]
	;; [unrolled: 1-line block ×4, first 2 shown]
	v_mad_u64_u32 v[132:133], s[18:19], v116, 36, s[2:3]
	s_barrier
	v_mad_i64_i32 v[128:129], s[18:19], v118, 36, v[76:77]
	global_load_dword v116, v[132:133], off
	s_nop 0
	global_load_dword v32, v[32:33], off offset:4
	s_nop 0
	global_load_dword v33, v[34:35], off offset:4
	;; [unrolled: 2-line block ×3, first 2 shown]
	global_load_dword v35, v[38:39], off offset:4
	s_nop 0
	global_load_dword v36, v[124:125], off offset:4
	global_load_dword v37, v[126:127], off offset:4
	;; [unrolled: 1-line block ×4, first 2 shown]
	s_mov_b32 s17, 24
	s_mov_b32 s21, 22
	;; [unrolled: 1-line block ×3, first 2 shown]
	v_mov_b32_e32 v184, v162
	v_mov_b32_e32 v185, v160
	s_waitcnt vmcnt(8)
	v_cvt_f32_f16_e32 v116, v116
	s_waitcnt vmcnt(7)
	ds_write_b32 v167, v32
	s_waitcnt vmcnt(6)
	ds_write_b32 v168, v33
	;; [unrolled: 2-line block ×8, first 2 shown]
	ds_write_b32 v75, v116
	s_waitcnt lgkmcnt(0)
	s_barrier
.LBB169_14:                             ;   Parent Loop BB169_6 Depth=1
                                        ; =>  This Inner Loop Header: Depth=2
	s_add_i32 s19, s21, 2
	s_lshr_b32 s24, s19, 4
	s_and_b32 s22, s19, 0x3ffffff8
	v_lshl_add_u32 v122, s22, 2, v113
	s_lshl_b32 s22, s24, 5
	s_addk_i32 s22, 0x4200
	v_add3_u32 v120, s22, v175, v115
	ds_read2_b32 v[124:125], v185 offset1:32
	ds_read_b128 v[36:39], v184
	ds_read_b128 v[32:35], v184 offset:16
	ds_read2_b32 v[126:127], v122 offset1:1
	ds_read2_b32 v[128:129], v120 offset1:1
	s_sub_i32 s20, s21, 22
	s_and_b32 s23, s17, -16
	s_add_i32 s21, s21, s23
	s_waitcnt lgkmcnt(1)
	v_ashrrev_i32_e32 v116, s20, v126
	s_waitcnt lgkmcnt(0)
	v_ashrrev_i32_e32 v126, s18, v128
	v_lshlrev_b32_e32 v126, 2, v126
	v_bfe_u32 v118, v116, 24, 2
	v_and_b32_e32 v116, 0x3030303, v116
	v_and_b32_e32 v126, 0x4040404, v126
	v_sub_u16_e32 v128, v116, v126
	v_sub_u16_sdwa v130, v116, v126 dst_sel:BYTE_1 dst_unused:UNUSED_PAD src0_sel:BYTE_1 src1_sel:BYTE_1
	v_sub_u16_sdwa v116, v116, v126 dst_sel:DWORD dst_unused:UNUSED_PAD src0_sel:WORD_1 src1_sel:WORD_1
	v_sub_u16_sdwa v118, v118, v126 dst_sel:BYTE_1 dst_unused:UNUSED_PAD src0_sel:DWORD src1_sel:BYTE_3
	v_bitop3_b16 v128, v128, v130, s9 bitop3:0xec
	v_bitop3_b16 v116, v116, v118, s9 bitop3:0xec
	v_lshlrev_b32_e32 v116, 16, v116
	v_or_b32_sdwa v126, v128, v116 dst_sel:DWORD dst_unused:UNUSED_PAD src0_sel:WORD_0 src1_sel:DWORD
	v_ashrrev_i32_e32 v116, s20, v127
	v_ashrrev_i32_e32 v127, s18, v129
	v_lshlrev_b32_e32 v127, 2, v127
	v_bfe_u32 v118, v116, 24, 2
	v_and_b32_e32 v116, 0x3030303, v116
	v_and_b32_e32 v127, 0x4040404, v127
	v_sub_u16_e32 v128, v116, v127
	v_sub_u16_sdwa v129, v116, v127 dst_sel:BYTE_1 dst_unused:UNUSED_PAD src0_sel:BYTE_1 src1_sel:BYTE_1
	v_sub_u16_sdwa v116, v116, v127 dst_sel:DWORD dst_unused:UNUSED_PAD src0_sel:WORD_1 src1_sel:WORD_1
	v_sub_u16_sdwa v118, v118, v127 dst_sel:BYTE_1 dst_unused:UNUSED_PAD src0_sel:DWORD src1_sel:BYTE_3
	v_bitop3_b16 v128, v128, v129, s9 bitop3:0xec
	v_bitop3_b16 v116, v116, v118, s9 bitop3:0xec
	v_lshlrev_b32_e32 v116, 16, v116
	v_or_b32_sdwa v127, v128, v116 dst_sel:DWORD dst_unused:UNUSED_PAD src0_sel:WORD_0 src1_sel:DWORD
	ds_read2_b32 v[128:129], v122 offset0:2 offset1:3
	ds_read2_b32 v[130:131], v120 offset0:2 offset1:3
	s_lshl_b32 s23, s24, 2
	s_add_i32 s23, s23, 0x9380
	v_add3_u32 v137, s22, v178, v117
	s_waitcnt lgkmcnt(1)
	v_ashrrev_i32_e32 v116, s20, v128
	s_waitcnt lgkmcnt(0)
	v_ashrrev_i32_e32 v128, s18, v130
	v_lshlrev_b32_e32 v128, 2, v128
	v_bfe_u32 v118, v116, 24, 2
	v_and_b32_e32 v116, 0x3030303, v116
	v_and_b32_e32 v128, 0x4040404, v128
	v_sub_u16_e32 v130, v116, v128
	v_sub_u16_sdwa v132, v116, v128 dst_sel:BYTE_1 dst_unused:UNUSED_PAD src0_sel:BYTE_1 src1_sel:BYTE_1
	v_sub_u16_sdwa v116, v116, v128 dst_sel:DWORD dst_unused:UNUSED_PAD src0_sel:WORD_1 src1_sel:WORD_1
	v_sub_u16_sdwa v118, v118, v128 dst_sel:BYTE_1 dst_unused:UNUSED_PAD src0_sel:DWORD src1_sel:BYTE_3
	v_bitop3_b16 v130, v130, v132, s9 bitop3:0xec
	v_bitop3_b16 v116, v116, v118, s9 bitop3:0xec
	v_lshlrev_b32_e32 v116, 16, v116
	v_or_b32_sdwa v128, v130, v116 dst_sel:DWORD dst_unused:UNUSED_PAD src0_sel:WORD_0 src1_sel:DWORD
	v_ashrrev_i32_e32 v116, s20, v129
	v_ashrrev_i32_e32 v129, s18, v131
	v_lshlrev_b32_e32 v129, 2, v129
	v_bfe_u32 v118, v116, 24, 2
	v_and_b32_e32 v116, 0x3030303, v116
	v_and_b32_e32 v129, 0x4040404, v129
	v_sub_u16_e32 v130, v116, v129
	v_sub_u16_sdwa v131, v116, v129 dst_sel:BYTE_1 dst_unused:UNUSED_PAD src0_sel:BYTE_1 src1_sel:BYTE_1
	v_sub_u16_sdwa v116, v116, v129 dst_sel:DWORD dst_unused:UNUSED_PAD src0_sel:WORD_1 src1_sel:WORD_1
	v_sub_u16_sdwa v118, v118, v129 dst_sel:BYTE_1 dst_unused:UNUSED_PAD src0_sel:DWORD src1_sel:BYTE_3
	v_bitop3_b16 v130, v130, v131, s9 bitop3:0xec
	v_bitop3_b16 v116, v116, v118, s9 bitop3:0xec
	v_lshlrev_b32_e32 v116, 16, v116
	v_or_b32_sdwa v129, v130, v116 dst_sel:DWORD dst_unused:UNUSED_PAD src0_sel:WORD_0 src1_sel:DWORD
	ds_read2_b32 v[130:131], v122 offset0:4 offset1:5
	ds_read2_b32 v[132:133], v120 offset0:4 offset1:5
	ds_read2_b32 v[186:187], v137 offset1:1
	v_add3_u32 v202, s22, v180, v142
	v_add3_u32 v212, s22, v182, v146
	s_waitcnt lgkmcnt(2)
	v_ashrrev_i32_e32 v116, s20, v130
	s_waitcnt lgkmcnt(1)
	v_ashrrev_i32_e32 v130, s18, v132
	v_lshlrev_b32_e32 v130, 2, v130
	v_bfe_u32 v118, v116, 24, 2
	v_and_b32_e32 v116, 0x3030303, v116
	v_and_b32_e32 v130, 0x4040404, v130
	v_sub_u16_e32 v132, v116, v130
	v_sub_u16_sdwa v134, v116, v130 dst_sel:BYTE_1 dst_unused:UNUSED_PAD src0_sel:BYTE_1 src1_sel:BYTE_1
	v_sub_u16_sdwa v116, v116, v130 dst_sel:DWORD dst_unused:UNUSED_PAD src0_sel:WORD_1 src1_sel:WORD_1
	v_sub_u16_sdwa v118, v118, v130 dst_sel:BYTE_1 dst_unused:UNUSED_PAD src0_sel:DWORD src1_sel:BYTE_3
	v_bitop3_b16 v132, v132, v134, s9 bitop3:0xec
	v_bitop3_b16 v116, v116, v118, s9 bitop3:0xec
	v_lshlrev_b32_e32 v116, 16, v116
	v_or_b32_sdwa v130, v132, v116 dst_sel:DWORD dst_unused:UNUSED_PAD src0_sel:WORD_0 src1_sel:DWORD
	v_ashrrev_i32_e32 v116, s20, v131
	v_ashrrev_i32_e32 v131, s18, v133
	v_lshlrev_b32_e32 v131, 2, v131
	v_bfe_u32 v118, v116, 24, 2
	v_and_b32_e32 v116, 0x3030303, v116
	v_and_b32_e32 v131, 0x4040404, v131
	v_sub_u16_e32 v132, v116, v131
	v_sub_u16_sdwa v133, v116, v131 dst_sel:BYTE_1 dst_unused:UNUSED_PAD src0_sel:BYTE_1 src1_sel:BYTE_1
	v_sub_u16_sdwa v116, v116, v131 dst_sel:DWORD dst_unused:UNUSED_PAD src0_sel:WORD_1 src1_sel:WORD_1
	v_sub_u16_sdwa v118, v118, v131 dst_sel:BYTE_1 dst_unused:UNUSED_PAD src0_sel:DWORD src1_sel:BYTE_3
	v_bitop3_b16 v132, v132, v133, s9 bitop3:0xec
	v_bitop3_b16 v116, v116, v118, s9 bitop3:0xec
	v_lshlrev_b32_e32 v116, 16, v116
	v_or_b32_sdwa v131, v132, v116 dst_sel:DWORD dst_unused:UNUSED_PAD src0_sel:WORD_0 src1_sel:DWORD
	ds_read2_b32 v[132:133], v122 offset0:6 offset1:7
	ds_read2_b32 v[134:135], v120 offset0:6 offset1:7
	v_mov_b32_e32 v136, 0
	v_mov_b32_e32 v211, 0
	v_mov_b32_e32 v216, 0
	s_waitcnt lgkmcnt(1)
	v_ashrrev_i32_e32 v116, s20, v132
	s_waitcnt lgkmcnt(0)
	v_ashrrev_i32_e32 v120, s18, v134
	v_lshlrev_b32_e32 v120, 2, v120
	v_bfe_u32 v118, v116, 24, 2
	v_and_b32_e32 v116, 0x3030303, v116
	v_and_b32_e32 v120, 0x4040404, v120
	v_sub_u16_e32 v132, v116, v120
	v_sub_u16_sdwa v134, v116, v120 dst_sel:BYTE_1 dst_unused:UNUSED_PAD src0_sel:BYTE_1 src1_sel:BYTE_1
	v_sub_u16_sdwa v116, v116, v120 dst_sel:DWORD dst_unused:UNUSED_PAD src0_sel:WORD_1 src1_sel:WORD_1
	v_sub_u16_sdwa v118, v118, v120 dst_sel:BYTE_1 dst_unused:UNUSED_PAD src0_sel:DWORD src1_sel:BYTE_3
	v_bitop3_b16 v132, v132, v134, s9 bitop3:0xec
	v_bitop3_b16 v116, v116, v118, s9 bitop3:0xec
	v_lshlrev_b32_e32 v116, 16, v116
	v_ashrrev_i32_e32 v120, s18, v135
	v_or_b32_sdwa v132, v132, v116 dst_sel:DWORD dst_unused:UNUSED_PAD src0_sel:WORD_0 src1_sel:DWORD
	v_ashrrev_i32_e32 v116, s20, v133
	v_lshlrev_b32_e32 v120, 2, v120
	v_bfe_u32 v118, v116, 24, 2
	v_and_b32_e32 v116, 0x3030303, v116
	v_and_b32_e32 v120, 0x4040404, v120
	v_sub_u16_e32 v133, v116, v120
	v_sub_u16_sdwa v134, v116, v120 dst_sel:BYTE_1 dst_unused:UNUSED_PAD src0_sel:BYTE_1 src1_sel:BYTE_1
	v_sub_u16_sdwa v116, v116, v120 dst_sel:DWORD dst_unused:UNUSED_PAD src0_sel:WORD_1 src1_sel:WORD_1
	v_sub_u16_sdwa v118, v118, v120 dst_sel:BYTE_1 dst_unused:UNUSED_PAD src0_sel:DWORD src1_sel:BYTE_3
	v_bitop3_b16 v133, v133, v134, s9 bitop3:0xec
	v_bitop3_b16 v116, v116, v118, s9 bitop3:0xec
	v_lshlrev_b32_e32 v116, 16, v116
	v_or_b32_sdwa v133, v133, v116 dst_sel:DWORD dst_unused:UNUSED_PAD src0_sel:WORD_0 src1_sel:DWORD
	v_add3_u32 v116, s23, v176, v177
	v_add_u32_e32 v118, 0x1080, v122
	ds_read_b32 v116, v116
	ds_read2_b32 v[138:139], v118 offset1:1
	ds_read2_b32 v[196:197], v202 offset1:1
	v_mov_b32_e32 v135, 0
	v_mov_b32_e32 v229, 0
	;; [unrolled: 1-line block ×3, first 2 shown]
	s_waitcnt lgkmcnt(1)
	v_ashrrev_i32_e32 v118, s20, v138
	v_ashrrev_i32_e32 v138, s18, v186
	v_lshlrev_b32_e32 v138, 2, v138
	v_bfe_u32 v120, v118, 24, 2
	v_and_b32_e32 v118, 0x3030303, v118
	v_and_b32_e32 v138, 0x4040404, v138
	v_sub_u16_e32 v186, v118, v138
	v_sub_u16_sdwa v188, v118, v138 dst_sel:BYTE_1 dst_unused:UNUSED_PAD src0_sel:BYTE_1 src1_sel:BYTE_1
	v_sub_u16_sdwa v118, v118, v138 dst_sel:DWORD dst_unused:UNUSED_PAD src0_sel:WORD_1 src1_sel:WORD_1
	v_sub_u16_sdwa v120, v120, v138 dst_sel:BYTE_1 dst_unused:UNUSED_PAD src0_sel:DWORD src1_sel:BYTE_3
	v_bitop3_b16 v186, v186, v188, s9 bitop3:0xec
	v_bitop3_b16 v118, v118, v120, s9 bitop3:0xec
	v_lshlrev_b32_e32 v118, 16, v118
	v_ashrrev_i32_e32 v138, s18, v187
	v_or_b32_sdwa v186, v186, v118 dst_sel:DWORD dst_unused:UNUSED_PAD src0_sel:WORD_0 src1_sel:DWORD
	v_ashrrev_i32_e32 v118, s20, v139
	v_lshlrev_b32_e32 v138, 2, v138
	v_bfe_u32 v120, v118, 24, 2
	v_and_b32_e32 v118, 0x3030303, v118
	v_and_b32_e32 v138, 0x4040404, v138
	v_sub_u16_e32 v139, v118, v138
	v_sub_u16_sdwa v187, v118, v138 dst_sel:BYTE_1 dst_unused:UNUSED_PAD src0_sel:BYTE_1 src1_sel:BYTE_1
	v_sub_u16_sdwa v118, v118, v138 dst_sel:DWORD dst_unused:UNUSED_PAD src0_sel:WORD_1 src1_sel:WORD_1
	v_sub_u16_sdwa v120, v120, v138 dst_sel:BYTE_1 dst_unused:UNUSED_PAD src0_sel:DWORD src1_sel:BYTE_3
	v_bitop3_b16 v139, v139, v187, s9 bitop3:0xec
	v_bitop3_b16 v118, v118, v120, s9 bitop3:0xec
	v_lshlrev_b32_e32 v118, 16, v118
	v_or_b32_sdwa v187, v139, v118 dst_sel:DWORD dst_unused:UNUSED_PAD src0_sel:WORD_0 src1_sel:DWORD
	v_add_u32_e32 v118, 0x1088, v122
	ds_read2_b32 v[138:139], v118 offset1:1
	ds_read2_b32 v[188:189], v137 offset0:2 offset1:3
	s_waitcnt lgkmcnt(2)
	v_ashrrev_i32_e32 v196, s18, v196
	v_lshlrev_b32_e32 v196, 2, v196
	v_and_b32_e32 v196, 0x4040404, v196
	s_waitcnt lgkmcnt(1)
	v_ashrrev_i32_e32 v118, s20, v138
	s_waitcnt lgkmcnt(0)
	v_ashrrev_i32_e32 v138, s18, v188
	v_lshlrev_b32_e32 v138, 2, v138
	v_bfe_u32 v120, v118, 24, 2
	v_and_b32_e32 v118, 0x3030303, v118
	v_and_b32_e32 v138, 0x4040404, v138
	v_sub_u16_e32 v188, v118, v138
	v_sub_u16_sdwa v190, v118, v138 dst_sel:BYTE_1 dst_unused:UNUSED_PAD src0_sel:BYTE_1 src1_sel:BYTE_1
	v_sub_u16_sdwa v118, v118, v138 dst_sel:DWORD dst_unused:UNUSED_PAD src0_sel:WORD_1 src1_sel:WORD_1
	v_sub_u16_sdwa v120, v120, v138 dst_sel:BYTE_1 dst_unused:UNUSED_PAD src0_sel:DWORD src1_sel:BYTE_3
	v_bitop3_b16 v188, v188, v190, s9 bitop3:0xec
	v_bitop3_b16 v118, v118, v120, s9 bitop3:0xec
	v_lshlrev_b32_e32 v118, 16, v118
	v_ashrrev_i32_e32 v138, s18, v189
	v_or_b32_sdwa v188, v188, v118 dst_sel:DWORD dst_unused:UNUSED_PAD src0_sel:WORD_0 src1_sel:DWORD
	v_ashrrev_i32_e32 v118, s20, v139
	v_lshlrev_b32_e32 v138, 2, v138
	v_bfe_u32 v120, v118, 24, 2
	v_and_b32_e32 v118, 0x3030303, v118
	v_and_b32_e32 v138, 0x4040404, v138
	v_sub_u16_e32 v139, v118, v138
	v_sub_u16_sdwa v189, v118, v138 dst_sel:BYTE_1 dst_unused:UNUSED_PAD src0_sel:BYTE_1 src1_sel:BYTE_1
	v_sub_u16_sdwa v118, v118, v138 dst_sel:DWORD dst_unused:UNUSED_PAD src0_sel:WORD_1 src1_sel:WORD_1
	v_sub_u16_sdwa v120, v120, v138 dst_sel:BYTE_1 dst_unused:UNUSED_PAD src0_sel:DWORD src1_sel:BYTE_3
	v_bitop3_b16 v139, v139, v189, s9 bitop3:0xec
	v_bitop3_b16 v118, v118, v120, s9 bitop3:0xec
	v_lshlrev_b32_e32 v118, 16, v118
	v_or_b32_sdwa v189, v139, v118 dst_sel:DWORD dst_unused:UNUSED_PAD src0_sel:WORD_0 src1_sel:DWORD
	v_add_u32_e32 v118, 0x1090, v122
	ds_read2_b32 v[138:139], v118 offset1:1
	ds_read2_b32 v[190:191], v137 offset0:4 offset1:5
	v_dot4c_i32_i8_e32 v135, v126, v36
	v_dot4c_i32_i8_e32 v136, v130, v32
	;; [unrolled: 1-line block ×3, first 2 shown]
	s_waitcnt lgkmcnt(1)
	v_ashrrev_i32_e32 v118, s20, v138
	s_waitcnt lgkmcnt(0)
	v_ashrrev_i32_e32 v138, s18, v190
	v_lshlrev_b32_e32 v138, 2, v138
	v_bfe_u32 v120, v118, 24, 2
	v_and_b32_e32 v118, 0x3030303, v118
	v_and_b32_e32 v138, 0x4040404, v138
	v_sub_u16_e32 v190, v118, v138
	v_sub_u16_sdwa v192, v118, v138 dst_sel:BYTE_1 dst_unused:UNUSED_PAD src0_sel:BYTE_1 src1_sel:BYTE_1
	v_sub_u16_sdwa v118, v118, v138 dst_sel:DWORD dst_unused:UNUSED_PAD src0_sel:WORD_1 src1_sel:WORD_1
	v_sub_u16_sdwa v120, v120, v138 dst_sel:BYTE_1 dst_unused:UNUSED_PAD src0_sel:DWORD src1_sel:BYTE_3
	v_bitop3_b16 v190, v190, v192, s9 bitop3:0xec
	v_bitop3_b16 v118, v118, v120, s9 bitop3:0xec
	v_lshlrev_b32_e32 v118, 16, v118
	v_ashrrev_i32_e32 v138, s18, v191
	v_or_b32_sdwa v190, v190, v118 dst_sel:DWORD dst_unused:UNUSED_PAD src0_sel:WORD_0 src1_sel:DWORD
	v_ashrrev_i32_e32 v118, s20, v139
	v_lshlrev_b32_e32 v138, 2, v138
	v_bfe_u32 v120, v118, 24, 2
	v_and_b32_e32 v118, 0x3030303, v118
	v_and_b32_e32 v138, 0x4040404, v138
	v_sub_u16_e32 v139, v118, v138
	v_sub_u16_sdwa v191, v118, v138 dst_sel:BYTE_1 dst_unused:UNUSED_PAD src0_sel:BYTE_1 src1_sel:BYTE_1
	v_sub_u16_sdwa v118, v118, v138 dst_sel:DWORD dst_unused:UNUSED_PAD src0_sel:WORD_1 src1_sel:WORD_1
	v_sub_u16_sdwa v120, v120, v138 dst_sel:BYTE_1 dst_unused:UNUSED_PAD src0_sel:DWORD src1_sel:BYTE_3
	v_bitop3_b16 v139, v139, v191, s9 bitop3:0xec
	v_bitop3_b16 v118, v118, v120, s9 bitop3:0xec
	v_lshlrev_b32_e32 v118, 16, v118
	v_or_b32_sdwa v191, v139, v118 dst_sel:DWORD dst_unused:UNUSED_PAD src0_sel:WORD_0 src1_sel:DWORD
	v_add_u32_e32 v118, 0x1098, v122
	ds_read2_b32 v[138:139], v118 offset1:1
	ds_read2_b32 v[192:193], v137 offset0:6 offset1:7
	v_dot4c_i32_i8_e32 v136, v131, v33
	v_dot4c_i32_i8_e32 v135, v128, v38
	;; [unrolled: 1-line block ×3, first 2 shown]
	s_waitcnt lgkmcnt(1)
	v_ashrrev_i32_e32 v118, s20, v138
	s_waitcnt lgkmcnt(0)
	v_ashrrev_i32_e32 v137, s18, v192
	v_lshlrev_b32_e32 v137, 2, v137
	v_bfe_u32 v120, v118, 24, 2
	v_and_b32_e32 v118, 0x3030303, v118
	v_and_b32_e32 v137, 0x4040404, v137
	v_sub_u16_e32 v138, v118, v137
	v_sub_u16_sdwa v192, v118, v137 dst_sel:BYTE_1 dst_unused:UNUSED_PAD src0_sel:BYTE_1 src1_sel:BYTE_1
	v_sub_u16_sdwa v118, v118, v137 dst_sel:DWORD dst_unused:UNUSED_PAD src0_sel:WORD_1 src1_sel:WORD_1
	v_sub_u16_sdwa v120, v120, v137 dst_sel:BYTE_1 dst_unused:UNUSED_PAD src0_sel:DWORD src1_sel:BYTE_3
	v_bitop3_b16 v138, v138, v192, s9 bitop3:0xec
	v_bitop3_b16 v118, v118, v120, s9 bitop3:0xec
	v_lshlrev_b32_e32 v118, 16, v118
	v_ashrrev_i32_e32 v137, s18, v193
	v_or_b32_sdwa v192, v138, v118 dst_sel:DWORD dst_unused:UNUSED_PAD src0_sel:WORD_0 src1_sel:DWORD
	v_ashrrev_i32_e32 v118, s20, v139
	v_lshlrev_b32_e32 v137, 2, v137
	v_bfe_u32 v120, v118, 24, 2
	v_and_b32_e32 v118, 0x3030303, v118
	v_and_b32_e32 v137, 0x4040404, v137
	v_sub_u16_e32 v138, v118, v137
	v_sub_u16_sdwa v139, v118, v137 dst_sel:BYTE_1 dst_unused:UNUSED_PAD src0_sel:BYTE_1 src1_sel:BYTE_1
	v_sub_u16_sdwa v118, v118, v137 dst_sel:DWORD dst_unused:UNUSED_PAD src0_sel:WORD_1 src1_sel:WORD_1
	v_sub_u16_sdwa v120, v120, v137 dst_sel:BYTE_1 dst_unused:UNUSED_PAD src0_sel:DWORD src1_sel:BYTE_3
	v_bitop3_b16 v138, v138, v139, s9 bitop3:0xec
	v_bitop3_b16 v118, v118, v120, s9 bitop3:0xec
	v_lshlrev_b32_e32 v118, 16, v118
	v_or_b32_sdwa v193, v138, v118 dst_sel:DWORD dst_unused:UNUSED_PAD src0_sel:WORD_0 src1_sel:DWORD
	v_add3_u32 v118, s23, v179, v119
	v_add_u32_e32 v120, 0x2100, v122
	ds_read_b32 v118, v118
	ds_read2_b32 v[194:195], v120 offset1:1
	v_mov_b32_e32 v138, 0
	v_mov_b32_e32 v139, 0
	v_dot4c_i32_i8_e32 v138, v186, v36
	v_dot4c_i32_i8_e32 v139, v190, v32
	s_waitcnt lgkmcnt(0)
	v_ashrrev_i32_e32 v120, s20, v194
	v_bfe_u32 v194, v120, 24, 2
	v_and_b32_e32 v120, 0x3030303, v120
	v_sub_u16_e32 v198, v120, v196
	v_sub_u16_sdwa v199, v120, v196 dst_sel:BYTE_1 dst_unused:UNUSED_PAD src0_sel:BYTE_1 src1_sel:BYTE_1
	v_sub_u16_sdwa v120, v120, v196 dst_sel:DWORD dst_unused:UNUSED_PAD src0_sel:WORD_1 src1_sel:WORD_1
	v_sub_u16_sdwa v194, v194, v196 dst_sel:BYTE_1 dst_unused:UNUSED_PAD src0_sel:DWORD src1_sel:BYTE_3
	v_bitop3_b16 v198, v198, v199, s9 bitop3:0xec
	v_bitop3_b16 v120, v120, v194, s9 bitop3:0xec
	v_lshlrev_b32_e32 v120, 16, v120
	v_ashrrev_i32_e32 v196, s18, v197
	v_or_b32_sdwa v194, v198, v120 dst_sel:DWORD dst_unused:UNUSED_PAD src0_sel:WORD_0 src1_sel:DWORD
	v_ashrrev_i32_e32 v120, s20, v195
	v_lshlrev_b32_e32 v196, 2, v196
	v_bfe_u32 v195, v120, 24, 2
	v_and_b32_e32 v120, 0x3030303, v120
	v_and_b32_e32 v196, 0x4040404, v196
	v_sub_u16_e32 v197, v120, v196
	v_sub_u16_sdwa v198, v120, v196 dst_sel:BYTE_1 dst_unused:UNUSED_PAD src0_sel:BYTE_1 src1_sel:BYTE_1
	v_sub_u16_sdwa v120, v120, v196 dst_sel:DWORD dst_unused:UNUSED_PAD src0_sel:WORD_1 src1_sel:WORD_1
	v_sub_u16_sdwa v195, v195, v196 dst_sel:BYTE_1 dst_unused:UNUSED_PAD src0_sel:DWORD src1_sel:BYTE_3
	v_bitop3_b16 v197, v197, v198, s9 bitop3:0xec
	v_bitop3_b16 v120, v120, v195, s9 bitop3:0xec
	v_lshlrev_b32_e32 v120, 16, v120
	v_or_b32_sdwa v195, v197, v120 dst_sel:DWORD dst_unused:UNUSED_PAD src0_sel:WORD_0 src1_sel:DWORD
	v_add_u32_e32 v120, 0x2108, v122
	ds_read2_b32 v[196:197], v120 offset1:1
	ds_read2_b32 v[198:199], v202 offset0:2 offset1:3
	v_dot4c_i32_i8_e32 v211, v194, v36
	v_dot4c_i32_i8_e32 v138, v187, v37
	v_dot4c_i32_i8_e32 v139, v191, v33
	s_waitcnt lgkmcnt(1)
	v_ashrrev_i32_e32 v120, s20, v196
	s_waitcnt lgkmcnt(0)
	v_ashrrev_i32_e32 v198, s18, v198
	v_lshlrev_b32_e32 v198, 2, v198
	v_bfe_u32 v196, v120, 24, 2
	v_and_b32_e32 v120, 0x3030303, v120
	v_and_b32_e32 v198, 0x4040404, v198
	v_sub_u16_e32 v200, v120, v198
	v_sub_u16_sdwa v201, v120, v198 dst_sel:BYTE_1 dst_unused:UNUSED_PAD src0_sel:BYTE_1 src1_sel:BYTE_1
	v_sub_u16_sdwa v120, v120, v198 dst_sel:DWORD dst_unused:UNUSED_PAD src0_sel:WORD_1 src1_sel:WORD_1
	v_sub_u16_sdwa v196, v196, v198 dst_sel:BYTE_1 dst_unused:UNUSED_PAD src0_sel:DWORD src1_sel:BYTE_3
	v_bitop3_b16 v200, v200, v201, s9 bitop3:0xec
	v_bitop3_b16 v120, v120, v196, s9 bitop3:0xec
	v_lshlrev_b32_e32 v120, 16, v120
	v_ashrrev_i32_e32 v198, s18, v199
	v_or_b32_sdwa v196, v200, v120 dst_sel:DWORD dst_unused:UNUSED_PAD src0_sel:WORD_0 src1_sel:DWORD
	v_ashrrev_i32_e32 v120, s20, v197
	v_lshlrev_b32_e32 v198, 2, v198
	v_bfe_u32 v197, v120, 24, 2
	v_and_b32_e32 v120, 0x3030303, v120
	v_and_b32_e32 v198, 0x4040404, v198
	v_sub_u16_e32 v199, v120, v198
	v_sub_u16_sdwa v200, v120, v198 dst_sel:BYTE_1 dst_unused:UNUSED_PAD src0_sel:BYTE_1 src1_sel:BYTE_1
	v_sub_u16_sdwa v120, v120, v198 dst_sel:DWORD dst_unused:UNUSED_PAD src0_sel:WORD_1 src1_sel:WORD_1
	v_sub_u16_sdwa v197, v197, v198 dst_sel:BYTE_1 dst_unused:UNUSED_PAD src0_sel:DWORD src1_sel:BYTE_3
	v_bitop3_b16 v199, v199, v200, s9 bitop3:0xec
	v_bitop3_b16 v120, v120, v197, s9 bitop3:0xec
	v_lshlrev_b32_e32 v120, 16, v120
	v_or_b32_sdwa v197, v199, v120 dst_sel:DWORD dst_unused:UNUSED_PAD src0_sel:WORD_0 src1_sel:DWORD
	v_add_u32_e32 v120, 0x2110, v122
	ds_read2_b32 v[198:199], v120 offset1:1
	ds_read2_b32 v[200:201], v202 offset0:4 offset1:5
	v_dot4c_i32_i8_e32 v211, v195, v37
	v_dot4c_i32_i8_e32 v138, v188, v38
	v_dot4c_i32_i8_e32 v139, v192, v34
	s_waitcnt lgkmcnt(1)
	v_ashrrev_i32_e32 v120, s20, v198
	s_waitcnt lgkmcnt(0)
	v_ashrrev_i32_e32 v200, s18, v200
	v_lshlrev_b32_e32 v200, 2, v200
	v_bfe_u32 v198, v120, 24, 2
	v_and_b32_e32 v120, 0x3030303, v120
	;; [unrolled: 36-line block ×3, first 2 shown]
	v_and_b32_e32 v202, 0x4040404, v202
	v_sub_u16_e32 v204, v120, v202
	v_sub_u16_sdwa v205, v120, v202 dst_sel:BYTE_1 dst_unused:UNUSED_PAD src0_sel:BYTE_1 src1_sel:BYTE_1
	v_sub_u16_sdwa v120, v120, v202 dst_sel:DWORD dst_unused:UNUSED_PAD src0_sel:WORD_1 src1_sel:WORD_1
	v_sub_u16_sdwa v200, v200, v202 dst_sel:BYTE_1 dst_unused:UNUSED_PAD src0_sel:DWORD src1_sel:BYTE_3
	v_bitop3_b16 v204, v204, v205, s9 bitop3:0xec
	v_bitop3_b16 v120, v120, v200, s9 bitop3:0xec
	v_lshlrev_b32_e32 v120, 16, v120
	v_ashrrev_i32_e32 v202, s18, v203
	v_or_b32_sdwa v200, v204, v120 dst_sel:DWORD dst_unused:UNUSED_PAD src0_sel:WORD_0 src1_sel:DWORD
	v_ashrrev_i32_e32 v120, s20, v201
	v_lshlrev_b32_e32 v202, 2, v202
	v_bfe_u32 v201, v120, 24, 2
	v_and_b32_e32 v120, 0x3030303, v120
	v_and_b32_e32 v202, 0x4040404, v202
	v_sub_u16_e32 v203, v120, v202
	v_sub_u16_sdwa v204, v120, v202 dst_sel:BYTE_1 dst_unused:UNUSED_PAD src0_sel:BYTE_1 src1_sel:BYTE_1
	v_sub_u16_sdwa v120, v120, v202 dst_sel:DWORD dst_unused:UNUSED_PAD src0_sel:WORD_1 src1_sel:WORD_1
	v_sub_u16_sdwa v201, v201, v202 dst_sel:BYTE_1 dst_unused:UNUSED_PAD src0_sel:DWORD src1_sel:BYTE_3
	v_bitop3_b16 v203, v203, v204, s9 bitop3:0xec
	v_bitop3_b16 v120, v120, v201, s9 bitop3:0xec
	v_lshlrev_b32_e32 v120, 16, v120
	v_add_u32_e32 v202, 0x3180, v122
	v_or_b32_sdwa v201, v203, v120 dst_sel:DWORD dst_unused:UNUSED_PAD src0_sel:WORD_0 src1_sel:DWORD
	ds_read2_b32 v[202:203], v202 offset1:1
	ds_read2_b32 v[204:205], v212 offset1:1
	v_add3_u32 v120, s23, v181, v144
	ds_read_b32 v120, v120
	v_dot4c_i32_i8_e32 v216, v200, v34
	s_waitcnt lgkmcnt(2)
	v_ashrrev_i32_e32 v202, s20, v202
	s_waitcnt lgkmcnt(1)
	v_ashrrev_i32_e32 v204, s18, v204
	v_lshlrev_b32_e32 v204, 2, v204
	v_bfe_u32 v206, v202, 24, 2
	v_and_b32_e32 v202, 0x3030303, v202
	v_and_b32_e32 v204, 0x4040404, v204
	v_sub_u16_e32 v207, v202, v204
	v_sub_u16_sdwa v208, v202, v204 dst_sel:BYTE_1 dst_unused:UNUSED_PAD src0_sel:BYTE_1 src1_sel:BYTE_1
	v_sub_u16_sdwa v202, v202, v204 dst_sel:DWORD dst_unused:UNUSED_PAD src0_sel:WORD_1 src1_sel:WORD_1
	v_sub_u16_sdwa v204, v206, v204 dst_sel:BYTE_1 dst_unused:UNUSED_PAD src0_sel:DWORD src1_sel:BYTE_3
	v_ashrrev_i32_e32 v205, s18, v205
	v_bitop3_b16 v202, v202, v204, s9 bitop3:0xec
	v_ashrrev_i32_e32 v203, s20, v203
	v_lshlrev_b32_e32 v205, 2, v205
	v_bitop3_b16 v207, v207, v208, s9 bitop3:0xec
	v_lshlrev_b32_e32 v202, 16, v202
	v_bfe_u32 v204, v203, 24, 2
	v_and_b32_e32 v203, 0x3030303, v203
	v_and_b32_e32 v205, 0x4040404, v205
	v_or_b32_sdwa v202, v207, v202 dst_sel:DWORD dst_unused:UNUSED_PAD src0_sel:WORD_0 src1_sel:DWORD
	v_sub_u16_e32 v206, v203, v205
	v_sub_u16_sdwa v207, v203, v205 dst_sel:BYTE_1 dst_unused:UNUSED_PAD src0_sel:BYTE_1 src1_sel:BYTE_1
	v_sub_u16_sdwa v203, v203, v205 dst_sel:DWORD dst_unused:UNUSED_PAD src0_sel:WORD_1 src1_sel:WORD_1
	v_sub_u16_sdwa v204, v204, v205 dst_sel:BYTE_1 dst_unused:UNUSED_PAD src0_sel:DWORD src1_sel:BYTE_3
	v_bitop3_b16 v206, v206, v207, s9 bitop3:0xec
	v_bitop3_b16 v203, v203, v204, s9 bitop3:0xec
	v_lshlrev_b32_e32 v203, 16, v203
	v_add_u32_e32 v204, 0x3188, v122
	v_or_b32_sdwa v203, v206, v203 dst_sel:DWORD dst_unused:UNUSED_PAD src0_sel:WORD_0 src1_sel:DWORD
	ds_read2_b32 v[204:205], v204 offset1:1
	ds_read2_b32 v[206:207], v212 offset0:2 offset1:3
	v_dot4c_i32_i8_e32 v229, v202, v36
	v_dot4c_i32_i8_e32 v229, v203, v37
	;; [unrolled: 1-line block ×3, first 2 shown]
	s_waitcnt lgkmcnt(1)
	v_ashrrev_i32_e32 v204, s20, v204
	s_waitcnt lgkmcnt(0)
	v_ashrrev_i32_e32 v206, s18, v206
	v_lshlrev_b32_e32 v206, 2, v206
	v_bfe_u32 v208, v204, 24, 2
	v_and_b32_e32 v204, 0x3030303, v204
	v_and_b32_e32 v206, 0x4040404, v206
	v_sub_u16_e32 v209, v204, v206
	v_sub_u16_sdwa v213, v204, v206 dst_sel:BYTE_1 dst_unused:UNUSED_PAD src0_sel:BYTE_1 src1_sel:BYTE_1
	v_sub_u16_sdwa v204, v204, v206 dst_sel:DWORD dst_unused:UNUSED_PAD src0_sel:WORD_1 src1_sel:WORD_1
	v_sub_u16_sdwa v206, v208, v206 dst_sel:BYTE_1 dst_unused:UNUSED_PAD src0_sel:DWORD src1_sel:BYTE_3
	v_ashrrev_i32_e32 v207, s18, v207
	v_bitop3_b16 v204, v204, v206, s9 bitop3:0xec
	v_ashrrev_i32_e32 v205, s20, v205
	v_lshlrev_b32_e32 v207, 2, v207
	v_bitop3_b16 v209, v209, v213, s9 bitop3:0xec
	v_lshlrev_b32_e32 v204, 16, v204
	v_bfe_u32 v206, v205, 24, 2
	v_and_b32_e32 v205, 0x3030303, v205
	v_and_b32_e32 v207, 0x4040404, v207
	v_or_b32_sdwa v204, v209, v204 dst_sel:DWORD dst_unused:UNUSED_PAD src0_sel:WORD_0 src1_sel:DWORD
	v_sub_u16_e32 v208, v205, v207
	v_sub_u16_sdwa v209, v205, v207 dst_sel:BYTE_1 dst_unused:UNUSED_PAD src0_sel:BYTE_1 src1_sel:BYTE_1
	v_sub_u16_sdwa v205, v205, v207 dst_sel:DWORD dst_unused:UNUSED_PAD src0_sel:WORD_1 src1_sel:WORD_1
	v_sub_u16_sdwa v206, v206, v207 dst_sel:BYTE_1 dst_unused:UNUSED_PAD src0_sel:DWORD src1_sel:BYTE_3
	v_bitop3_b16 v208, v208, v209, s9 bitop3:0xec
	v_bitop3_b16 v205, v205, v206, s9 bitop3:0xec
	v_lshlrev_b32_e32 v205, 16, v205
	v_add_u32_e32 v206, 0x3190, v122
	v_or_b32_sdwa v205, v208, v205 dst_sel:DWORD dst_unused:UNUSED_PAD src0_sel:WORD_0 src1_sel:DWORD
	ds_read2_b32 v[206:207], v206 offset1:1
	ds_read2_b32 v[208:209], v212 offset0:4 offset1:5
	v_add_u32_e32 v122, 0x3198, v122
	v_dot4c_i32_i8_e32 v229, v204, v38
	v_dot4c_i32_i8_e32 v136, v133, v35
	s_waitcnt lgkmcnt(1)
	v_ashrrev_i32_e32 v206, s20, v206
	s_waitcnt lgkmcnt(0)
	v_ashrrev_i32_e32 v208, s18, v208
	v_lshlrev_b32_e32 v208, 2, v208
	v_bfe_u32 v213, v206, 24, 2
	v_and_b32_e32 v206, 0x3030303, v206
	v_and_b32_e32 v208, 0x4040404, v208
	v_sub_u16_e32 v214, v206, v208
	v_sub_u16_sdwa v215, v206, v208 dst_sel:BYTE_1 dst_unused:UNUSED_PAD src0_sel:BYTE_1 src1_sel:BYTE_1
	v_sub_u16_sdwa v206, v206, v208 dst_sel:DWORD dst_unused:UNUSED_PAD src0_sel:WORD_1 src1_sel:WORD_1
	v_sub_u16_sdwa v208, v213, v208 dst_sel:BYTE_1 dst_unused:UNUSED_PAD src0_sel:DWORD src1_sel:BYTE_3
	v_ashrrev_i32_e32 v209, s18, v209
	v_bitop3_b16 v206, v206, v208, s9 bitop3:0xec
	v_ashrrev_i32_e32 v207, s20, v207
	v_lshlrev_b32_e32 v209, 2, v209
	v_bitop3_b16 v214, v214, v215, s9 bitop3:0xec
	v_lshlrev_b32_e32 v206, 16, v206
	v_bfe_u32 v208, v207, 24, 2
	v_and_b32_e32 v207, 0x3030303, v207
	v_and_b32_e32 v209, 0x4040404, v209
	v_or_b32_sdwa v206, v214, v206 dst_sel:DWORD dst_unused:UNUSED_PAD src0_sel:WORD_0 src1_sel:DWORD
	v_sub_u16_e32 v213, v207, v209
	v_sub_u16_sdwa v214, v207, v209 dst_sel:BYTE_1 dst_unused:UNUSED_PAD src0_sel:BYTE_1 src1_sel:BYTE_1
	v_sub_u16_sdwa v207, v207, v209 dst_sel:DWORD dst_unused:UNUSED_PAD src0_sel:WORD_1 src1_sel:WORD_1
	v_sub_u16_sdwa v208, v208, v209 dst_sel:BYTE_1 dst_unused:UNUSED_PAD src0_sel:DWORD src1_sel:BYTE_3
	v_bitop3_b16 v213, v213, v214, s9 bitop3:0xec
	v_bitop3_b16 v207, v207, v208, s9 bitop3:0xec
	v_lshlrev_b32_e32 v207, 16, v207
	v_or_b32_sdwa v207, v213, v207 dst_sel:DWORD dst_unused:UNUSED_PAD src0_sel:WORD_0 src1_sel:DWORD
	ds_read2_b32 v[208:209], v122 offset1:1
	ds_read2_b32 v[212:213], v212 offset0:6 offset1:7
	v_dot4c_i32_i8_e32 v230, v206, v32
	v_dot4c_i32_i8_e32 v230, v207, v33
	;; [unrolled: 1-line block ×3, first 2 shown]
	s_waitcnt lgkmcnt(1)
	v_ashrrev_i32_e32 v122, s20, v208
	s_waitcnt lgkmcnt(0)
	v_ashrrev_i32_e32 v212, s18, v212
	v_lshlrev_b32_e32 v212, 2, v212
	v_bfe_u32 v208, v122, 24, 2
	v_and_b32_e32 v122, 0x3030303, v122
	v_and_b32_e32 v212, 0x4040404, v212
	v_sub_u16_e32 v214, v122, v212
	v_sub_u16_sdwa v215, v122, v212 dst_sel:BYTE_1 dst_unused:UNUSED_PAD src0_sel:BYTE_1 src1_sel:BYTE_1
	v_sub_u16_sdwa v122, v122, v212 dst_sel:DWORD dst_unused:UNUSED_PAD src0_sel:WORD_1 src1_sel:WORD_1
	v_sub_u16_sdwa v208, v208, v212 dst_sel:BYTE_1 dst_unused:UNUSED_PAD src0_sel:DWORD src1_sel:BYTE_3
	v_bitop3_b16 v214, v214, v215, s9 bitop3:0xec
	v_bitop3_b16 v122, v122, v208, s9 bitop3:0xec
	v_lshlrev_b32_e32 v122, 16, v122
	v_ashrrev_i32_e32 v212, s18, v213
	v_or_b32_sdwa v208, v214, v122 dst_sel:DWORD dst_unused:UNUSED_PAD src0_sel:WORD_0 src1_sel:DWORD
	v_ashrrev_i32_e32 v122, s20, v209
	v_lshlrev_b32_e32 v212, 2, v212
	v_bfe_u32 v209, v122, 24, 2
	v_and_b32_e32 v122, 0x3030303, v122
	v_and_b32_e32 v212, 0x4040404, v212
	v_sub_u16_e32 v213, v122, v212
	v_sub_u16_sdwa v214, v122, v212 dst_sel:BYTE_1 dst_unused:UNUSED_PAD src0_sel:BYTE_1 src1_sel:BYTE_1
	v_sub_u16_sdwa v122, v122, v212 dst_sel:DWORD dst_unused:UNUSED_PAD src0_sel:WORD_1 src1_sel:WORD_1
	v_sub_u16_sdwa v209, v209, v212 dst_sel:BYTE_1 dst_unused:UNUSED_PAD src0_sel:DWORD src1_sel:BYTE_3
	v_bitop3_b16 v213, v213, v214, s9 bitop3:0xec
	v_bitop3_b16 v122, v122, v209, s9 bitop3:0xec
	v_lshlrev_b32_e32 v122, 16, v122
	v_or_b32_sdwa v209, v213, v122 dst_sel:DWORD dst_unused:UNUSED_PAD src0_sel:WORD_0 src1_sel:DWORD
	v_add3_u32 v122, s23, v183, v148
	v_dot4c_i32_i8_e32 v230, v208, v34
	v_dot4c_i32_i8_e32 v139, v193, v35
	;; [unrolled: 1-line block ×4, first 2 shown]
	ds_read_b32 v122, v122
	v_dot4c_i32_i8_e32 v229, v205, v39
	v_dot4c_i32_i8_e32 v230, v209, v35
	ds_read_b128 v[32:35], v184 offset:1024
	ds_read_b128 v[36:39], v184 offset:1040
	v_mov_b32_e32 v214, 0
	v_mov_b32_e32 v215, 0
	;; [unrolled: 1-line block ×8, first 2 shown]
	s_waitcnt lgkmcnt(1)
	v_dot4c_i32_i8_e32 v214, v126, v32
	s_waitcnt lgkmcnt(0)
	v_dot4c_i32_i8_e32 v215, v130, v36
	v_dot4c_i32_i8_e32 v231, v186, v32
	;; [unrolled: 1-line block ×31, first 2 shown]
	ds_read2_b32 v[212:213], v185 offset0:64 offset1:96
	ds_read_b128 v[32:35], v184 offset:2048
	ds_read_b128 v[36:39], v184 offset:2064
	v_mov_b32_e32 v219, 0
	v_mov_b32_e32 v218, 0
	;; [unrolled: 1-line block ×8, first 2 shown]
	s_waitcnt lgkmcnt(1)
	v_dot4c_i32_i8_e32 v219, v126, v32
	s_waitcnt lgkmcnt(0)
	v_dot4c_i32_i8_e32 v218, v130, v36
	v_dot4c_i32_i8_e32 v237, v186, v32
	;; [unrolled: 1-line block ×15, first 2 shown]
	v_add_u32_e32 v134, s21, v121
	v_dot4c_i32_i8_e32 v219, v128, v34
	v_dot4c_i32_i8_e32 v218, v132, v38
	;; [unrolled: 1-line block ×16, first 2 shown]
	ds_read_b128 v[32:35], v184 offset:3072
	ds_read_b128 v[36:39], v184 offset:3088
	ds_read_u16 v134, v134 offset:33522
	v_add_u32_e32 v137, s21, v123
	v_add_u32_e32 v210, s21, v140
	;; [unrolled: 1-line block ×3, first 2 shown]
	v_mov_b32_e32 v220, 0
	s_waitcnt lgkmcnt(0)
	v_lshrrev_b16_e32 v222, 8, v134
	v_bfe_i32 v134, v134, 0, 8
	v_bfe_i32 v228, v222, 0, 8
	v_mul_lo_u32 v136, v136, v228
	v_mul_lo_u32 v214, v214, v134
	v_mad_u64_u32 v[214:215], s[20:21], v215, v228, v[214:215]
	v_mad_u64_u32 v[222:223], s[20:21], v135, v134, v[136:137]
	v_cvt_f32_i32_e32 v215, v222
	v_cvt_f32_i32_e32 v214, v214
	v_dot4c_i32_i8_e32 v220, v126, v32
	v_mov_b32_e32 v221, 0
	v_dot4c_i32_i8_e32 v220, v127, v33
	v_dot4c_i32_i8_e32 v221, v130, v36
	v_mov_b32_e32 v224, v125
	v_mov_b32_e32 v225, v124
	v_dot4c_i32_i8_e32 v220, v128, v34
	v_dot4c_i32_i8_e32 v221, v131, v37
	v_pk_mul_f32 v[124:125], v[116:117], v[224:225] op_sel_hi:[0,1]
	v_dot4c_i32_i8_e32 v220, v129, v35
	v_dot4c_i32_i8_e32 v221, v132, v38
	v_pk_fma_f32 v[16:17], v[124:125], v[214:215], v[16:17]
	ds_read_u16 v124, v137 offset:34546
	v_dot4c_i32_i8_e32 v221, v133, v39
	v_mul_lo_u32 v218, v218, v228
	v_mul_lo_u32 v220, v220, v134
	v_mad_u64_u32 v[218:219], s[20:21], v219, v134, v[218:219]
	v_mad_u64_u32 v[220:221], s[20:21], v221, v228, v[220:221]
	v_mov_b32_e32 v125, 0
	v_cvt_f32_i32_e32 v219, v218
	v_cvt_f32_i32_e32 v218, v220
	v_dot4c_i32_i8_e32 v125, v186, v32
	v_dot4c_i32_i8_e32 v125, v187, v33
	v_mov_b32_e32 v226, v213
	v_mov_b32_e32 v227, v212
	v_dot4c_i32_i8_e32 v125, v188, v34
	s_waitcnt lgkmcnt(0)
	v_lshrrev_b16_e32 v136, 8, v124
	v_pk_mul_f32 v[212:213], v[116:117], v[226:227] op_sel_hi:[0,1]
	v_dot4c_i32_i8_e32 v125, v189, v35
	v_bfe_i32 v214, v124, 0, 8
	v_bfe_i32 v215, v136, 0, 8
	v_pk_fma_f32 v[18:19], v[212:213], v[218:219], v[18:19]
	v_mul_lo_u32 v124, v139, v215
	v_mul_lo_u32 v136, v231, v214
	;; [unrolled: 1-line block ×3, first 2 shown]
                                        ; kill: def $vgpr125 killed $sgpr0 killed $exec
	v_mov_b32_e32 v135, 0
	v_mad_u64_u32 v[136:137], s[20:21], v232, v215, v[136:137]
	v_mad_u64_u32 v[124:125], s[20:21], v138, v214, v[124:125]
	v_dot4c_i32_i8_e32 v135, v190, v36
	v_cvt_f32_i32_e32 v125, v124
	v_cvt_f32_i32_e32 v124, v136
	v_dot4c_i32_i8_e32 v135, v191, v37
	v_dot4c_i32_i8_e32 v135, v192, v38
	;; [unrolled: 1-line block ×3, first 2 shown]
	v_mul_lo_u32 v212, v238, v215
	v_pk_mul_f32 v[138:139], v[118:119], v[224:225] op_sel_hi:[0,1]
	v_mad_u64_u32 v[212:213], s[20:21], v237, v214, v[212:213]
	v_mad_u64_u32 v[218:219], s[20:21], v135, v215, v[218:219]
	v_pk_fma_f32 v[28:29], v[138:139], v[124:125], v[28:29]
	ds_read_u16 v124, v210 offset:35570
	v_cvt_f32_i32_e32 v137, v212
	v_cvt_f32_i32_e32 v136, v218
	v_mov_b32_e32 v125, 0
	v_dot4c_i32_i8_e32 v125, v194, v32
	v_pk_mul_f32 v[220:221], v[118:119], v[226:227] op_sel_hi:[0,1]
	v_dot4c_i32_i8_e32 v125, v195, v33
	v_pk_fma_f32 v[30:31], v[220:221], v[136:137], v[30:31]
	v_dot4c_i32_i8_e32 v125, v196, v34
	s_waitcnt lgkmcnt(0)
	v_lshrrev_b16_e32 v136, 8, v124
	v_dot4c_i32_i8_e32 v125, v197, v35
	v_bfe_i32 v212, v124, 0, 8
	v_bfe_i32 v213, v136, 0, 8
	v_mov_b32_e32 v135, 0
	v_mul_lo_u32 v124, v216, v213
	v_mul_lo_u32 v136, v233, v212
	;; [unrolled: 1-line block ×3, first 2 shown]
                                        ; kill: def $vgpr125 killed $sgpr0 killed $exec
	v_dot4c_i32_i8_e32 v135, v198, v36
	v_mad_u64_u32 v[136:137], s[20:21], v234, v213, v[136:137]
	v_mad_u64_u32 v[124:125], s[20:21], v211, v212, v[124:125]
	v_dot4c_i32_i8_e32 v135, v199, v37
	v_cvt_f32_i32_e32 v125, v124
	v_cvt_f32_i32_e32 v124, v136
	v_dot4c_i32_i8_e32 v135, v200, v38
	v_dot4c_i32_i8_e32 v135, v201, v39
	v_mul_lo_u32 v138, v240, v213
	v_mad_u64_u32 v[138:139], s[20:21], v239, v212, v[138:139]
	s_nop 0
	v_mad_u64_u32 v[218:219], s[20:21], v135, v213, v[210:211]
	v_pk_mul_f32 v[210:211], v[120:121], v[224:225] op_sel_hi:[0,1]
	v_pk_fma_f32 v[24:25], v[210:211], v[124:125], v[24:25]
	v_mov_b32_e32 v124, 0
	v_dot4c_i32_i8_e32 v124, v202, v32
	ds_read_u16 v32, v217 offset:36594
	v_dot4c_i32_i8_e32 v124, v203, v33
	v_mov_b32_e32 v33, 0
	v_dot4c_i32_i8_e32 v33, v206, v36
	v_dot4c_i32_i8_e32 v124, v204, v34
	;; [unrolled: 1-line block ×5, first 2 shown]
	s_waitcnt lgkmcnt(0)
	v_lshrrev_b16_e32 v34, 8, v32
	v_bfe_i32 v210, v32, 0, 8
	v_dot4c_i32_i8_e32 v33, v209, v39
	v_bfe_i32 v211, v34, 0, 8
	v_mul_lo_u32 v38, v124, v210
	v_mul_lo_u32 v32, v230, v211
	;; [unrolled: 1-line block ×4, first 2 shown]
                                        ; kill: def $vgpr35 killed $sgpr0 killed $exec
	v_mad_u64_u32 v[38:39], s[20:21], v33, v211, v[38:39]
                                        ; kill: def $vgpr33 killed $sgpr0 killed $exec
	v_cvt_f32_i32_e32 v137, v138
	v_cvt_f32_i32_e32 v136, v218
	v_mad_u64_u32 v[36:37], s[20:21], v241, v210, v[36:37]
	v_mad_u64_u32 v[34:35], s[20:21], v236, v211, v[34:35]
	;; [unrolled: 1-line block ×3, first 2 shown]
	v_cvt_f32_i32_e32 v33, v32
	v_cvt_f32_i32_e32 v32, v34
	;; [unrolled: 1-line block ×4, first 2 shown]
	v_pk_mul_f32 v[220:221], v[120:121], v[226:227] op_sel_hi:[0,1]
	v_pk_fma_f32 v[26:27], v[220:221], v[136:137], v[26:27]
	v_pk_mul_f32 v[124:125], v[122:123], v[224:225] op_sel_hi:[0,1]
	v_pk_mul_f32 v[136:137], v[122:123], v[226:227] op_sel_hi:[0,1]
	v_pk_fma_f32 v[22:23], v[136:137], v[34:35], v[22:23]
	v_pk_fma_f32 v[20:21], v[124:125], v[32:33], v[20:21]
	ds_read2_b32 v[124:125], v185 offset0:128 offset1:160
	ds_read_b128 v[32:35], v184 offset:4096
	ds_read_b128 v[36:39], v184 offset:4112
	v_mov_b32_e32 v135, 0
	v_mov_b32_e32 v138, 0
	;; [unrolled: 1-line block ×8, first 2 shown]
	s_waitcnt lgkmcnt(1)
	v_dot4c_i32_i8_e32 v135, v126, v32
	s_waitcnt lgkmcnt(0)
	v_dot4c_i32_i8_e32 v138, v130, v36
	v_dot4c_i32_i8_e32 v224, v186, v32
	v_dot4c_i32_i8_e32 v225, v190, v36
	v_dot4c_i32_i8_e32 v220, v194, v32
	v_dot4c_i32_i8_e32 v221, v198, v36
	v_dot4c_i32_i8_e32 v216, v202, v32
	v_dot4c_i32_i8_e32 v217, v206, v36
	v_dot4c_i32_i8_e32 v135, v127, v33
	v_dot4c_i32_i8_e32 v138, v131, v37
	v_dot4c_i32_i8_e32 v224, v187, v33
	v_dot4c_i32_i8_e32 v225, v191, v37
	v_dot4c_i32_i8_e32 v220, v195, v33
	v_dot4c_i32_i8_e32 v221, v199, v37
	v_dot4c_i32_i8_e32 v216, v203, v33
	v_dot4c_i32_i8_e32 v217, v207, v37
	v_dot4c_i32_i8_e32 v135, v128, v34
	v_dot4c_i32_i8_e32 v138, v132, v38
	v_dot4c_i32_i8_e32 v224, v188, v34
	v_dot4c_i32_i8_e32 v225, v192, v38
	v_dot4c_i32_i8_e32 v220, v196, v34
	v_dot4c_i32_i8_e32 v221, v200, v38
	v_dot4c_i32_i8_e32 v216, v204, v34
	v_dot4c_i32_i8_e32 v217, v208, v38
	v_dot4c_i32_i8_e32 v135, v129, v35
	v_dot4c_i32_i8_e32 v138, v133, v39
	v_dot4c_i32_i8_e32 v224, v189, v35
	v_dot4c_i32_i8_e32 v225, v193, v39
	v_dot4c_i32_i8_e32 v220, v197, v35
	v_dot4c_i32_i8_e32 v221, v201, v39
	v_dot4c_i32_i8_e32 v216, v205, v35
	v_dot4c_i32_i8_e32 v217, v209, v39
	ds_read_b128 v[32:35], v184 offset:5120
	ds_read_b128 v[36:39], v184 offset:5136
	v_mov_b32_e32 v139, 0
	v_mov_b32_e32 v235, 0
	;; [unrolled: 1-line block ×8, first 2 shown]
	s_waitcnt lgkmcnt(1)
	v_dot4c_i32_i8_e32 v139, v126, v32
	s_waitcnt lgkmcnt(0)
	v_dot4c_i32_i8_e32 v235, v130, v36
	v_dot4c_i32_i8_e32 v227, v186, v32
	;; [unrolled: 1-line block ×31, first 2 shown]
	ds_read2_b32 v[136:137], v185 offset0:192 offset1:224
	ds_read_b128 v[32:35], v184 offset:6144
	ds_read_b128 v[36:39], v184 offset:6160
	v_mov_b32_e32 v236, 0
	v_mov_b32_e32 v237, 0
	;; [unrolled: 1-line block ×8, first 2 shown]
	s_waitcnt lgkmcnt(1)
	v_dot4c_i32_i8_e32 v236, v126, v32
	s_waitcnt lgkmcnt(0)
	v_dot4c_i32_i8_e32 v237, v130, v36
	v_dot4c_i32_i8_e32 v233, v186, v32
	v_dot4c_i32_i8_e32 v234, v190, v36
	v_dot4c_i32_i8_e32 v231, v194, v32
	v_dot4c_i32_i8_e32 v232, v198, v36
	v_dot4c_i32_i8_e32 v229, v202, v32
	v_dot4c_i32_i8_e32 v230, v206, v36
	v_dot4c_i32_i8_e32 v236, v127, v33
	v_dot4c_i32_i8_e32 v237, v131, v37
	v_dot4c_i32_i8_e32 v233, v187, v33
	v_dot4c_i32_i8_e32 v234, v191, v37
	v_dot4c_i32_i8_e32 v231, v195, v33
	v_dot4c_i32_i8_e32 v232, v199, v37
	v_dot4c_i32_i8_e32 v229, v203, v33
	v_dot4c_i32_i8_e32 v230, v207, v37
	v_dot4c_i32_i8_e32 v236, v128, v34
	v_dot4c_i32_i8_e32 v237, v132, v38
	v_dot4c_i32_i8_e32 v233, v188, v34
	v_dot4c_i32_i8_e32 v234, v192, v38
	v_dot4c_i32_i8_e32 v231, v196, v34
	v_dot4c_i32_i8_e32 v232, v200, v38
	v_dot4c_i32_i8_e32 v229, v204, v34
	v_dot4c_i32_i8_e32 v230, v208, v38
	v_dot4c_i32_i8_e32 v236, v129, v35
	v_dot4c_i32_i8_e32 v237, v133, v39
	v_dot4c_i32_i8_e32 v233, v189, v35
	v_dot4c_i32_i8_e32 v234, v193, v39
	v_dot4c_i32_i8_e32 v231, v197, v35
	v_dot4c_i32_i8_e32 v232, v201, v39
	v_dot4c_i32_i8_e32 v229, v205, v35
	v_dot4c_i32_i8_e32 v230, v209, v39
	ds_read_b128 v[36:39], v184 offset:7168
	ds_read_b128 v[32:35], v184 offset:7184
	v_mov_b32_e32 v238, 0
	s_add_i32 s17, s17, 2
	s_add_i32 s18, s18, 1
	s_waitcnt lgkmcnt(1)
	v_dot4c_i32_i8_e32 v238, v126, v36
	v_dot4c_i32_i8_e32 v238, v127, v37
	v_mov_b32_e32 v127, 0
	s_waitcnt lgkmcnt(0)
	v_dot4c_i32_i8_e32 v127, v130, v32
	v_dot4c_i32_i8_e32 v238, v128, v38
	;; [unrolled: 1-line block ×6, first 2 shown]
	v_mul_lo_u32 v128, v237, v228
	v_mul_lo_u32 v126, v238, v134
                                        ; kill: def $vgpr129 killed $sgpr0 killed $exec
	v_mul_lo_u32 v132, v138, v228
	v_mad_u64_u32 v[126:127], s[20:21], v127, v228, v[126:127]
	v_mad_u64_u32 v[128:129], s[20:21], v236, v134, v[128:129]
	v_cvt_f32_i32_e32 v127, v128
	v_cvt_f32_i32_e32 v126, v126
	v_mul_lo_u32 v130, v139, v134
	v_mad_u64_u32 v[132:133], s[20:21], v135, v134, v[132:133]
	v_mov_b32_e32 v134, v125
	v_mov_b32_e32 v135, v124
	;; [unrolled: 1-line block ×4, first 2 shown]
	v_pk_mul_f32 v[136:137], v[116:117], v[124:125] op_sel_hi:[0,1]
	v_mad_u64_u32 v[130:131], s[20:21], v235, v228, v[130:131]
	v_pk_fma_f32 v[14:15], v[136:137], v[126:127], v[14:15]
	v_mov_b32_e32 v127, 0
	v_cvt_f32_i32_e32 v131, v132
	v_cvt_f32_i32_e32 v130, v130
	v_dot4c_i32_i8_e32 v127, v186, v36
	v_dot4c_i32_i8_e32 v127, v187, v37
	v_mov_b32_e32 v129, 0
	v_dot4c_i32_i8_e32 v127, v188, v38
	v_dot4c_i32_i8_e32 v129, v190, v32
	v_pk_mul_f32 v[138:139], v[116:117], v[134:135] op_sel_hi:[0,1]
	v_dot4c_i32_i8_e32 v127, v189, v39
	v_dot4c_i32_i8_e32 v129, v191, v33
	v_pk_fma_f32 v[12:13], v[138:139], v[130:131], v[12:13]
	v_dot4c_i32_i8_e32 v129, v192, v34
	v_mul_lo_u32 v116, v225, v215
	v_mul_lo_u32 v126, v227, v214
	;; [unrolled: 1-line block ×3, first 2 shown]
                                        ; kill: def $vgpr127 killed $sgpr0 killed $exec
	v_dot4c_i32_i8_e32 v129, v193, v35
	v_mul_lo_u32 v128, v234, v215
	v_mad_u64_u32 v[126:127], s[20:21], v226, v215, v[126:127]
	v_mad_u64_u32 v[132:133], s[20:21], v224, v214, v[116:117]
	v_mad_u64_u32 v[130:131], s[20:21], v129, v215, v[130:131]
	v_mad_u64_u32 v[128:129], s[20:21], v233, v214, v[128:129]
	v_cvt_f32_i32_e32 v127, v132
	v_cvt_f32_i32_e32 v126, v126
	v_cvt_f32_i32_e32 v129, v128
	v_cvt_f32_i32_e32 v128, v130
	v_pk_mul_f32 v[136:137], v[118:119], v[134:135] op_sel_hi:[0,1]
	v_mul_lo_u32 v116, v221, v213
	v_pk_mul_f32 v[138:139], v[118:119], v[124:125] op_sel_hi:[0,1]
	v_pk_fma_f32 v[8:9], v[136:137], v[126:127], v[8:9]
	v_mov_b32_e32 v127, 0
	v_mad_u64_u32 v[132:133], s[20:21], v220, v212, v[116:117]
	v_mov_b32_e32 v116, 0
	v_pk_fma_f32 v[10:11], v[138:139], v[128:129], v[10:11]
	v_dot4c_i32_i8_e32 v127, v194, v36
	v_mov_b32_e32 v129, 0
	v_dot4c_i32_i8_e32 v116, v202, v36
	v_dot4c_i32_i8_e32 v127, v195, v37
	;; [unrolled: 1-line block ×4, first 2 shown]
	v_mov_b32_e32 v37, 0
	v_dot4c_i32_i8_e32 v127, v196, v38
	v_dot4c_i32_i8_e32 v129, v199, v33
	;; [unrolled: 1-line block ×8, first 2 shown]
	v_mul_lo_u32 v126, v232, v213
	v_mul_lo_u32 v128, v127, v212
                                        ; kill: def $vgpr127 killed $sgpr0 killed $exec
	v_dot4c_i32_i8_e32 v116, v205, v39
	v_dot4c_i32_i8_e32 v37, v208, v34
	v_mul_lo_u32 v118, v223, v212
	v_mad_u64_u32 v[128:129], s[20:21], v129, v213, v[128:129]
	v_mad_u64_u32 v[126:127], s[20:21], v231, v212, v[126:127]
	v_dot4c_i32_i8_e32 v37, v209, v35
	v_mul_lo_u32 v32, v217, v211
	v_mul_lo_u32 v34, v219, v210
	;; [unrolled: 1-line block ×4, first 2 shown]
                                        ; kill: def $vgpr33 killed $sgpr0 killed $exec
	v_mad_u64_u32 v[130:131], s[20:21], v222, v213, v[118:119]
	v_cvt_f32_i32_e32 v127, v126
	v_cvt_f32_i32_e32 v126, v128
	v_mad_u64_u32 v[38:39], s[20:21], v37, v211, v[38:39]
	v_mad_u64_u32 v[36:37], s[20:21], v229, v210, v[36:37]
	;; [unrolled: 1-line block ×4, first 2 shown]
	v_cvt_f32_i32_e32 v131, v132
	v_cvt_f32_i32_e32 v130, v130
	;; [unrolled: 1-line block ×6, first 2 shown]
	v_pk_mul_f32 v[138:139], v[120:121], v[124:125] op_sel_hi:[0,1]
	v_pk_mul_f32 v[136:137], v[120:121], v[134:135] op_sel_hi:[0,1]
	v_pk_fma_f32 v[6:7], v[138:139], v[126:127], v[6:7]
	v_pk_mul_f32 v[126:127], v[122:123], v[134:135] op_sel_hi:[0,1]
	v_pk_mul_f32 v[124:125], v[122:123], v[124:125] op_sel_hi:[0,1]
	v_pk_fma_f32 v[4:5], v[136:137], v[130:131], v[4:5]
	v_pk_fma_f32 v[2:3], v[124:125], v[34:35], v[2:3]
	;; [unrolled: 1-line block ×3, first 2 shown]
	v_add_u32_e32 v185, 4, v185
	v_add_u32_e32 v184, 32, v184
	s_cmp_lt_u32 s19, 30
	s_mov_b32 s21, s19
	s_cbranch_scc1 .LBB169_14
; %bb.15:                               ;   in Loop: Header=BB169_6 Depth=1
	s_barrier
	s_branch .LBB169_5
.LBB169_16:
	v_mov_b32_e32 v0, 0
	v_mov_b32_e32 v2, v0
	;; [unrolled: 1-line block ×4, first 2 shown]
	v_mov_b64_e32 v[22:23], v[2:3]
	v_mov_b64_e32 v[6:7], v[2:3]
	;; [unrolled: 1-line block ×14, first 2 shown]
	v_cmp_gt_u32_e32 vcc, s8, v89
	s_and_saveexec_b64 s[0:1], vcc
	s_cbranch_execnz .LBB169_19
.LBB169_17:
	s_endpgm
.LBB169_18:
	v_mov_b32_e32 v32, v45
	v_cmp_gt_u32_e32 vcc, s8, v89
	s_and_saveexec_b64 s[0:1], vcc
	s_cbranch_execz .LBB169_17
.LBB169_19:
	v_add_u32_e32 v33, s6, v41
	v_mul_lo_u32 v34, v89, s10
	v_cmp_gt_u32_e64 s[0:1], s10, v33
	s_and_saveexec_b64 s[2:3], s[0:1]
	s_cbranch_execz .LBB169_21
; %bb.20:
	v_bfe_u32 v35, v17, 16, 1
	s_movk_i32 s4, 0x7fff
	v_add3_u32 v35, v17, v35, s4
	v_cmp_o_f32_e32 vcc, v17, v17
	v_mov_b32_e32 v17, 0x7fc0
	v_add_u32_e32 v36, v33, v34
	v_mov_b32_e32 v37, 0
	v_cndmask_b32_sdwa v17, v17, v35, vcc dst_sel:DWORD dst_unused:UNUSED_PAD src0_sel:DWORD src1_sel:WORD_1
	s_waitcnt lgkmcnt(0)
	v_lshl_add_u64 v[36:37], v[36:37], 1, s[12:13]
	global_store_short v[36:37], v17, off
.LBB169_21:
	s_or_b64 exec, exec, s[2:3]
	v_add_u32_e32 v17, 32, v33
	v_cmp_gt_u32_e64 s[2:3], s10, v17
	s_and_saveexec_b64 s[4:5], s[2:3]
	s_cbranch_execz .LBB169_23
; %bb.22:
	v_bfe_u32 v35, v29, 16, 1
	s_movk_i32 s6, 0x7fff
	v_add3_u32 v35, v29, v35, s6
	v_cmp_o_f32_e32 vcc, v29, v29
	v_mov_b32_e32 v29, 0x7fc0
	v_add_u32_e32 v36, v17, v34
	v_mov_b32_e32 v37, 0
	v_cndmask_b32_sdwa v29, v29, v35, vcc dst_sel:DWORD dst_unused:UNUSED_PAD src0_sel:DWORD src1_sel:WORD_1
	s_waitcnt lgkmcnt(0)
	v_lshl_add_u64 v[36:37], v[36:37], 1, s[12:13]
	global_store_short v[36:37], v29, off
.LBB169_23:
	s_or_b64 exec, exec, s[4:5]
	v_add_u32_e32 v29, 64, v33
	;; [unrolled: 18-line block ×3, first 2 shown]
	v_cmp_gt_u32_e64 s[6:7], s10, v25
	s_and_saveexec_b64 s[14:15], s[6:7]
	s_cbranch_execz .LBB169_27
; %bb.26:
	v_bfe_u32 v35, v21, 16, 1
	s_movk_i32 s9, 0x7fff
	v_add3_u32 v35, v21, v35, s9
	v_cmp_o_f32_e32 vcc, v21, v21
	v_mov_b32_e32 v21, 0x7fc0
	v_add_u32_e32 v34, v25, v34
	v_cndmask_b32_sdwa v21, v21, v35, vcc dst_sel:DWORD dst_unused:UNUSED_PAD src0_sel:DWORD src1_sel:WORD_1
	v_mov_b32_e32 v35, 0
	s_waitcnt lgkmcnt(0)
	v_lshl_add_u64 v[34:35], v[34:35], 1, s[12:13]
	global_store_short v[34:35], v21, off
.LBB169_27:
	s_or_b64 exec, exec, s[14:15]
	v_add3_u32 v21, v32, s11, 8
	v_cmp_gt_u32_e32 vcc, s8, v21
	s_and_b64 exec, exec, vcc
	s_cbranch_execz .LBB169_17
; %bb.28:
	v_mul_lo_u32 v21, v21, s10
	s_and_saveexec_b64 s[14:15], s[0:1]
	s_cbranch_execnz .LBB169_68
; %bb.29:
	s_or_b64 exec, exec, s[14:15]
	s_and_saveexec_b64 s[14:15], s[2:3]
	s_cbranch_execnz .LBB169_69
.LBB169_30:
	s_or_b64 exec, exec, s[14:15]
	s_and_saveexec_b64 s[14:15], s[4:5]
	s_cbranch_execnz .LBB169_70
.LBB169_31:
	s_or_b64 exec, exec, s[14:15]
	s_and_saveexec_b64 s[14:15], s[6:7]
	s_cbranch_execz .LBB169_33
.LBB169_32:
	v_bfe_u32 v16, v20, 16, 1
	s_movk_i32 s9, 0x7fff
	v_add3_u32 v16, v20, v16, s9
	v_cmp_o_f32_e32 vcc, v20, v20
	v_mov_b32_e32 v20, 0x7fc0
	s_nop 0
	v_cndmask_b32_sdwa v16, v20, v16, vcc dst_sel:DWORD dst_unused:UNUSED_PAD src0_sel:DWORD src1_sel:WORD_1
	v_add_u32_e32 v20, v21, v25
	v_mov_b32_e32 v21, 0
	s_waitcnt lgkmcnt(0)
	v_lshl_add_u64 v[20:21], v[20:21], 1, s[12:13]
	global_store_short v[20:21], v16, off
.LBB169_33:
	s_or_b64 exec, exec, s[14:15]
	v_add3_u32 v16, v32, s11, 16
	v_cmp_gt_u32_e32 vcc, s8, v16
	s_and_b64 exec, exec, vcc
	s_cbranch_execz .LBB169_17
; %bb.34:
	v_mul_lo_u32 v16, v16, s10
	s_and_saveexec_b64 s[14:15], s[0:1]
	s_cbranch_execnz .LBB169_71
; %bb.35:
	s_or_b64 exec, exec, s[14:15]
	s_and_saveexec_b64 s[14:15], s[2:3]
	s_cbranch_execnz .LBB169_72
.LBB169_36:
	s_or_b64 exec, exec, s[14:15]
	s_and_saveexec_b64 s[14:15], s[4:5]
	s_cbranch_execnz .LBB169_73
.LBB169_37:
	s_or_b64 exec, exec, s[14:15]
	s_and_saveexec_b64 s[14:15], s[6:7]
	s_cbranch_execz .LBB169_39
.LBB169_38:
	v_bfe_u32 v19, v23, 16, 1
	s_movk_i32 s9, 0x7fff
	v_add3_u32 v19, v23, v19, s9
	v_cmp_o_f32_e32 vcc, v23, v23
	v_mov_b32_e32 v20, 0x7fc0
	v_mov_b32_e32 v21, 0
	v_cndmask_b32_sdwa v19, v20, v19, vcc dst_sel:DWORD dst_unused:UNUSED_PAD src0_sel:DWORD src1_sel:WORD_1
	v_add_u32_e32 v20, v16, v25
	s_waitcnt lgkmcnt(0)
	v_lshl_add_u64 v[20:21], v[20:21], 1, s[12:13]
	global_store_short v[20:21], v19, off
.LBB169_39:
	s_or_b64 exec, exec, s[14:15]
	v_add3_u32 v16, v32, s11, 24
	v_cmp_gt_u32_e32 vcc, s8, v16
	s_and_b64 exec, exec, vcc
	s_cbranch_execz .LBB169_17
; %bb.40:
	v_mul_lo_u32 v16, v16, s10
	s_and_saveexec_b64 s[14:15], s[0:1]
	s_cbranch_execnz .LBB169_74
; %bb.41:
	s_or_b64 exec, exec, s[14:15]
	s_and_saveexec_b64 s[14:15], s[2:3]
	s_cbranch_execnz .LBB169_75
.LBB169_42:
	s_or_b64 exec, exec, s[14:15]
	s_and_saveexec_b64 s[14:15], s[4:5]
	s_cbranch_execnz .LBB169_76
.LBB169_43:
	s_or_b64 exec, exec, s[14:15]
	s_and_saveexec_b64 s[14:15], s[6:7]
	s_cbranch_execz .LBB169_45
.LBB169_44:
	v_bfe_u32 v18, v22, 16, 1
	s_movk_i32 s9, 0x7fff
	v_add3_u32 v18, v22, v18, s9
	v_cmp_o_f32_e32 vcc, v22, v22
	v_mov_b32_e32 v19, 0x7fc0
	s_nop 0
	v_cndmask_b32_sdwa v20, v19, v18, vcc dst_sel:DWORD dst_unused:UNUSED_PAD src0_sel:DWORD src1_sel:WORD_1
	v_add_u32_e32 v18, v16, v25
	v_mov_b32_e32 v19, 0
	s_waitcnt lgkmcnt(0)
	v_lshl_add_u64 v[18:19], v[18:19], 1, s[12:13]
	global_store_short v[18:19], v20, off
.LBB169_45:
	s_or_b64 exec, exec, s[14:15]
	v_add3_u32 v16, v32, s11, 32
	v_cmp_gt_u32_e32 vcc, s8, v16
	s_and_b64 exec, exec, vcc
	s_cbranch_execz .LBB169_17
; %bb.46:
	v_mul_lo_u32 v16, v16, s10
	s_and_saveexec_b64 s[14:15], s[0:1]
	s_cbranch_execnz .LBB169_77
; %bb.47:
	s_or_b64 exec, exec, s[14:15]
	s_and_saveexec_b64 s[14:15], s[2:3]
	s_cbranch_execnz .LBB169_78
.LBB169_48:
	s_or_b64 exec, exec, s[14:15]
	s_and_saveexec_b64 s[14:15], s[4:5]
	s_cbranch_execnz .LBB169_79
.LBB169_49:
	s_or_b64 exec, exec, s[14:15]
	s_and_saveexec_b64 s[14:15], s[6:7]
	s_cbranch_execz .LBB169_51
.LBB169_50:
	v_bfe_u32 v5, v1, 16, 1
	s_movk_i32 s9, 0x7fff
	v_add3_u32 v5, v1, v5, s9
	v_cmp_o_f32_e32 vcc, v1, v1
	v_mov_b32_e32 v1, 0x7fc0
	v_add_u32_e32 v18, v16, v25
	v_mov_b32_e32 v19, 0
	v_cndmask_b32_sdwa v1, v1, v5, vcc dst_sel:DWORD dst_unused:UNUSED_PAD src0_sel:DWORD src1_sel:WORD_1
	s_waitcnt lgkmcnt(0)
	v_lshl_add_u64 v[18:19], v[18:19], 1, s[12:13]
	global_store_short v[18:19], v1, off
.LBB169_51:
	s_or_b64 exec, exec, s[14:15]
	v_add3_u32 v1, v32, s11, 40
	v_cmp_gt_u32_e32 vcc, s8, v1
	s_and_b64 exec, exec, vcc
	s_cbranch_execz .LBB169_17
; %bb.52:
	v_mul_lo_u32 v1, v1, s10
	s_and_saveexec_b64 s[14:15], s[0:1]
	s_cbranch_execnz .LBB169_80
; %bb.53:
	s_or_b64 exec, exec, s[14:15]
	s_and_saveexec_b64 s[14:15], s[2:3]
	s_cbranch_execnz .LBB169_81
.LBB169_54:
	s_or_b64 exec, exec, s[14:15]
	s_and_saveexec_b64 s[14:15], s[4:5]
	s_cbranch_execnz .LBB169_82
.LBB169_55:
	s_or_b64 exec, exec, s[14:15]
	s_and_saveexec_b64 s[14:15], s[6:7]
	s_cbranch_execz .LBB169_57
.LBB169_56:
	v_bfe_u32 v4, v0, 16, 1
	s_movk_i32 s9, 0x7fff
	v_add3_u32 v4, v0, v4, s9
	v_cmp_o_f32_e32 vcc, v0, v0
	v_mov_b32_e32 v0, 0x7fc0
	s_nop 0
	v_cndmask_b32_sdwa v4, v0, v4, vcc dst_sel:DWORD dst_unused:UNUSED_PAD src0_sel:DWORD src1_sel:WORD_1
	v_add_u32_e32 v0, v1, v25
	v_mov_b32_e32 v1, 0
	s_waitcnt lgkmcnt(0)
	v_lshl_add_u64 v[0:1], v[0:1], 1, s[12:13]
	global_store_short v[0:1], v4, off
.LBB169_57:
	s_or_b64 exec, exec, s[14:15]
	v_add3_u32 v0, v32, s11, 48
	v_cmp_gt_u32_e32 vcc, s8, v0
	s_and_b64 exec, exec, vcc
	s_cbranch_execz .LBB169_17
; %bb.58:
	v_mul_lo_u32 v0, v0, s10
	s_and_saveexec_b64 s[14:15], s[0:1]
	s_cbranch_execnz .LBB169_83
; %bb.59:
	s_or_b64 exec, exec, s[14:15]
	s_and_saveexec_b64 s[14:15], s[2:3]
	s_cbranch_execnz .LBB169_84
.LBB169_60:
	s_or_b64 exec, exec, s[14:15]
	s_and_saveexec_b64 s[14:15], s[4:5]
	s_cbranch_execnz .LBB169_85
.LBB169_61:
	s_or_b64 exec, exec, s[14:15]
	s_and_saveexec_b64 s[14:15], s[6:7]
	s_cbranch_execz .LBB169_63
.LBB169_62:
	v_bfe_u32 v1, v3, 16, 1
	s_movk_i32 s9, 0x7fff
	v_add3_u32 v1, v3, v1, s9
	v_cmp_o_f32_e32 vcc, v3, v3
	v_mov_b32_e32 v3, 0x7fc0
	v_add_u32_e32 v0, v0, v25
	v_cndmask_b32_sdwa v3, v3, v1, vcc dst_sel:DWORD dst_unused:UNUSED_PAD src0_sel:DWORD src1_sel:WORD_1
	v_mov_b32_e32 v1, 0
	s_waitcnt lgkmcnt(0)
	v_lshl_add_u64 v[0:1], v[0:1], 1, s[12:13]
	global_store_short v[0:1], v3, off
.LBB169_63:
	s_or_b64 exec, exec, s[14:15]
	v_add3_u32 v0, v32, s11, 56
	v_cmp_gt_u32_e32 vcc, s8, v0
	s_and_b64 exec, exec, vcc
	s_cbranch_execz .LBB169_17
; %bb.64:
	v_mul_lo_u32 v0, v0, s10
	s_and_saveexec_b64 s[8:9], s[0:1]
	s_cbranch_execnz .LBB169_86
; %bb.65:
	s_or_b64 exec, exec, s[8:9]
	s_and_saveexec_b64 s[0:1], s[2:3]
	s_cbranch_execnz .LBB169_87
.LBB169_66:
	s_or_b64 exec, exec, s[0:1]
	s_and_saveexec_b64 s[0:1], s[4:5]
	s_cbranch_execnz .LBB169_88
.LBB169_67:
	s_or_b64 exec, exec, s[0:1]
	s_and_b64 exec, exec, s[6:7]
	s_cbranch_execz .LBB169_17
	s_branch .LBB169_89
.LBB169_68:
	v_bfe_u32 v34, v16, 16, 1
	s_movk_i32 s9, 0x7fff
	v_add3_u32 v34, v16, v34, s9
	v_cmp_o_f32_e32 vcc, v16, v16
	v_mov_b32_e32 v16, 0x7fc0
	v_mov_b32_e32 v35, 0
	v_cndmask_b32_sdwa v16, v16, v34, vcc dst_sel:DWORD dst_unused:UNUSED_PAD src0_sel:DWORD src1_sel:WORD_1
	v_add_u32_e32 v34, v21, v33
	s_waitcnt lgkmcnt(0)
	v_lshl_add_u64 v[34:35], v[34:35], 1, s[12:13]
	global_store_short v[34:35], v16, off
	s_or_b64 exec, exec, s[14:15]
	s_and_saveexec_b64 s[14:15], s[2:3]
	s_cbranch_execz .LBB169_30
.LBB169_69:
	v_bfe_u32 v16, v28, 16, 1
	s_movk_i32 s9, 0x7fff
	v_add3_u32 v16, v28, v16, s9
	v_cmp_o_f32_e32 vcc, v28, v28
	v_mov_b32_e32 v28, 0x7fc0
	v_add_u32_e32 v34, v21, v17
	v_mov_b32_e32 v35, 0
	v_cndmask_b32_sdwa v16, v28, v16, vcc dst_sel:DWORD dst_unused:UNUSED_PAD src0_sel:DWORD src1_sel:WORD_1
	s_waitcnt lgkmcnt(0)
	v_lshl_add_u64 v[34:35], v[34:35], 1, s[12:13]
	global_store_short v[34:35], v16, off
	s_or_b64 exec, exec, s[14:15]
	s_and_saveexec_b64 s[14:15], s[4:5]
	s_cbranch_execz .LBB169_31
.LBB169_70:
	v_bfe_u32 v16, v24, 16, 1
	s_movk_i32 s9, 0x7fff
	v_add3_u32 v16, v24, v16, s9
	v_cmp_o_f32_e32 vcc, v24, v24
	v_mov_b32_e32 v24, 0x7fc0
	v_add_u32_e32 v34, v21, v29
	v_mov_b32_e32 v35, 0
	v_cndmask_b32_sdwa v16, v24, v16, vcc dst_sel:DWORD dst_unused:UNUSED_PAD src0_sel:DWORD src1_sel:WORD_1
	s_waitcnt lgkmcnt(0)
	v_lshl_add_u64 v[34:35], v[34:35], 1, s[12:13]
	global_store_short v[34:35], v16, off
	s_or_b64 exec, exec, s[14:15]
	s_and_saveexec_b64 s[14:15], s[6:7]
	s_cbranch_execnz .LBB169_32
	s_branch .LBB169_33
.LBB169_71:
	v_bfe_u32 v20, v19, 16, 1
	s_movk_i32 s9, 0x7fff
	v_add3_u32 v20, v19, v20, s9
	v_cmp_o_f32_e32 vcc, v19, v19
	v_mov_b32_e32 v19, 0x7fc0
	v_mov_b32_e32 v21, 0
	v_cndmask_b32_sdwa v19, v19, v20, vcc dst_sel:DWORD dst_unused:UNUSED_PAD src0_sel:DWORD src1_sel:WORD_1
	v_add_u32_e32 v20, v16, v33
	s_waitcnt lgkmcnt(0)
	v_lshl_add_u64 v[20:21], v[20:21], 1, s[12:13]
	global_store_short v[20:21], v19, off
	s_or_b64 exec, exec, s[14:15]
	s_and_saveexec_b64 s[14:15], s[2:3]
	s_cbranch_execz .LBB169_36
.LBB169_72:
	v_bfe_u32 v19, v31, 16, 1
	s_movk_i32 s9, 0x7fff
	v_add3_u32 v19, v31, v19, s9
	v_cmp_o_f32_e32 vcc, v31, v31
	v_mov_b32_e32 v20, 0x7fc0
	v_mov_b32_e32 v21, 0
	v_cndmask_b32_sdwa v19, v20, v19, vcc dst_sel:DWORD dst_unused:UNUSED_PAD src0_sel:DWORD src1_sel:WORD_1
	v_add_u32_e32 v20, v16, v17
	s_waitcnt lgkmcnt(0)
	v_lshl_add_u64 v[20:21], v[20:21], 1, s[12:13]
	global_store_short v[20:21], v19, off
	s_or_b64 exec, exec, s[14:15]
	s_and_saveexec_b64 s[14:15], s[4:5]
	s_cbranch_execz .LBB169_37
.LBB169_73:
	v_bfe_u32 v19, v27, 16, 1
	s_movk_i32 s9, 0x7fff
	v_add3_u32 v19, v27, v19, s9
	v_cmp_o_f32_e32 vcc, v27, v27
	v_mov_b32_e32 v20, 0x7fc0
	v_mov_b32_e32 v21, 0
	v_cndmask_b32_sdwa v19, v20, v19, vcc dst_sel:DWORD dst_unused:UNUSED_PAD src0_sel:DWORD src1_sel:WORD_1
	v_add_u32_e32 v20, v16, v29
	s_waitcnt lgkmcnt(0)
	v_lshl_add_u64 v[20:21], v[20:21], 1, s[12:13]
	global_store_short v[20:21], v19, off
	s_or_b64 exec, exec, s[14:15]
	s_and_saveexec_b64 s[14:15], s[6:7]
	s_cbranch_execnz .LBB169_38
	s_branch .LBB169_39
.LBB169_74:
	v_bfe_u32 v19, v18, 16, 1
	s_movk_i32 s9, 0x7fff
	v_add3_u32 v19, v18, v19, s9
	v_cmp_o_f32_e32 vcc, v18, v18
	v_mov_b32_e32 v18, 0x7fc0
	s_nop 0
	v_cndmask_b32_sdwa v20, v18, v19, vcc dst_sel:DWORD dst_unused:UNUSED_PAD src0_sel:DWORD src1_sel:WORD_1
	v_add_u32_e32 v18, v16, v33
	v_mov_b32_e32 v19, 0
	s_waitcnt lgkmcnt(0)
	v_lshl_add_u64 v[18:19], v[18:19], 1, s[12:13]
	global_store_short v[18:19], v20, off
	s_or_b64 exec, exec, s[14:15]
	s_and_saveexec_b64 s[14:15], s[2:3]
	s_cbranch_execz .LBB169_42
.LBB169_75:
	v_bfe_u32 v18, v30, 16, 1
	s_movk_i32 s9, 0x7fff
	v_add3_u32 v18, v30, v18, s9
	v_cmp_o_f32_e32 vcc, v30, v30
	v_mov_b32_e32 v19, 0x7fc0
	s_nop 0
	v_cndmask_b32_sdwa v20, v19, v18, vcc dst_sel:DWORD dst_unused:UNUSED_PAD src0_sel:DWORD src1_sel:WORD_1
	v_add_u32_e32 v18, v16, v17
	v_mov_b32_e32 v19, 0
	s_waitcnt lgkmcnt(0)
	v_lshl_add_u64 v[18:19], v[18:19], 1, s[12:13]
	global_store_short v[18:19], v20, off
	s_or_b64 exec, exec, s[14:15]
	s_and_saveexec_b64 s[14:15], s[4:5]
	s_cbranch_execz .LBB169_43
.LBB169_76:
	v_bfe_u32 v18, v26, 16, 1
	s_movk_i32 s9, 0x7fff
	v_add3_u32 v18, v26, v18, s9
	v_cmp_o_f32_e32 vcc, v26, v26
	v_mov_b32_e32 v19, 0x7fc0
	s_nop 0
	v_cndmask_b32_sdwa v20, v19, v18, vcc dst_sel:DWORD dst_unused:UNUSED_PAD src0_sel:DWORD src1_sel:WORD_1
	v_add_u32_e32 v18, v16, v29
	v_mov_b32_e32 v19, 0
	s_waitcnt lgkmcnt(0)
	v_lshl_add_u64 v[18:19], v[18:19], 1, s[12:13]
	global_store_short v[18:19], v20, off
	s_or_b64 exec, exec, s[14:15]
	s_and_saveexec_b64 s[14:15], s[6:7]
	s_cbranch_execnz .LBB169_44
	s_branch .LBB169_45
.LBB169_77:
	v_bfe_u32 v18, v13, 16, 1
	s_movk_i32 s9, 0x7fff
	v_add3_u32 v18, v13, v18, s9
	v_cmp_o_f32_e32 vcc, v13, v13
	v_mov_b32_e32 v13, 0x7fc0
	v_mov_b32_e32 v19, 0
	v_cndmask_b32_sdwa v13, v13, v18, vcc dst_sel:DWORD dst_unused:UNUSED_PAD src0_sel:DWORD src1_sel:WORD_1
	v_add_u32_e32 v18, v16, v33
	s_waitcnt lgkmcnt(0)
	v_lshl_add_u64 v[18:19], v[18:19], 1, s[12:13]
	global_store_short v[18:19], v13, off
	s_or_b64 exec, exec, s[14:15]
	s_and_saveexec_b64 s[14:15], s[2:3]
	s_cbranch_execz .LBB169_48
.LBB169_78:
	v_bfe_u32 v13, v9, 16, 1
	s_movk_i32 s9, 0x7fff
	v_add3_u32 v13, v9, v13, s9
	v_cmp_o_f32_e32 vcc, v9, v9
	v_mov_b32_e32 v9, 0x7fc0
	v_add_u32_e32 v18, v16, v17
	v_mov_b32_e32 v19, 0
	v_cndmask_b32_sdwa v9, v9, v13, vcc dst_sel:DWORD dst_unused:UNUSED_PAD src0_sel:DWORD src1_sel:WORD_1
	s_waitcnt lgkmcnt(0)
	v_lshl_add_u64 v[18:19], v[18:19], 1, s[12:13]
	global_store_short v[18:19], v9, off
	s_or_b64 exec, exec, s[14:15]
	s_and_saveexec_b64 s[14:15], s[4:5]
	s_cbranch_execz .LBB169_49
.LBB169_79:
	v_bfe_u32 v9, v5, 16, 1
	s_movk_i32 s9, 0x7fff
	v_add3_u32 v9, v5, v9, s9
	v_cmp_o_f32_e32 vcc, v5, v5
	v_mov_b32_e32 v5, 0x7fc0
	v_add_u32_e32 v18, v16, v29
	v_mov_b32_e32 v19, 0
	v_cndmask_b32_sdwa v5, v5, v9, vcc dst_sel:DWORD dst_unused:UNUSED_PAD src0_sel:DWORD src1_sel:WORD_1
	s_waitcnt lgkmcnt(0)
	v_lshl_add_u64 v[18:19], v[18:19], 1, s[12:13]
	global_store_short v[18:19], v5, off
	s_or_b64 exec, exec, s[14:15]
	s_and_saveexec_b64 s[14:15], s[6:7]
	s_cbranch_execnz .LBB169_50
	s_branch .LBB169_51
.LBB169_80:
	v_bfe_u32 v5, v12, 16, 1
	s_movk_i32 s9, 0x7fff
	v_add3_u32 v5, v12, v5, s9
	v_cmp_o_f32_e32 vcc, v12, v12
	v_mov_b32_e32 v9, 0x7fc0
	v_add_u32_e32 v12, v1, v33
	v_mov_b32_e32 v13, 0
	v_cndmask_b32_sdwa v5, v9, v5, vcc dst_sel:DWORD dst_unused:UNUSED_PAD src0_sel:DWORD src1_sel:WORD_1
	s_waitcnt lgkmcnt(0)
	v_lshl_add_u64 v[12:13], v[12:13], 1, s[12:13]
	global_store_short v[12:13], v5, off
	s_or_b64 exec, exec, s[14:15]
	s_and_saveexec_b64 s[14:15], s[2:3]
	s_cbranch_execz .LBB169_54
.LBB169_81:
	v_bfe_u32 v5, v8, 16, 1
	s_movk_i32 s9, 0x7fff
	v_add3_u32 v5, v8, v5, s9
	v_cmp_o_f32_e32 vcc, v8, v8
	v_mov_b32_e32 v8, 0x7fc0
	v_mov_b32_e32 v9, 0
	v_cndmask_b32_sdwa v5, v8, v5, vcc dst_sel:DWORD dst_unused:UNUSED_PAD src0_sel:DWORD src1_sel:WORD_1
	v_add_u32_e32 v8, v1, v17
	s_waitcnt lgkmcnt(0)
	v_lshl_add_u64 v[8:9], v[8:9], 1, s[12:13]
	global_store_short v[8:9], v5, off
	s_or_b64 exec, exec, s[14:15]
	s_and_saveexec_b64 s[14:15], s[4:5]
	s_cbranch_execz .LBB169_55
.LBB169_82:
	v_bfe_u32 v5, v4, 16, 1
	s_movk_i32 s9, 0x7fff
	v_add3_u32 v5, v4, v5, s9
	v_cmp_o_f32_e32 vcc, v4, v4
	v_mov_b32_e32 v4, 0x7fc0
	s_nop 0
	v_cndmask_b32_sdwa v8, v4, v5, vcc dst_sel:DWORD dst_unused:UNUSED_PAD src0_sel:DWORD src1_sel:WORD_1
	v_add_u32_e32 v4, v1, v29
	v_mov_b32_e32 v5, 0
	s_waitcnt lgkmcnt(0)
	v_lshl_add_u64 v[4:5], v[4:5], 1, s[12:13]
	global_store_short v[4:5], v8, off
	s_or_b64 exec, exec, s[14:15]
	s_and_saveexec_b64 s[14:15], s[6:7]
	s_cbranch_execnz .LBB169_56
	s_branch .LBB169_57
.LBB169_83:
	v_bfe_u32 v1, v15, 16, 1
	s_movk_i32 s9, 0x7fff
	v_add3_u32 v1, v15, v1, s9
	v_cmp_o_f32_e32 vcc, v15, v15
	v_mov_b32_e32 v4, 0x7fc0
	v_mov_b32_e32 v5, 0
	v_cndmask_b32_sdwa v1, v4, v1, vcc dst_sel:DWORD dst_unused:UNUSED_PAD src0_sel:DWORD src1_sel:WORD_1
	v_add_u32_e32 v4, v0, v33
	s_waitcnt lgkmcnt(0)
	v_lshl_add_u64 v[4:5], v[4:5], 1, s[12:13]
	global_store_short v[4:5], v1, off
	s_or_b64 exec, exec, s[14:15]
	s_and_saveexec_b64 s[14:15], s[2:3]
	s_cbranch_execz .LBB169_60
.LBB169_84:
	v_bfe_u32 v1, v11, 16, 1
	s_movk_i32 s9, 0x7fff
	v_add3_u32 v1, v11, v1, s9
	v_cmp_o_f32_e32 vcc, v11, v11
	v_mov_b32_e32 v4, 0x7fc0
	v_mov_b32_e32 v5, 0
	v_cndmask_b32_sdwa v1, v4, v1, vcc dst_sel:DWORD dst_unused:UNUSED_PAD src0_sel:DWORD src1_sel:WORD_1
	v_add_u32_e32 v4, v0, v17
	s_waitcnt lgkmcnt(0)
	v_lshl_add_u64 v[4:5], v[4:5], 1, s[12:13]
	global_store_short v[4:5], v1, off
	s_or_b64 exec, exec, s[14:15]
	s_and_saveexec_b64 s[14:15], s[4:5]
	s_cbranch_execz .LBB169_61
.LBB169_85:
	v_bfe_u32 v1, v7, 16, 1
	s_movk_i32 s9, 0x7fff
	v_add3_u32 v1, v7, v1, s9
	v_cmp_o_f32_e32 vcc, v7, v7
	v_mov_b32_e32 v4, 0x7fc0
	v_mov_b32_e32 v5, 0
	v_cndmask_b32_sdwa v1, v4, v1, vcc dst_sel:DWORD dst_unused:UNUSED_PAD src0_sel:DWORD src1_sel:WORD_1
	v_add_u32_e32 v4, v0, v29
	s_waitcnt lgkmcnt(0)
	v_lshl_add_u64 v[4:5], v[4:5], 1, s[12:13]
	global_store_short v[4:5], v1, off
	s_or_b64 exec, exec, s[14:15]
	s_and_saveexec_b64 s[14:15], s[6:7]
	s_cbranch_execnz .LBB169_62
	s_branch .LBB169_63
.LBB169_86:
	v_bfe_u32 v1, v14, 16, 1
	s_movk_i32 s0, 0x7fff
	v_add3_u32 v1, v14, v1, s0
	v_cmp_o_f32_e32 vcc, v14, v14
	v_mov_b32_e32 v3, 0x7fc0
	v_add_u32_e32 v4, v0, v33
	v_mov_b32_e32 v5, 0
	v_cndmask_b32_sdwa v1, v3, v1, vcc dst_sel:DWORD dst_unused:UNUSED_PAD src0_sel:DWORD src1_sel:WORD_1
	s_waitcnt lgkmcnt(0)
	v_lshl_add_u64 v[4:5], v[4:5], 1, s[12:13]
	global_store_short v[4:5], v1, off
	s_or_b64 exec, exec, s[8:9]
	s_and_saveexec_b64 s[0:1], s[2:3]
	s_cbranch_execz .LBB169_66
.LBB169_87:
	v_bfe_u32 v1, v10, 16, 1
	s_movk_i32 s2, 0x7fff
	v_add3_u32 v1, v10, v1, s2
	v_cmp_o_f32_e32 vcc, v10, v10
	v_mov_b32_e32 v3, 0x7fc0
	v_add_u32_e32 v4, v0, v17
	v_mov_b32_e32 v5, 0
	v_cndmask_b32_sdwa v1, v3, v1, vcc dst_sel:DWORD dst_unused:UNUSED_PAD src0_sel:DWORD src1_sel:WORD_1
	s_waitcnt lgkmcnt(0)
	v_lshl_add_u64 v[4:5], v[4:5], 1, s[12:13]
	global_store_short v[4:5], v1, off
	s_or_b64 exec, exec, s[0:1]
	s_and_saveexec_b64 s[0:1], s[4:5]
	s_cbranch_execz .LBB169_67
.LBB169_88:
	v_bfe_u32 v1, v6, 16, 1
	s_movk_i32 s2, 0x7fff
	v_add3_u32 v1, v6, v1, s2
	v_cmp_o_f32_e32 vcc, v6, v6
	v_mov_b32_e32 v3, 0x7fc0
	v_add_u32_e32 v4, v0, v29
	v_mov_b32_e32 v5, 0
	v_cndmask_b32_sdwa v1, v3, v1, vcc dst_sel:DWORD dst_unused:UNUSED_PAD src0_sel:DWORD src1_sel:WORD_1
	s_waitcnt lgkmcnt(0)
	v_lshl_add_u64 v[4:5], v[4:5], 1, s[12:13]
	global_store_short v[4:5], v1, off
	s_or_b64 exec, exec, s[0:1]
	s_and_b64 exec, exec, s[6:7]
	s_cbranch_execz .LBB169_17
.LBB169_89:
	v_bfe_u32 v1, v2, 16, 1
	s_movk_i32 s0, 0x7fff
	v_add3_u32 v1, v2, v1, s0
	v_cmp_o_f32_e32 vcc, v2, v2
	v_mov_b32_e32 v2, 0x7fc0
	v_add_u32_e32 v0, v0, v25
	v_cndmask_b32_sdwa v2, v2, v1, vcc dst_sel:DWORD dst_unused:UNUSED_PAD src0_sel:DWORD src1_sel:WORD_1
	v_mov_b32_e32 v1, 0
	s_waitcnt lgkmcnt(0)
	v_lshl_add_u64 v[0:1], v[0:1], 1, s[12:13]
	global_store_short v[0:1], v2, off
	s_endpgm
	.section	.rodata,"a",@progbits
	.p2align	6, 0x0
	.amdhsa_kernel _ZL12mul_mat_q3_KIN3c108BFloat16ELb0EEvPKvS3_PT_iiiii
		.amdhsa_group_segment_fixed_size 39840
		.amdhsa_private_segment_fixed_size 0
		.amdhsa_kernarg_size 44
		.amdhsa_user_sgpr_count 2
		.amdhsa_user_sgpr_dispatch_ptr 0
		.amdhsa_user_sgpr_queue_ptr 0
		.amdhsa_user_sgpr_kernarg_segment_ptr 1
		.amdhsa_user_sgpr_dispatch_id 0
		.amdhsa_user_sgpr_kernarg_preload_length 0
		.amdhsa_user_sgpr_kernarg_preload_offset 0
		.amdhsa_user_sgpr_private_segment_size 0
		.amdhsa_uses_dynamic_stack 0
		.amdhsa_enable_private_segment 0
		.amdhsa_system_sgpr_workgroup_id_x 1
		.amdhsa_system_sgpr_workgroup_id_y 1
		.amdhsa_system_sgpr_workgroup_id_z 0
		.amdhsa_system_sgpr_workgroup_info 0
		.amdhsa_system_vgpr_workitem_id 1
		.amdhsa_next_free_vgpr 246
		.amdhsa_next_free_sgpr 96
		.amdhsa_accum_offset 248
		.amdhsa_reserve_vcc 1
		.amdhsa_float_round_mode_32 0
		.amdhsa_float_round_mode_16_64 0
		.amdhsa_float_denorm_mode_32 3
		.amdhsa_float_denorm_mode_16_64 3
		.amdhsa_dx10_clamp 1
		.amdhsa_ieee_mode 1
		.amdhsa_fp16_overflow 0
		.amdhsa_tg_split 0
		.amdhsa_exception_fp_ieee_invalid_op 0
		.amdhsa_exception_fp_denorm_src 0
		.amdhsa_exception_fp_ieee_div_zero 0
		.amdhsa_exception_fp_ieee_overflow 0
		.amdhsa_exception_fp_ieee_underflow 0
		.amdhsa_exception_fp_ieee_inexact 0
		.amdhsa_exception_int_div_zero 0
	.end_amdhsa_kernel
	.section	.text._ZL12mul_mat_q3_KIN3c108BFloat16ELb0EEvPKvS3_PT_iiiii,"axG",@progbits,_ZL12mul_mat_q3_KIN3c108BFloat16ELb0EEvPKvS3_PT_iiiii,comdat
.Lfunc_end169:
	.size	_ZL12mul_mat_q3_KIN3c108BFloat16ELb0EEvPKvS3_PT_iiiii, .Lfunc_end169-_ZL12mul_mat_q3_KIN3c108BFloat16ELb0EEvPKvS3_PT_iiiii
                                        ; -- End function
	.set _ZL12mul_mat_q3_KIN3c108BFloat16ELb0EEvPKvS3_PT_iiiii.num_vgpr, 246
	.set _ZL12mul_mat_q3_KIN3c108BFloat16ELb0EEvPKvS3_PT_iiiii.num_agpr, 0
	.set _ZL12mul_mat_q3_KIN3c108BFloat16ELb0EEvPKvS3_PT_iiiii.numbered_sgpr, 26
	.set _ZL12mul_mat_q3_KIN3c108BFloat16ELb0EEvPKvS3_PT_iiiii.num_named_barrier, 0
	.set _ZL12mul_mat_q3_KIN3c108BFloat16ELb0EEvPKvS3_PT_iiiii.private_seg_size, 0
	.set _ZL12mul_mat_q3_KIN3c108BFloat16ELb0EEvPKvS3_PT_iiiii.uses_vcc, 1
	.set _ZL12mul_mat_q3_KIN3c108BFloat16ELb0EEvPKvS3_PT_iiiii.uses_flat_scratch, 0
	.set _ZL12mul_mat_q3_KIN3c108BFloat16ELb0EEvPKvS3_PT_iiiii.has_dyn_sized_stack, 0
	.set _ZL12mul_mat_q3_KIN3c108BFloat16ELb0EEvPKvS3_PT_iiiii.has_recursion, 0
	.set _ZL12mul_mat_q3_KIN3c108BFloat16ELb0EEvPKvS3_PT_iiiii.has_indirect_call, 0
	.section	.AMDGPU.csdata,"",@progbits
; Kernel info:
; codeLenInByte = 32544
; TotalNumSgprs: 32
; NumVgprs: 246
; NumAgprs: 0
; TotalNumVgprs: 246
; ScratchSize: 0
; MemoryBound: 0
; FloatMode: 240
; IeeeMode: 1
; LDSByteSize: 39840 bytes/workgroup (compile time only)
; SGPRBlocks: 12
; VGPRBlocks: 30
; NumSGPRsForWavesPerEU: 102
; NumVGPRsForWavesPerEU: 246
; AccumOffset: 248
; Occupancy: 2
; WaveLimiterHint : 0
; COMPUTE_PGM_RSRC2:SCRATCH_EN: 0
; COMPUTE_PGM_RSRC2:USER_SGPR: 2
; COMPUTE_PGM_RSRC2:TRAP_HANDLER: 0
; COMPUTE_PGM_RSRC2:TGID_X_EN: 1
; COMPUTE_PGM_RSRC2:TGID_Y_EN: 1
; COMPUTE_PGM_RSRC2:TGID_Z_EN: 0
; COMPUTE_PGM_RSRC2:TIDIG_COMP_CNT: 1
; COMPUTE_PGM_RSRC3_GFX90A:ACCUM_OFFSET: 61
; COMPUTE_PGM_RSRC3_GFX90A:TG_SPLIT: 0
	.section	.text._ZL12mul_mat_q3_KIN3c108BFloat16ELb1EEvPKvS3_PT_iiiii,"axG",@progbits,_ZL12mul_mat_q3_KIN3c108BFloat16ELb1EEvPKvS3_PT_iiiii,comdat
	.globl	_ZL12mul_mat_q3_KIN3c108BFloat16ELb1EEvPKvS3_PT_iiiii ; -- Begin function _ZL12mul_mat_q3_KIN3c108BFloat16ELb1EEvPKvS3_PT_iiiii
	.p2align	8
	.type	_ZL12mul_mat_q3_KIN3c108BFloat16ELb1EEvPKvS3_PT_iiiii,@function
_ZL12mul_mat_q3_KIN3c108BFloat16ELb1EEvPKvS3_PT_iiiii: ; @_ZL12mul_mat_q3_KIN3c108BFloat16ELb1EEvPKvS3_PT_iiiii
; %bb.0:
	s_load_dwordx4 s[8:11], s[0:1], 0x18
	s_load_dword s14, s[0:1], 0x28
	s_lshl_b32 s15, s3, 6
	v_bfe_u32 v77, v0, 10, 10
	s_waitcnt lgkmcnt(0)
	s_cmpk_gt_i32 s8, 0xff
	s_cbranch_scc1 .LBB170_2
; %bb.1:
	v_bfe_u32 v32, v0, 10, 10
	v_and_b32_e32 v41, 0x3ff, v0
	v_add_u32_e32 v47, s15, v32
	s_mov_b64 s[4:5], 0
	s_branch .LBB170_3
.LBB170_2:
	s_mov_b64 s[4:5], -1
                                        ; implicit-def: $vgpr32
                                        ; implicit-def: $vgpr41
                                        ; implicit-def: $vgpr47
.LBB170_3:
	s_load_dwordx2 s[12:13], s[0:1], 0x10
	s_lshl_b32 s6, s2, 7
	s_andn2_b64 vcc, exec, s[4:5]
	s_mov_b32 s4, 0
	s_cbranch_vccnz .LBB170_16
; %bb.4:
	s_ashr_i32 s5, s8, 31
	s_load_dwordx4 s[0:3], s[0:1], 0x0
	s_lshr_b32 s5, s5, 24
	s_add_i32 s5, s8, s5
	s_ashr_i32 s7, s11, 31
	s_ashr_i32 s5, s5, 8
	s_lshr_b32 s7, s7, 27
	s_add_i32 s7, s11, s7
	s_mul_i32 s8, s5, s6
	s_ashr_i32 s11, s7, 5
	s_mul_hi_i32 s16, s8, 0x6e
	s_mulk_i32 s8, 0x6e
	s_waitcnt lgkmcnt(0)
	s_add_u32 s0, s0, s8
	s_addc_u32 s1, s1, s16
	s_not_b32 s8, s6
	s_add_i32 s9, s9, s8
	v_add_u32_e32 v1, 64, v77
	v_min_i32_e32 v24, s9, v1
	v_add_u32_e32 v1, 0x48, v77
	v_min_i32_e32 v25, s9, v1
	;; [unrolled: 2-line block ×3, first 2 shown]
	v_add_u32_e32 v1, 0x58, v77
	v_and_b32_e32 v41, 0x3ff, v0
	v_min_i32_e32 v27, s9, v1
	v_add_u32_e32 v1, 0x60, v77
	v_and_b32_e32 v3, 15, v0
	v_min_i32_e32 v8, s9, v77
	v_lshlrev_b32_e32 v2, 2, v41
	s_movk_i32 s8, 0x84
	v_min_i32_e32 v28, s9, v1
	v_add_u32_e32 v1, 0x68, v77
	v_mad_u64_u32 v[44:45], s[16:17], v8, s8, v[2:3]
	v_min_i32_e32 v29, s9, v1
	v_add_u32_e32 v1, 0x70, v77
	v_min_i32_e32 v30, s9, v1
	v_add_u32_e32 v1, 0x78, v77
	v_lshlrev_b32_e32 v19, 4, v77
	v_bfe_u32 v45, v0, 1, 9
	v_min_i32_e32 v31, s9, v1
	v_add_u32_e32 v1, v45, v19
	v_and_b32_e32 v1, 0x7f, v1
	v_min_i32_e32 v32, s9, v1
	v_ashrrev_i32_e32 v1, 31, v32
	v_lshrrev_b32_e32 v1, 28, v1
	v_add_u32_e32 v9, 8, v77
	v_add_u32_e32 v11, 16, v77
	;; [unrolled: 1-line block ×8, first 2 shown]
	v_min_i32_e32 v10, s9, v9
	v_min_i32_e32 v12, s9, v11
	;; [unrolled: 1-line block ×7, first 2 shown]
	v_and_b32_e32 v76, 1, v0
	v_ashrrev_i32_e32 v1, 4, v1
	v_bfe_u32 v40, v0, 4, 6
	v_mad_u64_u32 v[46:47], s[16:17], v10, s8, v[2:3]
	v_mad_u64_u32 v[48:49], s[16:17], v12, s8, v[2:3]
	v_mad_u64_u32 v[50:51], s[16:17], v14, s8, v[2:3]
	v_mad_u64_u32 v[52:53], s[16:17], v20, s8, v[2:3]
	v_mad_u64_u32 v[54:55], s[16:17], v21, s8, v[2:3]
	v_mad_u64_u32 v[56:57], s[16:17], v22, s8, v[2:3]
	v_mad_u64_u32 v[58:59], s[16:17], v23, s8, v[2:3]
	v_mad_u64_u32 v[60:61], s[16:17], v24, s8, v[2:3]
	v_mad_u64_u32 v[62:63], s[16:17], v25, s8, v[2:3]
	v_mad_u64_u32 v[64:65], s[16:17], v26, s8, v[2:3]
	v_mad_u64_u32 v[66:67], s[16:17], v27, s8, v[2:3]
	v_mad_u64_u32 v[68:69], s[16:17], v28, s8, v[2:3]
	v_mad_u64_u32 v[70:71], s[16:17], v29, s8, v[2:3]
	v_mad_u64_u32 v[72:73], s[16:17], v30, s8, v[2:3]
	v_mad_u64_u32 v[74:75], s[16:17], v31, s8, v[2:3]
	v_lshlrev_b32_e32 v1, 2, v1
	v_lshlrev_b32_e32 v4, 2, v76
	s_mov_b32 s8, 0x9380
	v_add3_u32 v1, v1, v4, s8
	v_lshl_add_u32 v4, v77, 1, v40
	v_min_i32_e32 v35, s9, v4
	v_lshrrev_b32_e32 v5, 31, v35
	v_add_lshl_u32 v5, v35, v5, 1
	v_lshlrev_b32_e32 v42, 2, v3
	v_and_b32_e32 v5, -4, v5
	s_movk_i32 s8, 0x4200
	v_add3_u32 v36, v5, v42, s8
	v_add_u32_e32 v5, 16, v4
	v_min_i32_e32 v38, s9, v5
	v_lshrrev_b32_e32 v5, 31, v38
	v_add_lshl_u32 v5, v38, v5, 1
	v_and_b32_e32 v5, -4, v5
	v_add3_u32 v39, v5, v42, s8
	v_add_u32_e32 v5, 32, v4
	v_min_i32_e32 v124, s9, v5
	v_lshrrev_b32_e32 v5, 31, v124
	v_add_lshl_u32 v5, v124, v5, 1
	v_and_b32_e32 v5, -4, v5
	;; [unrolled: 6-line block ×5, first 2 shown]
	v_add3_u32 v86, v5, v42, s8
	v_add_u32_e32 v5, 0x60, v4
	v_add_u32_e32 v4, 0x70, v4
	v_min_i32_e32 v134, s9, v4
	v_min_i32_e32 v132, s9, v5
	v_lshrrev_b32_e32 v4, 31, v134
	v_lshrrev_b32_e32 v5, 31, v132
	v_add_lshl_u32 v4, v134, v4, 1
	v_add_lshl_u32 v5, v132, v5, 1
	v_and_b32_e32 v4, -4, v4
	v_and_b32_e32 v5, -4, v5
	v_add3_u32 v90, v4, v42, s8
	v_bfe_u32 v49, v0, 3, 7
	v_and_b32_e32 v4, 3, v0
	v_add3_u32 v88, v5, v42, s8
	v_lshl_add_u32 v91, v77, 2, v49
	v_add_u16_e32 v5, -2, v4
	v_cmp_gt_u32_e32 vcc, 2, v4
	v_mov_b32_e32 v6, 2
	v_min_i32_e32 v136, s9, v91
	v_cndmask_b32_e32 v5, v5, v4, vcc
	v_lshlrev_b32_sdwa v80, v6, v5 dst_sel:DWORD dst_unused:UNUSED_PAD src0_sel:DWORD src1_sel:BYTE_0
	v_ashrrev_i32_e32 v5, 31, v136
	v_lshrrev_b32_e32 v5, 30, v5
	v_and_b32_e32 v34, 7, v0
	v_add_u32_e32 v5, v136, v5
	v_lshlrev_b32_e32 v78, 2, v34
	v_and_b32_e32 v5, -4, v5
	s_mov_b32 s18, 0x8300
	v_add3_u32 v94, v5, v78, s18
	v_and_b32_e32 v5, 31, v0
	v_mov_b32_e32 v53, 0x6300
	v_lshl_or_b32 v53, v5, 2, v53
	v_bfe_u32 v5, v0, 2, 8
	v_lshl_add_u32 v5, v77, 3, v5
	v_and_b32_e32 v5, 63, v5
	s_add_i32 s16, s10, -1
	v_or_b32_e32 v55, s15, v5
	v_min_i32_e32 v55, s16, v55
	v_lshlrev_b32_e32 v51, 1, v4
	v_add_u32_e32 v47, s15, v77
	v_cvt_f64_i32_e32 v[6:7], s16
	v_mad_u64_u32 v[82:83], s[16:17], v55, s11, v[4:5]
	v_lshlrev_b32_e32 v4, 2, v4
	v_lshl_or_b32 v93, v5, 4, v4
	v_cvt_f64_u32_e32 v[4:5], v47
	v_min_f64 v[4:5], v[4:5], v[6:7]
	v_cvt_i32_f64_e32 v95, v[4:5]
	v_add_u32_e32 v4, 8, v47
	v_cvt_f64_u32_e32 v[4:5], v4
	v_min_f64 v[4:5], v[4:5], v[6:7]
	v_cvt_i32_f64_e32 v96, v[4:5]
	v_add_u32_e32 v4, 16, v47
	;; [unrolled: 4-line block ×7, first 2 shown]
	v_cvt_f64_u32_e32 v[4:5], v4
	v_min_f64 v[4:5], v[4:5], v[6:7]
	v_cvt_i32_f64_e32 v4, v[4:5]
	v_lshlrev_b32_e32 v5, 5, v41
	v_add_u32_e32 v6, 32, v41
	v_and_b32_e32 v0, 0xfc, v0
	v_add_u32_e32 v7, 64, v41
	v_add_u32_e32 v55, v5, v0
	v_and_b32_e32 v0, 0x1fc, v6
	v_add_u32_e32 v102, 0x60, v41
	;; [unrolled: 3-line block ×3, first 2 shown]
	v_and_b32_e32 v0, 0x1fc, v102
	v_lshlrev_b32_e32 v33, 3, v32
	v_add_u32_e32 v61, v5, v0
	v_add_u32_e32 v0, 32, v91
	;; [unrolled: 1-line block ×3, first 2 shown]
	v_min_i32_e32 v33, s9, v0
	v_ashrrev_i32_e32 v0, 31, v33
	v_lshrrev_b32_e32 v0, 30, v0
	v_add_u32_e32 v0, v33, v0
	v_lshlrev_b32_e32 v37, 6, v35
	v_and_b32_e32 v0, -4, v0
	v_lshlrev_b32_e32 v67, 6, v38
	v_add_u32_e32 v65, v36, v37
	v_add3_u32 v36, v0, v78, s18
	v_add_u32_e32 v0, 64, v91
	v_add_u32_e32 v67, v39, v67
	v_min_i32_e32 v39, s9, v0
	v_ashrrev_i32_e32 v0, 31, v39
	v_lshrrev_b32_e32 v0, 30, v0
	v_add_u32_e32 v0, v39, v0
	v_and_b32_e32 v0, -4, v0
	v_add3_u32 v104, v0, v78, s18
	v_add_u32_e32 v0, 0x60, v91
	v_min_i32_e32 v142, s9, v0
	v_ashrrev_i32_e32 v0, 31, v142
	v_lshrrev_b32_e32 v0, 30, v0
	v_add_u32_e32 v0, v142, v0
	v_mov_b32_e32 v43, 0
	v_lshlrev_b32_e32 v71, 6, v124
	v_lshlrev_b32_e32 v75, 6, v126
	;; [unrolled: 1-line block ×8, first 2 shown]
	v_and_b32_e32 v0, -4, v0
	v_add_u32_e32 v69, v69, v71
	v_add_u32_e32 v71, v73, v75
	v_add_u32_e32 v73, v84, v85
	v_lshlrev_b32_e32 v84, 5, v39
	v_add_u32_e32 v75, v86, v87
	v_add3_u32 v85, v0, v78, s18
	v_add_u32_e32 v83, v88, v89
	v_lshlrev_b32_e32 v86, 5, v142
	v_and_b32_e32 v0, 28, v2
	v_mov_b32_e32 v1, v43
	v_lshlrev_b32_e32 v2, 7, v9
	v_lshlrev_b32_e32 v9, 7, v11
	;; [unrolled: 1-line block ×6, first 2 shown]
	v_mul_lo_u32 v103, s11, v4
	v_lshlrev_b32_e32 v4, 7, v18
	v_add_u32_e32 v105, v90, v92
	v_lshrrev_b32_e32 v90, 1, v6
	v_add_u32_e32 v107, v94, v5
	v_lshrrev_b32_e32 v5, 4, v6
	;; [unrolled: 2-line block ×3, first 2 shown]
	v_lshlrev_b32_e32 v113, 6, v6
	v_lshlrev_b32_e32 v117, 3, v6
	v_lshrrev_b32_e32 v119, 3, v6
	v_lshrrev_b32_e32 v6, 4, v7
	v_lshlrev_b32_e32 v121, 6, v7
	v_lshlrev_b32_e32 v123, 3, v7
	v_lshrrev_b32_e32 v125, 3, v7
	v_lshrrev_b32_e32 v7, 1, v102
	v_add_u32_e32 v133, 0x97a0, v19
	v_mov_b32_e32 v16, v43
	v_mov_b32_e32 v17, v43
	v_mov_b32_e32 v18, v43
	v_mov_b32_e32 v19, v43
	v_cmp_lt_u32_e32 vcc, 7, v3
	v_add_u32_e32 v87, 0x97a0, v93
	v_mul_lo_u32 v89, s11, v95
	v_mul_lo_u32 v91, s11, v96
	;; [unrolled: 1-line block ×6, first 2 shown]
	v_add_u32_e32 v111, v104, v84
	v_add_u32_e32 v115, v85, v86
	v_lshrrev_b32_e32 v37, 4, v102
	v_lshlrev_b32_e32 v127, 6, v102
	v_lshlrev_b32_e32 v129, 3, v102
	v_lshrrev_b32_e32 v131, 3, v102
	v_lshl_add_u64 v[84:85], s[2:3], 0, v[0:1]
	v_add_u32_e32 v135, v53, v2
	v_add_u32_e32 v137, v53, v9
	v_add_u32_e32 v139, v53, v11
	v_add_u32_e32 v141, v53, v13
	v_add_u32_e32 v143, v53, v15
	v_add_u32_e32 v145, v53, v88
	v_add_u32_e32 v147, v53, v4
	v_lshlrev_b32_e32 v149, 2, v90
	v_lshlrev_b32_e32 v151, 2, v5
	;; [unrolled: 1-line block ×4, first 2 shown]
	v_mul_lo_u32 v86, v8, s5
	v_mul_lo_u32 v88, v10, s5
	;; [unrolled: 1-line block ×16, first 2 shown]
	v_lshlrev_b32_e32 v174, 1, v41
	v_lshlrev_b32_e32 v176, 7, v77
	v_cndmask_b32_e64 v144, 0, 1, vcc
	v_cmp_lt_u32_e32 vcc, 3, v34
	v_mov_b64_e32 v[12:13], v[16:17]
	v_mov_b64_e32 v[30:31], v[18:19]
	;; [unrolled: 1-line block ×7, first 2 shown]
	s_movk_i32 s7, 0x6e
	v_mov_b32_e32 v79, v43
	s_movk_i32 s8, 0xff
	v_mov_b32_e32 v81, v43
	v_mul_lo_u32 v101, s11, v101
	s_mov_b32 s9, 0x30303030
	s_movk_i32 s11, 0xe000
	s_movk_i32 s16, 0x3f00
	v_lshlrev_b32_e32 v153, 2, v36
	v_lshlrev_b32_e32 v173, 2, v37
	v_mul_lo_u32 v118, v32, s5
	v_mul_lo_u32 v120, v35, s5
	;; [unrolled: 1-line block ×9, first 2 shown]
	v_and_b32_e32 v175, 4, v174
	v_mul_lo_u32 v136, v136, s5
	v_mul_lo_u32 v138, v33, s5
	;; [unrolled: 1-line block ×4, first 2 shown]
	v_mul_u32_u24_e32 v177, 0x84, v41
	v_lshlrev_b32_e32 v178, 6, v41
	v_add_u32_e32 v179, 0x8300, v55
	v_add_u32_e32 v180, 0x8700, v57
	v_add_u32_e32 v181, 0x8b00, v59
	v_add_u32_e32 v182, 0x8f00, v61
	v_add_u32_e32 v183, 0x6300, v176
	v_cndmask_b32_e64 v146, 0, 1, vcc
	v_mov_b64_e32 v[14:15], v[18:19]
	v_mov_b64_e32 v[28:29], v[16:17]
	;; [unrolled: 1-line block ×7, first 2 shown]
	s_branch .LBB170_6
.LBB170_5:                              ;   in Loop: Header=BB170_6 Depth=1
	s_add_i32 s4, s4, 2
	s_cmp_ge_i32 s4, s5
	s_cbranch_scc1 .LBB170_18
.LBB170_6:                              ; =>This Loop Header: Depth=1
                                        ;     Child Loop BB170_7 Depth 2
                                        ;     Child Loop BB170_9 Depth 2
	;; [unrolled: 1-line block ×4, first 2 shown]
	s_mul_i32 s18, s4, 0x6e
	s_mul_hi_u32 s17, s4, 0x6e
	s_add_u32 s18, s0, s18
	s_addc_u32 s19, s1, s17
	v_mov_b64_e32 v[32:33], s[18:19]
	v_mad_u64_u32 v[34:35], s[18:19], v40, s7, v[32:33]
	v_mad_i64_i32 v[36:37], s[18:19], v86, s7, v[34:35]
	v_mad_i64_i32 v[38:39], s[18:19], v88, s7, v[34:35]
	;; [unrolled: 1-line block ×8, first 2 shown]
	v_lshl_add_u64 v[36:37], v[36:37], 0, v[42:43]
	v_lshl_add_u64 v[38:39], v[38:39], 0, v[42:43]
	;; [unrolled: 1-line block ×8, first 2 shown]
	global_load_dword v148, v[36:37], off offset:32
	global_load_dword v150, v[38:39], off offset:32
	;; [unrolled: 1-line block ×7, first 2 shown]
	s_nop 0
	global_load_dword v166, v[166:167], off offset:32
	v_mad_i64_i32 v[36:37], s[18:19], v102, s7, v[34:35]
	v_mad_i64_i32 v[38:39], s[18:19], v104, s7, v[34:35]
	;; [unrolled: 1-line block ×8, first 2 shown]
	v_lshl_add_u64 v[36:37], v[36:37], 0, v[42:43]
	v_lshl_add_u64 v[164:165], v[164:165], 0, v[42:43]
	;; [unrolled: 1-line block ×8, first 2 shown]
	global_load_dword v167, v[36:37], off offset:32
	global_load_dword v171, v[38:39], off offset:32
	;; [unrolled: 1-line block ×6, first 2 shown]
	s_nop 0
	global_load_dword v164, v[164:165], off offset:32
	s_nop 0
	global_load_dword v165, v[34:35], off offset:32
	v_mad_i64_i32 v[34:35], s[18:19], v118, s7, v[32:33]
	v_mad_u64_u32 v[36:37], s[18:19], v144, s7, v[32:33]
	v_mad_u64_u32 v[34:35], s[18:19], v76, s7, v[34:35]
	v_lshl_add_u64 v[36:37], v[36:37], 0, v[78:79]
	v_mad_i64_i32 v[38:39], s[18:19], v120, s7, v[36:37]
	global_load_ushort v188, v[34:35], off offset:108
	global_load_dword v189, v[38:39], off
	v_mad_i64_i32 v[34:35], s[18:19], v122, s7, v[36:37]
	v_mad_i64_i32 v[156:157], s[18:19], v126, s7, v[36:37]
	;; [unrolled: 1-line block ×6, first 2 shown]
	global_load_dword v190, v[34:35], off
	global_load_dword v191, v[38:39], off
	s_nop 0
	global_load_dword v156, v[156:157], off
	s_nop 0
	;; [unrolled: 2-line block ×3, first 2 shown]
	global_load_dword v158, v[160:161], off
	global_load_dword v159, v[162:163], off
	v_mad_i64_i32 v[34:35], s[18:19], v134, s7, v[36:37]
	v_mad_u64_u32 v[32:33], s[18:19], v146, s7, v[32:33]
	global_load_dword v160, v[34:35], off
	v_mad_i64_i32 v[34:35], s[18:19], v136, s7, v[32:33]
	v_lshl_add_u64 v[36:37], v[34:35], 0, v[80:81]
	global_load_dword v161, v[36:37], off offset:96
	v_mad_i64_i32 v[36:37], s[18:19], v138, s7, v[32:33]
	v_mad_i64_i32 v[38:39], s[18:19], v140, s7, v[32:33]
	;; [unrolled: 1-line block ×3, first 2 shown]
	global_load_dword v162, v[32:33], off offset:104
	global_load_dword v163, v[38:39], off offset:104
	;; [unrolled: 1-line block ×4, first 2 shown]
	v_lshl_add_u64 v[34:35], v[36:37], 0, v[80:81]
	v_lshl_add_u64 v[36:37], v[38:39], 0, v[80:81]
	global_load_dword v194, v[34:35], off offset:96
	global_load_dword v195, v[36:37], off offset:96
	s_waitcnt vmcnt(31)
	ds_write_b32 v44, v148
	s_waitcnt vmcnt(30)
	ds_write_b32 v46, v150
	;; [unrolled: 2-line block ×13, first 2 shown]
	v_lshl_add_u64 v[32:33], v[32:33], 0, v[80:81]
	s_lshl_b32 s17, s4, 3
	v_add_u32_e32 v152, s17, v49
	v_add_u32_e32 v154, v152, v97
	v_add_u32_e32 v36, v152, v93
	v_add_u32_e32 v38, v152, v95
	v_mad_i64_i32 v[36:37], s[18:19], v36, 36, v[84:85]
	v_mad_i64_i32 v[38:39], s[18:19], v38, 36, v[84:85]
	v_mov_b32_e32 v170, v183
	s_waitcnt vmcnt(15)
	v_cvt_f32_f16_e32 v34, v188
	ds_write_b32 v70, v187
	ds_write_b32 v72, v164
	;; [unrolled: 1-line block ×4, first 2 shown]
	s_waitcnt vmcnt(14)
	v_not_b32_e32 v34, v189
	global_load_dword v150, v[32:33], off offset:96
	ds_write_b32 v65, v34
	v_add_u32_e32 v32, v152, v89
	v_mad_i64_i32 v[32:33], s[18:19], v32, 36, v[84:85]
	v_add_u32_e32 v187, s17, v82
	s_waitcnt vmcnt(14)
	v_not_b32_e32 v34, v190
	ds_write_b32 v67, v34
	s_waitcnt vmcnt(13)
	v_not_b32_e32 v34, v191
	ds_write_b32 v69, v34
	;; [unrolled: 3-line block ×7, first 2 shown]
	s_waitcnt vmcnt(7)
	v_ashrrev_i32_e32 v34, v175, v161
	v_and_b32_e32 v148, 0xf0f0f0f, v34
	v_add_u32_e32 v34, v152, v91
	v_mad_i64_i32 v[34:35], s[18:19], v34, 36, v[84:85]
	v_mad_i64_i32 v[156:157], s[18:19], v154, 36, v[84:85]
	global_load_dword v154, v[32:33], off offset:4
	global_load_dword v158, v[34:35], off offset:4
	;; [unrolled: 1-line block ×4, first 2 shown]
	s_nop 0
	global_load_dword v156, v[156:157], off offset:4
	v_add_u32_e32 v32, v152, v99
	v_add_u32_e32 v34, v152, v101
	v_mad_i64_i32 v[32:33], s[18:19], v32, 36, v[84:85]
	v_mad_i64_i32 v[34:35], s[18:19], v34, 36, v[84:85]
	v_add_u32_e32 v36, v152, v103
	v_mad_u64_u32 v[38:39], s[18:19], v187, 36, s[2:3]
	v_mad_i64_i32 v[36:37], s[18:19], v36, 36, v[84:85]
	global_load_dword v38, v[38:39], off
	s_nop 0
	global_load_dword v32, v[32:33], off offset:4
	s_nop 0
	global_load_dword v33, v[34:35], off offset:4
	;; [unrolled: 2-line block ×3, first 2 shown]
	s_waitcnt vmcnt(12)
	v_ashrrev_i32_e32 v35, v51, v193
	v_lshlrev_b32_e32 v35, 4, v35
	v_and_or_b32 v35, v35, s9, v148
	v_lshlrev_b16_e32 v37, 8, v35
	v_add_u16_e32 v37, 0xe000, v37
	v_lshrrev_b32_e32 v36, 16, v35
	v_lshrrev_b16_e32 v37, 8, v37
	v_bitop3_b16 v35, v35, v37, s16 bitop3:0xec
	v_lshlrev_b16_e32 v37, 8, v36
	v_add_u16_e32 v37, 0xe000, v37
	v_lshrrev_b16_e32 v37, 8, v37
	v_bitop3_b16 v36, v36, v37, s16 bitop3:0xec
	v_add_u16_e32 v35, 0xe000, v35
	v_add_u16_sdwa v36, v36, s11 dst_sel:WORD_1 dst_unused:UNUSED_PAD src0_sel:DWORD src1_sel:DWORD
	v_add_u32_e32 v188, v53, v176
	v_or_b32_e32 v35, v35, v36
	ds_write_b32 v107, v35
	s_waitcnt vmcnt(11)
	v_ashrrev_i32_e32 v35, v175, v194
	v_ashrrev_i32_e32 v36, v51, v192
	v_and_b32_e32 v35, 0xf0f0f0f, v35
	v_lshlrev_b32_e32 v36, 4, v36
	v_and_or_b32 v35, v36, s9, v35
	v_lshlrev_b16_e32 v37, 8, v35
	v_add_u16_e32 v37, 0xe000, v37
	v_lshrrev_b32_e32 v36, 16, v35
	v_lshrrev_b16_e32 v37, 8, v37
	v_bitop3_b16 v35, v35, v37, s16 bitop3:0xec
	v_lshlrev_b16_e32 v37, 8, v36
	v_add_u16_e32 v37, 0xe000, v37
	v_lshrrev_b16_e32 v37, 8, v37
	v_bitop3_b16 v36, v36, v37, s16 bitop3:0xec
	v_add_u16_e32 v35, 0xe000, v35
	v_add_u16_sdwa v36, v36, s11 dst_sel:WORD_1 dst_unused:UNUSED_PAD src0_sel:DWORD src1_sel:DWORD
	v_mov_b32_e32 v171, v133
	v_or_b32_e32 v35, v35, v36
	ds_write_b32 v109, v35
	s_waitcnt vmcnt(10)
	v_ashrrev_i32_e32 v35, v175, v195
	v_ashrrev_i32_e32 v36, v51, v163
	v_and_b32_e32 v35, 0xf0f0f0f, v35
	v_lshlrev_b32_e32 v36, 4, v36
	v_and_or_b32 v35, v36, s9, v35
	v_lshlrev_b16_e32 v37, 8, v35
	v_add_u16_e32 v37, 0xe000, v37
	v_lshrrev_b32_e32 v36, 16, v35
	v_lshrrev_b16_e32 v37, 8, v37
	v_bitop3_b16 v35, v35, v37, s16 bitop3:0xec
	v_lshlrev_b16_e32 v37, 8, v36
	v_add_u16_e32 v37, 0xe000, v37
	v_lshrrev_b16_e32 v37, 8, v37
	v_bitop3_b16 v36, v36, v37, s16 bitop3:0xec
	v_add_u16_e32 v35, 0xe000, v35
	v_add_u16_sdwa v36, v36, s11 dst_sel:WORD_1 dst_unused:UNUSED_PAD src0_sel:DWORD src1_sel:DWORD
	s_mov_b32 s18, 0
	v_or_b32_e32 v35, v35, v36
	ds_write_b32 v111, v35
	s_waitcnt vmcnt(9)
	v_ashrrev_i32_e32 v35, v175, v150
	v_ashrrev_i32_e32 v36, v51, v162
	v_and_b32_e32 v35, 0xf0f0f0f, v35
	v_lshlrev_b32_e32 v36, 4, v36
	v_and_or_b32 v35, v36, s9, v35
	v_lshlrev_b16_e32 v37, 8, v35
	v_add_u16_e32 v37, 0xe000, v37
	v_lshrrev_b32_e32 v36, 16, v35
	v_lshrrev_b16_e32 v37, 8, v37
	v_bitop3_b16 v35, v35, v37, s16 bitop3:0xec
	v_lshlrev_b16_e32 v37, 8, v36
	v_add_u16_e32 v37, 0xe000, v37
	v_lshrrev_b16_e32 v37, 8, v37
	v_bitop3_b16 v36, v36, v37, s16 bitop3:0xec
	v_add_u16_e32 v35, 0xe000, v35
	v_add_u16_sdwa v36, v36, s11 dst_sel:WORD_1 dst_unused:UNUSED_PAD src0_sel:DWORD src1_sel:DWORD
	s_mov_b32 s22, -2
	v_or_b32_e32 v35, v35, v36
	ds_write_b32 v115, v35
	s_mov_b32 s19, 0
	s_waitcnt vmcnt(8)
	ds_write_b32 v188, v154
	s_waitcnt vmcnt(7)
	ds_write_b32 v135, v158
	s_waitcnt vmcnt(6)
	ds_write_b32 v137, v159
	s_waitcnt vmcnt(5)
	ds_write_b32 v139, v160
	s_waitcnt vmcnt(4)
	ds_write_b32 v141, v156
	s_waitcnt vmcnt(3)
	v_cvt_f32_f16_e32 v35, v38
	s_waitcnt vmcnt(2)
	ds_write_b32 v143, v32
	s_waitcnt vmcnt(1)
	ds_write_b32 v145, v33
	;; [unrolled: 2-line block ×3, first 2 shown]
	ds_write_b32 v87, v35
	s_waitcnt lgkmcnt(0)
	s_barrier
.LBB170_7:                              ;   Parent Loop BB170_6 Depth=1
                                        ; =>  This Inner Loop Header: Depth=2
	s_add_i32 s20, s22, 2
	s_lshr_b32 s24, s20, 4
	s_and_b32 s21, s20, 0x3ffffff8
	v_lshl_add_u32 v154, s21, 2, v177
	s_lshl_b32 s21, s24, 5
	s_addk_i32 s21, 0x4200
	v_lshlrev_b32_e32 v184, 2, v45
	v_add3_u32 v152, s21, v184, v178
	v_add3_u32 v212, s21, v172, v127
	ds_read2_b32 v[156:157], v171 offset1:32
	ds_read_b128 v[36:39], v170
	ds_read_b128 v[32:35], v170 offset:16
	ds_read2_b32 v[158:159], v154 offset1:1
	ds_read2_b32 v[222:223], v212 offset0:6 offset1:7
	ds_read2_b32 v[160:161], v152 offset1:1
	s_and_b32 s23, s19, -16
	s_add_i32 s22, s22, s23
	s_waitcnt lgkmcnt(2)
	v_ashrrev_i32_e32 v148, s20, v158
	v_bfe_u32 v150, v148, 24, 2
	s_waitcnt lgkmcnt(0)
	v_ashrrev_i32_e32 v158, s18, v160
	v_lshlrev_b32_e32 v158, 2, v158
	v_and_b32_e32 v148, 0x3030303, v148
	v_and_b32_e32 v158, 0x4040404, v158
	v_sub_u16_e32 v160, v148, v158
	v_sub_u16_sdwa v162, v148, v158 dst_sel:BYTE_1 dst_unused:UNUSED_PAD src0_sel:BYTE_1 src1_sel:BYTE_1
	v_sub_u16_sdwa v148, v148, v158 dst_sel:DWORD dst_unused:UNUSED_PAD src0_sel:WORD_1 src1_sel:WORD_1
	v_sub_u16_sdwa v150, v150, v158 dst_sel:BYTE_1 dst_unused:UNUSED_PAD src0_sel:DWORD src1_sel:BYTE_3
	v_bitop3_b16 v160, v160, v162, s8 bitop3:0xec
	v_bitop3_b16 v148, v148, v150, s8 bitop3:0xec
	v_lshlrev_b32_e32 v148, 16, v148
	v_or_b32_sdwa v158, v160, v148 dst_sel:DWORD dst_unused:UNUSED_PAD src0_sel:WORD_0 src1_sel:DWORD
	v_ashrrev_i32_e32 v148, s20, v159
	v_ashrrev_i32_e32 v159, s18, v161
	v_lshlrev_b32_e32 v159, 2, v159
	v_bfe_u32 v150, v148, 24, 2
	v_and_b32_e32 v148, 0x3030303, v148
	v_and_b32_e32 v159, 0x4040404, v159
	v_sub_u16_e32 v160, v148, v159
	v_sub_u16_sdwa v161, v148, v159 dst_sel:BYTE_1 dst_unused:UNUSED_PAD src0_sel:BYTE_1 src1_sel:BYTE_1
	v_sub_u16_sdwa v148, v148, v159 dst_sel:DWORD dst_unused:UNUSED_PAD src0_sel:WORD_1 src1_sel:WORD_1
	v_sub_u16_sdwa v150, v150, v159 dst_sel:BYTE_1 dst_unused:UNUSED_PAD src0_sel:DWORD src1_sel:BYTE_3
	v_bitop3_b16 v160, v160, v161, s8 bitop3:0xec
	v_bitop3_b16 v148, v148, v150, s8 bitop3:0xec
	v_lshlrev_b32_e32 v148, 16, v148
	v_or_b32_sdwa v159, v160, v148 dst_sel:DWORD dst_unused:UNUSED_PAD src0_sel:WORD_0 src1_sel:DWORD
	ds_read2_b32 v[160:161], v154 offset0:2 offset1:3
	ds_read2_b32 v[162:163], v152 offset0:2 offset1:3
	s_lshl_b32 s23, s24, 2
	s_add_i32 s23, s23, 0x9380
	v_lshlrev_b32_e32 v185, 2, v40
	s_waitcnt lgkmcnt(1)
	v_ashrrev_i32_e32 v148, s20, v160
	s_waitcnt lgkmcnt(0)
	v_ashrrev_i32_e32 v160, s18, v162
	v_lshlrev_b32_e32 v160, 2, v160
	v_bfe_u32 v150, v148, 24, 2
	v_and_b32_e32 v148, 0x3030303, v148
	v_and_b32_e32 v160, 0x4040404, v160
	v_sub_u16_e32 v162, v148, v160
	v_sub_u16_sdwa v164, v148, v160 dst_sel:BYTE_1 dst_unused:UNUSED_PAD src0_sel:BYTE_1 src1_sel:BYTE_1
	v_sub_u16_sdwa v148, v148, v160 dst_sel:DWORD dst_unused:UNUSED_PAD src0_sel:WORD_1 src1_sel:WORD_1
	v_sub_u16_sdwa v150, v150, v160 dst_sel:BYTE_1 dst_unused:UNUSED_PAD src0_sel:DWORD src1_sel:BYTE_3
	v_bitop3_b16 v162, v162, v164, s8 bitop3:0xec
	v_bitop3_b16 v148, v148, v150, s8 bitop3:0xec
	v_lshlrev_b32_e32 v148, 16, v148
	v_or_b32_sdwa v160, v162, v148 dst_sel:DWORD dst_unused:UNUSED_PAD src0_sel:WORD_0 src1_sel:DWORD
	v_ashrrev_i32_e32 v148, s20, v161
	v_ashrrev_i32_e32 v161, s18, v163
	v_lshlrev_b32_e32 v161, 2, v161
	v_bfe_u32 v150, v148, 24, 2
	v_and_b32_e32 v148, 0x3030303, v148
	v_and_b32_e32 v161, 0x4040404, v161
	v_sub_u16_e32 v162, v148, v161
	v_sub_u16_sdwa v163, v148, v161 dst_sel:BYTE_1 dst_unused:UNUSED_PAD src0_sel:BYTE_1 src1_sel:BYTE_1
	v_sub_u16_sdwa v148, v148, v161 dst_sel:DWORD dst_unused:UNUSED_PAD src0_sel:WORD_1 src1_sel:WORD_1
	v_sub_u16_sdwa v150, v150, v161 dst_sel:BYTE_1 dst_unused:UNUSED_PAD src0_sel:DWORD src1_sel:BYTE_3
	v_bitop3_b16 v162, v162, v163, s8 bitop3:0xec
	v_bitop3_b16 v148, v148, v150, s8 bitop3:0xec
	v_lshlrev_b32_e32 v148, 16, v148
	v_or_b32_sdwa v161, v162, v148 dst_sel:DWORD dst_unused:UNUSED_PAD src0_sel:WORD_0 src1_sel:DWORD
	ds_read2_b32 v[162:163], v154 offset0:4 offset1:5
	ds_read2_b32 v[164:165], v152 offset0:4 offset1:5
	v_lshlrev_b32_e32 v186, 2, v174
	v_add3_u32 v169, s21, v149, v113
	ds_read2_b32 v[192:193], v169 offset1:1
	s_waitcnt lgkmcnt(2)
	v_ashrrev_i32_e32 v148, s20, v162
	s_waitcnt lgkmcnt(1)
	v_ashrrev_i32_e32 v162, s18, v164
	v_lshlrev_b32_e32 v162, 2, v162
	v_bfe_u32 v150, v148, 24, 2
	v_and_b32_e32 v148, 0x3030303, v148
	v_and_b32_e32 v162, 0x4040404, v162
	v_sub_u16_e32 v164, v148, v162
	v_sub_u16_sdwa v166, v148, v162 dst_sel:BYTE_1 dst_unused:UNUSED_PAD src0_sel:BYTE_1 src1_sel:BYTE_1
	v_sub_u16_sdwa v148, v148, v162 dst_sel:DWORD dst_unused:UNUSED_PAD src0_sel:WORD_1 src1_sel:WORD_1
	v_sub_u16_sdwa v150, v150, v162 dst_sel:BYTE_1 dst_unused:UNUSED_PAD src0_sel:DWORD src1_sel:BYTE_3
	v_bitop3_b16 v164, v164, v166, s8 bitop3:0xec
	v_bitop3_b16 v148, v148, v150, s8 bitop3:0xec
	v_lshlrev_b32_e32 v148, 16, v148
	v_or_b32_sdwa v162, v164, v148 dst_sel:DWORD dst_unused:UNUSED_PAD src0_sel:WORD_0 src1_sel:DWORD
	v_ashrrev_i32_e32 v148, s20, v163
	v_ashrrev_i32_e32 v163, s18, v165
	v_lshlrev_b32_e32 v163, 2, v163
	v_bfe_u32 v150, v148, 24, 2
	v_and_b32_e32 v148, 0x3030303, v148
	v_and_b32_e32 v163, 0x4040404, v163
	v_sub_u16_e32 v164, v148, v163
	v_sub_u16_sdwa v165, v148, v163 dst_sel:BYTE_1 dst_unused:UNUSED_PAD src0_sel:BYTE_1 src1_sel:BYTE_1
	v_sub_u16_sdwa v148, v148, v163 dst_sel:DWORD dst_unused:UNUSED_PAD src0_sel:WORD_1 src1_sel:WORD_1
	v_sub_u16_sdwa v150, v150, v163 dst_sel:BYTE_1 dst_unused:UNUSED_PAD src0_sel:DWORD src1_sel:BYTE_3
	v_bitop3_b16 v164, v164, v165, s8 bitop3:0xec
	v_bitop3_b16 v148, v148, v150, s8 bitop3:0xec
	v_lshlrev_b32_e32 v148, 16, v148
	v_or_b32_sdwa v163, v164, v148 dst_sel:DWORD dst_unused:UNUSED_PAD src0_sel:WORD_0 src1_sel:DWORD
	ds_read2_b32 v[164:165], v154 offset0:6 offset1:7
	ds_read2_b32 v[166:167], v152 offset0:6 offset1:7
	s_waitcnt lgkmcnt(2)
	v_ashrrev_i32_e32 v189, s18, v192
	v_lshlrev_b32_e32 v189, 2, v189
	v_and_b32_e32 v189, 0x4040404, v189
	s_waitcnt lgkmcnt(1)
	v_ashrrev_i32_e32 v148, s20, v164
	s_waitcnt lgkmcnt(0)
	v_ashrrev_i32_e32 v152, s18, v166
	v_lshlrev_b32_e32 v152, 2, v152
	v_bfe_u32 v150, v148, 24, 2
	v_and_b32_e32 v148, 0x3030303, v148
	v_and_b32_e32 v152, 0x4040404, v152
	v_sub_u16_e32 v164, v148, v152
	v_sub_u16_sdwa v166, v148, v152 dst_sel:BYTE_1 dst_unused:UNUSED_PAD src0_sel:BYTE_1 src1_sel:BYTE_1
	v_sub_u16_sdwa v148, v148, v152 dst_sel:DWORD dst_unused:UNUSED_PAD src0_sel:WORD_1 src1_sel:WORD_1
	v_sub_u16_sdwa v150, v150, v152 dst_sel:BYTE_1 dst_unused:UNUSED_PAD src0_sel:DWORD src1_sel:BYTE_3
	v_bitop3_b16 v164, v164, v166, s8 bitop3:0xec
	v_bitop3_b16 v148, v148, v150, s8 bitop3:0xec
	v_lshlrev_b32_e32 v148, 16, v148
	v_ashrrev_i32_e32 v152, s18, v167
	v_or_b32_sdwa v164, v164, v148 dst_sel:DWORD dst_unused:UNUSED_PAD src0_sel:WORD_0 src1_sel:DWORD
	v_ashrrev_i32_e32 v148, s20, v165
	v_lshlrev_b32_e32 v152, 2, v152
	v_bfe_u32 v150, v148, 24, 2
	v_and_b32_e32 v148, 0x3030303, v148
	v_and_b32_e32 v152, 0x4040404, v152
	v_sub_u16_e32 v165, v148, v152
	v_sub_u16_sdwa v166, v148, v152 dst_sel:BYTE_1 dst_unused:UNUSED_PAD src0_sel:BYTE_1 src1_sel:BYTE_1
	v_sub_u16_sdwa v148, v148, v152 dst_sel:DWORD dst_unused:UNUSED_PAD src0_sel:WORD_1 src1_sel:WORD_1
	v_sub_u16_sdwa v150, v150, v152 dst_sel:BYTE_1 dst_unused:UNUSED_PAD src0_sel:DWORD src1_sel:BYTE_3
	v_bitop3_b16 v165, v165, v166, s8 bitop3:0xec
	v_bitop3_b16 v148, v148, v150, s8 bitop3:0xec
	v_lshlrev_b32_e32 v148, 16, v148
	v_or_b32_sdwa v165, v165, v148 dst_sel:DWORD dst_unused:UNUSED_PAD src0_sel:WORD_0 src1_sel:DWORD
	v_add3_u32 v148, s23, v185, v186
	v_add_u32_e32 v150, 0x1080, v154
	ds_read_b32 v148, v148
	ds_read2_b32 v[190:191], v150 offset1:1
	ds_read2_b32 v[194:195], v169 offset0:2 offset1:3
	ds_read2_b32 v[196:197], v169 offset0:4 offset1:5
	;; [unrolled: 1-line block ×3, first 2 shown]
	v_add3_u32 v206, s21, v153, v121
	s_waitcnt lgkmcnt(3)
	v_ashrrev_i32_e32 v150, s20, v190
	v_bfe_u32 v152, v150, 24, 2
	v_and_b32_e32 v150, 0x3030303, v150
	v_sub_u16_e32 v190, v150, v189
	v_sub_u16_sdwa v192, v150, v189 dst_sel:BYTE_1 dst_unused:UNUSED_PAD src0_sel:BYTE_1 src1_sel:BYTE_1
	v_sub_u16_sdwa v150, v150, v189 dst_sel:DWORD dst_unused:UNUSED_PAD src0_sel:WORD_1 src1_sel:WORD_1
	v_sub_u16_sdwa v152, v152, v189 dst_sel:BYTE_1 dst_unused:UNUSED_PAD src0_sel:DWORD src1_sel:BYTE_3
	v_bitop3_b16 v190, v190, v192, s8 bitop3:0xec
	v_bitop3_b16 v150, v150, v152, s8 bitop3:0xec
	v_lshlrev_b32_e32 v150, 16, v150
	v_or_b32_sdwa v189, v190, v150 dst_sel:DWORD dst_unused:UNUSED_PAD src0_sel:WORD_0 src1_sel:DWORD
	v_ashrrev_i32_e32 v190, s18, v193
	v_ashrrev_i32_e32 v150, s20, v191
	v_lshlrev_b32_e32 v190, 2, v190
	v_bfe_u32 v152, v150, 24, 2
	v_and_b32_e32 v150, 0x3030303, v150
	v_and_b32_e32 v190, 0x4040404, v190
	v_sub_u16_e32 v191, v150, v190
	v_sub_u16_sdwa v192, v150, v190 dst_sel:BYTE_1 dst_unused:UNUSED_PAD src0_sel:BYTE_1 src1_sel:BYTE_1
	v_sub_u16_sdwa v150, v150, v190 dst_sel:DWORD dst_unused:UNUSED_PAD src0_sel:WORD_1 src1_sel:WORD_1
	v_sub_u16_sdwa v152, v152, v190 dst_sel:BYTE_1 dst_unused:UNUSED_PAD src0_sel:DWORD src1_sel:BYTE_3
	v_bitop3_b16 v191, v191, v192, s8 bitop3:0xec
	v_bitop3_b16 v150, v150, v152, s8 bitop3:0xec
	v_lshlrev_b32_e32 v150, 16, v150
	v_or_b32_sdwa v190, v191, v150 dst_sel:DWORD dst_unused:UNUSED_PAD src0_sel:WORD_0 src1_sel:DWORD
	v_add_u32_e32 v150, 0x1088, v154
	ds_read2_b32 v[192:193], v150 offset1:1
	s_waitcnt lgkmcnt(3)
	v_ashrrev_i32_e32 v191, s18, v194
	v_lshlrev_b32_e32 v191, 2, v191
	v_and_b32_e32 v191, 0x4040404, v191
	s_waitcnt lgkmcnt(1)
	v_ashrrev_i32_e32 v169, s18, v198
	s_waitcnt lgkmcnt(0)
	v_ashrrev_i32_e32 v150, s20, v192
	v_bfe_u32 v152, v150, 24, 2
	v_and_b32_e32 v150, 0x3030303, v150
	v_sub_u16_e32 v192, v150, v191
	v_sub_u16_sdwa v194, v150, v191 dst_sel:BYTE_1 dst_unused:UNUSED_PAD src0_sel:BYTE_1 src1_sel:BYTE_1
	v_sub_u16_sdwa v150, v150, v191 dst_sel:DWORD dst_unused:UNUSED_PAD src0_sel:WORD_1 src1_sel:WORD_1
	v_sub_u16_sdwa v152, v152, v191 dst_sel:BYTE_1 dst_unused:UNUSED_PAD src0_sel:DWORD src1_sel:BYTE_3
	v_bitop3_b16 v192, v192, v194, s8 bitop3:0xec
	v_bitop3_b16 v150, v150, v152, s8 bitop3:0xec
	v_lshlrev_b32_e32 v150, 16, v150
	v_or_b32_sdwa v191, v192, v150 dst_sel:DWORD dst_unused:UNUSED_PAD src0_sel:WORD_0 src1_sel:DWORD
	v_ashrrev_i32_e32 v192, s18, v195
	v_ashrrev_i32_e32 v150, s20, v193
	v_lshlrev_b32_e32 v192, 2, v192
	v_bfe_u32 v152, v150, 24, 2
	v_and_b32_e32 v150, 0x3030303, v150
	v_and_b32_e32 v192, 0x4040404, v192
	v_sub_u16_e32 v193, v150, v192
	v_sub_u16_sdwa v194, v150, v192 dst_sel:BYTE_1 dst_unused:UNUSED_PAD src0_sel:BYTE_1 src1_sel:BYTE_1
	v_sub_u16_sdwa v150, v150, v192 dst_sel:DWORD dst_unused:UNUSED_PAD src0_sel:WORD_1 src1_sel:WORD_1
	v_sub_u16_sdwa v152, v152, v192 dst_sel:BYTE_1 dst_unused:UNUSED_PAD src0_sel:DWORD src1_sel:BYTE_3
	v_bitop3_b16 v193, v193, v194, s8 bitop3:0xec
	v_bitop3_b16 v150, v150, v152, s8 bitop3:0xec
	v_lshlrev_b32_e32 v150, 16, v150
	v_or_b32_sdwa v192, v193, v150 dst_sel:DWORD dst_unused:UNUSED_PAD src0_sel:WORD_0 src1_sel:DWORD
	v_add_u32_e32 v150, 0x1090, v154
	ds_read2_b32 v[194:195], v150 offset1:1
	v_ashrrev_i32_e32 v193, s18, v196
	v_lshlrev_b32_e32 v193, 2, v193
	v_and_b32_e32 v193, 0x4040404, v193
	v_lshlrev_b32_e32 v169, 2, v169
	s_waitcnt lgkmcnt(0)
	v_ashrrev_i32_e32 v150, s20, v194
	v_bfe_u32 v152, v150, 24, 2
	v_and_b32_e32 v150, 0x3030303, v150
	v_sub_u16_e32 v194, v150, v193
	v_sub_u16_sdwa v196, v150, v193 dst_sel:BYTE_1 dst_unused:UNUSED_PAD src0_sel:BYTE_1 src1_sel:BYTE_1
	v_sub_u16_sdwa v150, v150, v193 dst_sel:DWORD dst_unused:UNUSED_PAD src0_sel:WORD_1 src1_sel:WORD_1
	v_sub_u16_sdwa v152, v152, v193 dst_sel:BYTE_1 dst_unused:UNUSED_PAD src0_sel:DWORD src1_sel:BYTE_3
	v_bitop3_b16 v194, v194, v196, s8 bitop3:0xec
	v_bitop3_b16 v150, v150, v152, s8 bitop3:0xec
	v_lshlrev_b32_e32 v150, 16, v150
	v_or_b32_sdwa v193, v194, v150 dst_sel:DWORD dst_unused:UNUSED_PAD src0_sel:WORD_0 src1_sel:DWORD
	v_ashrrev_i32_e32 v194, s18, v197
	v_ashrrev_i32_e32 v150, s20, v195
	v_lshlrev_b32_e32 v194, 2, v194
	v_bfe_u32 v152, v150, 24, 2
	v_and_b32_e32 v150, 0x3030303, v150
	v_and_b32_e32 v194, 0x4040404, v194
	v_sub_u16_e32 v195, v150, v194
	v_sub_u16_sdwa v196, v150, v194 dst_sel:BYTE_1 dst_unused:UNUSED_PAD src0_sel:BYTE_1 src1_sel:BYTE_1
	v_sub_u16_sdwa v150, v150, v194 dst_sel:DWORD dst_unused:UNUSED_PAD src0_sel:WORD_1 src1_sel:WORD_1
	v_sub_u16_sdwa v152, v152, v194 dst_sel:BYTE_1 dst_unused:UNUSED_PAD src0_sel:DWORD src1_sel:BYTE_3
	v_bitop3_b16 v195, v195, v196, s8 bitop3:0xec
	v_bitop3_b16 v150, v150, v152, s8 bitop3:0xec
	v_lshlrev_b32_e32 v150, 16, v150
	v_or_b32_sdwa v194, v195, v150 dst_sel:DWORD dst_unused:UNUSED_PAD src0_sel:WORD_0 src1_sel:DWORD
	v_add_u32_e32 v150, 0x1098, v154
	ds_read2_b32 v[196:197], v150 offset1:1
	v_and_b32_e32 v169, 0x4040404, v169
	ds_read2_b32 v[200:201], v206 offset1:1
	v_mov_b32_e32 v167, 0
	v_mov_b32_e32 v168, 0
	s_waitcnt lgkmcnt(1)
	v_ashrrev_i32_e32 v150, s20, v196
	v_bfe_u32 v152, v150, 24, 2
	v_and_b32_e32 v150, 0x3030303, v150
	v_sub_u16_e32 v195, v150, v169
	v_sub_u16_sdwa v196, v150, v169 dst_sel:BYTE_1 dst_unused:UNUSED_PAD src0_sel:BYTE_1 src1_sel:BYTE_1
	v_sub_u16_sdwa v150, v150, v169 dst_sel:DWORD dst_unused:UNUSED_PAD src0_sel:WORD_1 src1_sel:WORD_1
	v_sub_u16_sdwa v152, v152, v169 dst_sel:BYTE_1 dst_unused:UNUSED_PAD src0_sel:DWORD src1_sel:BYTE_3
	v_bitop3_b16 v195, v195, v196, s8 bitop3:0xec
	v_bitop3_b16 v150, v150, v152, s8 bitop3:0xec
	v_lshlrev_b32_e32 v150, 16, v150
	v_ashrrev_i32_e32 v169, s18, v199
	v_or_b32_sdwa v195, v195, v150 dst_sel:DWORD dst_unused:UNUSED_PAD src0_sel:WORD_0 src1_sel:DWORD
	v_ashrrev_i32_e32 v150, s20, v197
	v_lshlrev_b32_e32 v169, 2, v169
	v_bfe_u32 v152, v150, 24, 2
	v_and_b32_e32 v150, 0x3030303, v150
	v_and_b32_e32 v169, 0x4040404, v169
	v_sub_u16_e32 v196, v150, v169
	v_sub_u16_sdwa v197, v150, v169 dst_sel:BYTE_1 dst_unused:UNUSED_PAD src0_sel:BYTE_1 src1_sel:BYTE_1
	v_sub_u16_sdwa v150, v150, v169 dst_sel:DWORD dst_unused:UNUSED_PAD src0_sel:WORD_1 src1_sel:WORD_1
	v_sub_u16_sdwa v152, v152, v169 dst_sel:BYTE_1 dst_unused:UNUSED_PAD src0_sel:DWORD src1_sel:BYTE_3
	v_bitop3_b16 v196, v196, v197, s8 bitop3:0xec
	v_bitop3_b16 v150, v150, v152, s8 bitop3:0xec
	v_lshlrev_b32_e32 v150, 16, v150
	v_or_b32_sdwa v196, v196, v150 dst_sel:DWORD dst_unused:UNUSED_PAD src0_sel:WORD_0 src1_sel:DWORD
	v_add3_u32 v150, s23, v151, v117
	v_add_u32_e32 v152, 0x2100, v154
	ds_read_b32 v150, v150
	ds_read2_b32 v[198:199], v152 offset1:1
	v_mov_b32_e32 v213, 0
	v_mov_b32_e32 v214, 0
	;; [unrolled: 1-line block ×4, first 2 shown]
	s_waitcnt lgkmcnt(0)
	v_ashrrev_i32_e32 v152, s20, v198
	v_ashrrev_i32_e32 v198, s18, v200
	v_lshlrev_b32_e32 v198, 2, v198
	v_bfe_u32 v197, v152, 24, 2
	v_and_b32_e32 v152, 0x3030303, v152
	v_and_b32_e32 v198, 0x4040404, v198
	v_sub_u16_e32 v200, v152, v198
	v_sub_u16_sdwa v202, v152, v198 dst_sel:BYTE_1 dst_unused:UNUSED_PAD src0_sel:BYTE_1 src1_sel:BYTE_1
	v_sub_u16_sdwa v152, v152, v198 dst_sel:DWORD dst_unused:UNUSED_PAD src0_sel:WORD_1 src1_sel:WORD_1
	v_sub_u16_sdwa v197, v197, v198 dst_sel:BYTE_1 dst_unused:UNUSED_PAD src0_sel:DWORD src1_sel:BYTE_3
	v_bitop3_b16 v200, v200, v202, s8 bitop3:0xec
	v_bitop3_b16 v152, v152, v197, s8 bitop3:0xec
	v_lshlrev_b32_e32 v152, 16, v152
	v_or_b32_sdwa v197, v200, v152 dst_sel:DWORD dst_unused:UNUSED_PAD src0_sel:WORD_0 src1_sel:DWORD
	v_ashrrev_i32_e32 v152, s20, v199
	v_ashrrev_i32_e32 v199, s18, v201
	v_lshlrev_b32_e32 v199, 2, v199
	v_bfe_u32 v198, v152, 24, 2
	v_and_b32_e32 v152, 0x3030303, v152
	v_and_b32_e32 v199, 0x4040404, v199
	v_sub_u16_e32 v200, v152, v199
	v_sub_u16_sdwa v201, v152, v199 dst_sel:BYTE_1 dst_unused:UNUSED_PAD src0_sel:BYTE_1 src1_sel:BYTE_1
	v_sub_u16_sdwa v152, v152, v199 dst_sel:DWORD dst_unused:UNUSED_PAD src0_sel:WORD_1 src1_sel:WORD_1
	v_sub_u16_sdwa v198, v198, v199 dst_sel:BYTE_1 dst_unused:UNUSED_PAD src0_sel:DWORD src1_sel:BYTE_3
	v_bitop3_b16 v200, v200, v201, s8 bitop3:0xec
	v_bitop3_b16 v152, v152, v198, s8 bitop3:0xec
	v_lshlrev_b32_e32 v152, 16, v152
	v_or_b32_sdwa v198, v200, v152 dst_sel:DWORD dst_unused:UNUSED_PAD src0_sel:WORD_0 src1_sel:DWORD
	v_add_u32_e32 v152, 0x2108, v154
	ds_read2_b32 v[200:201], v152 offset1:1
	ds_read2_b32 v[202:203], v206 offset0:2 offset1:3
	v_mov_b32_e32 v236, 0
	v_dot4c_i32_i8_e32 v167, v158, v36
	v_dot4c_i32_i8_e32 v168, v162, v32
	s_waitcnt lgkmcnt(1)
	v_ashrrev_i32_e32 v152, s20, v200
	s_waitcnt lgkmcnt(0)
	v_ashrrev_i32_e32 v200, s18, v202
	v_lshlrev_b32_e32 v200, 2, v200
	v_bfe_u32 v199, v152, 24, 2
	v_and_b32_e32 v152, 0x3030303, v152
	v_and_b32_e32 v200, 0x4040404, v200
	v_sub_u16_e32 v202, v152, v200
	v_sub_u16_sdwa v204, v152, v200 dst_sel:BYTE_1 dst_unused:UNUSED_PAD src0_sel:BYTE_1 src1_sel:BYTE_1
	v_sub_u16_sdwa v152, v152, v200 dst_sel:DWORD dst_unused:UNUSED_PAD src0_sel:WORD_1 src1_sel:WORD_1
	v_sub_u16_sdwa v199, v199, v200 dst_sel:BYTE_1 dst_unused:UNUSED_PAD src0_sel:DWORD src1_sel:BYTE_3
	v_bitop3_b16 v202, v202, v204, s8 bitop3:0xec
	v_bitop3_b16 v152, v152, v199, s8 bitop3:0xec
	v_lshlrev_b32_e32 v152, 16, v152
	v_or_b32_sdwa v199, v202, v152 dst_sel:DWORD dst_unused:UNUSED_PAD src0_sel:WORD_0 src1_sel:DWORD
	v_ashrrev_i32_e32 v152, s20, v201
	v_ashrrev_i32_e32 v201, s18, v203
	v_lshlrev_b32_e32 v201, 2, v201
	v_bfe_u32 v200, v152, 24, 2
	v_and_b32_e32 v152, 0x3030303, v152
	v_and_b32_e32 v201, 0x4040404, v201
	v_sub_u16_e32 v202, v152, v201
	v_sub_u16_sdwa v203, v152, v201 dst_sel:BYTE_1 dst_unused:UNUSED_PAD src0_sel:BYTE_1 src1_sel:BYTE_1
	v_sub_u16_sdwa v152, v152, v201 dst_sel:DWORD dst_unused:UNUSED_PAD src0_sel:WORD_1 src1_sel:WORD_1
	v_sub_u16_sdwa v200, v200, v201 dst_sel:BYTE_1 dst_unused:UNUSED_PAD src0_sel:DWORD src1_sel:BYTE_3
	v_bitop3_b16 v202, v202, v203, s8 bitop3:0xec
	v_bitop3_b16 v152, v152, v200, s8 bitop3:0xec
	v_lshlrev_b32_e32 v152, 16, v152
	v_or_b32_sdwa v200, v202, v152 dst_sel:DWORD dst_unused:UNUSED_PAD src0_sel:WORD_0 src1_sel:DWORD
	v_add_u32_e32 v152, 0x2110, v154
	ds_read2_b32 v[202:203], v152 offset1:1
	ds_read2_b32 v[204:205], v206 offset0:4 offset1:5
	v_dot4c_i32_i8_e32 v213, v189, v36
	v_dot4c_i32_i8_e32 v214, v193, v32
	;; [unrolled: 1-line block ×3, first 2 shown]
	s_waitcnt lgkmcnt(1)
	v_ashrrev_i32_e32 v152, s20, v202
	s_waitcnt lgkmcnt(0)
	v_ashrrev_i32_e32 v202, s18, v204
	v_lshlrev_b32_e32 v202, 2, v202
	v_bfe_u32 v201, v152, 24, 2
	v_and_b32_e32 v152, 0x3030303, v152
	v_and_b32_e32 v202, 0x4040404, v202
	v_sub_u16_e32 v204, v152, v202
	v_sub_u16_sdwa v207, v152, v202 dst_sel:BYTE_1 dst_unused:UNUSED_PAD src0_sel:BYTE_1 src1_sel:BYTE_1
	v_sub_u16_sdwa v152, v152, v202 dst_sel:DWORD dst_unused:UNUSED_PAD src0_sel:WORD_1 src1_sel:WORD_1
	v_sub_u16_sdwa v201, v201, v202 dst_sel:BYTE_1 dst_unused:UNUSED_PAD src0_sel:DWORD src1_sel:BYTE_3
	v_bitop3_b16 v204, v204, v207, s8 bitop3:0xec
	v_bitop3_b16 v152, v152, v201, s8 bitop3:0xec
	v_lshlrev_b32_e32 v152, 16, v152
	v_or_b32_sdwa v201, v204, v152 dst_sel:DWORD dst_unused:UNUSED_PAD src0_sel:WORD_0 src1_sel:DWORD
	v_ashrrev_i32_e32 v152, s20, v203
	v_ashrrev_i32_e32 v203, s18, v205
	v_lshlrev_b32_e32 v203, 2, v203
	v_bfe_u32 v202, v152, 24, 2
	v_and_b32_e32 v152, 0x3030303, v152
	v_and_b32_e32 v203, 0x4040404, v203
	v_sub_u16_e32 v204, v152, v203
	v_sub_u16_sdwa v205, v152, v203 dst_sel:BYTE_1 dst_unused:UNUSED_PAD src0_sel:BYTE_1 src1_sel:BYTE_1
	v_sub_u16_sdwa v152, v152, v203 dst_sel:DWORD dst_unused:UNUSED_PAD src0_sel:WORD_1 src1_sel:WORD_1
	v_sub_u16_sdwa v202, v202, v203 dst_sel:BYTE_1 dst_unused:UNUSED_PAD src0_sel:DWORD src1_sel:BYTE_3
	v_bitop3_b16 v204, v204, v205, s8 bitop3:0xec
	v_bitop3_b16 v152, v152, v202, s8 bitop3:0xec
	v_lshlrev_b32_e32 v152, 16, v152
	v_or_b32_sdwa v202, v204, v152 dst_sel:DWORD dst_unused:UNUSED_PAD src0_sel:WORD_0 src1_sel:DWORD
	v_add_u32_e32 v152, 0x2118, v154
	ds_read2_b32 v[204:205], v152 offset1:1
	ds_read2_b32 v[206:207], v206 offset0:6 offset1:7
	v_dot4c_i32_i8_e32 v221, v201, v32
	v_dot4c_i32_i8_e32 v167, v159, v37
	;; [unrolled: 1-line block ×3, first 2 shown]
	s_waitcnt lgkmcnt(1)
	v_ashrrev_i32_e32 v152, s20, v204
	s_waitcnt lgkmcnt(0)
	v_ashrrev_i32_e32 v204, s18, v206
	v_lshlrev_b32_e32 v204, 2, v204
	v_bfe_u32 v203, v152, 24, 2
	v_and_b32_e32 v152, 0x3030303, v152
	v_and_b32_e32 v204, 0x4040404, v204
	v_sub_u16_e32 v206, v152, v204
	v_sub_u16_sdwa v208, v152, v204 dst_sel:BYTE_1 dst_unused:UNUSED_PAD src0_sel:BYTE_1 src1_sel:BYTE_1
	v_sub_u16_sdwa v152, v152, v204 dst_sel:DWORD dst_unused:UNUSED_PAD src0_sel:WORD_1 src1_sel:WORD_1
	v_sub_u16_sdwa v203, v203, v204 dst_sel:BYTE_1 dst_unused:UNUSED_PAD src0_sel:DWORD src1_sel:BYTE_3
	v_bitop3_b16 v206, v206, v208, s8 bitop3:0xec
	v_bitop3_b16 v152, v152, v203, s8 bitop3:0xec
	v_lshlrev_b32_e32 v152, 16, v152
	v_or_b32_sdwa v203, v206, v152 dst_sel:DWORD dst_unused:UNUSED_PAD src0_sel:WORD_0 src1_sel:DWORD
	v_ashrrev_i32_e32 v152, s20, v205
	v_ashrrev_i32_e32 v205, s18, v207
	v_lshlrev_b32_e32 v205, 2, v205
	v_bfe_u32 v204, v152, 24, 2
	v_and_b32_e32 v152, 0x3030303, v152
	v_and_b32_e32 v205, 0x4040404, v205
	v_sub_u16_e32 v206, v152, v205
	v_sub_u16_sdwa v207, v152, v205 dst_sel:BYTE_1 dst_unused:UNUSED_PAD src0_sel:BYTE_1 src1_sel:BYTE_1
	v_sub_u16_sdwa v152, v152, v205 dst_sel:DWORD dst_unused:UNUSED_PAD src0_sel:WORD_1 src1_sel:WORD_1
	v_sub_u16_sdwa v204, v204, v205 dst_sel:BYTE_1 dst_unused:UNUSED_PAD src0_sel:DWORD src1_sel:BYTE_3
	v_bitop3_b16 v206, v206, v207, s8 bitop3:0xec
	v_bitop3_b16 v152, v152, v204, s8 bitop3:0xec
	v_lshlrev_b32_e32 v152, 16, v152
	v_add_u32_e32 v205, 0x3180, v154
	v_or_b32_sdwa v204, v206, v152 dst_sel:DWORD dst_unused:UNUSED_PAD src0_sel:WORD_0 src1_sel:DWORD
	ds_read2_b32 v[206:207], v205 offset1:1
	ds_read2_b32 v[208:209], v212 offset1:1
	v_add3_u32 v152, s23, v155, v123
	ds_read_b32 v152, v152
	v_dot4c_i32_i8_e32 v213, v190, v37
	s_waitcnt lgkmcnt(2)
	v_ashrrev_i32_e32 v205, s20, v206
	s_waitcnt lgkmcnt(1)
	v_ashrrev_i32_e32 v208, s18, v208
	v_lshlrev_b32_e32 v208, 2, v208
	v_bfe_u32 v206, v205, 24, 2
	v_and_b32_e32 v205, 0x3030303, v205
	v_and_b32_e32 v208, 0x4040404, v208
	v_sub_u16_e32 v210, v205, v208
	v_sub_u16_sdwa v211, v205, v208 dst_sel:BYTE_1 dst_unused:UNUSED_PAD src0_sel:BYTE_1 src1_sel:BYTE_1
	v_sub_u16_sdwa v205, v205, v208 dst_sel:DWORD dst_unused:UNUSED_PAD src0_sel:WORD_1 src1_sel:WORD_1
	v_sub_u16_sdwa v206, v206, v208 dst_sel:BYTE_1 dst_unused:UNUSED_PAD src0_sel:DWORD src1_sel:BYTE_3
	v_ashrrev_i32_e32 v208, s18, v209
	v_bitop3_b16 v205, v205, v206, s8 bitop3:0xec
	v_ashrrev_i32_e32 v206, s20, v207
	v_lshlrev_b32_e32 v208, 2, v208
	v_bitop3_b16 v210, v210, v211, s8 bitop3:0xec
	v_lshlrev_b32_e32 v205, 16, v205
	v_bfe_u32 v207, v206, 24, 2
	v_and_b32_e32 v206, 0x3030303, v206
	v_and_b32_e32 v208, 0x4040404, v208
	v_or_b32_sdwa v205, v210, v205 dst_sel:DWORD dst_unused:UNUSED_PAD src0_sel:WORD_0 src1_sel:DWORD
	v_sub_u16_e32 v209, v206, v208
	v_sub_u16_sdwa v210, v206, v208 dst_sel:BYTE_1 dst_unused:UNUSED_PAD src0_sel:BYTE_1 src1_sel:BYTE_1
	v_sub_u16_sdwa v206, v206, v208 dst_sel:DWORD dst_unused:UNUSED_PAD src0_sel:WORD_1 src1_sel:WORD_1
	v_sub_u16_sdwa v207, v207, v208 dst_sel:BYTE_1 dst_unused:UNUSED_PAD src0_sel:DWORD src1_sel:BYTE_3
	v_bitop3_b16 v209, v209, v210, s8 bitop3:0xec
	v_bitop3_b16 v206, v206, v207, s8 bitop3:0xec
	v_lshlrev_b32_e32 v206, 16, v206
	v_add_u32_e32 v207, 0x3188, v154
	v_or_b32_sdwa v206, v209, v206 dst_sel:DWORD dst_unused:UNUSED_PAD src0_sel:WORD_0 src1_sel:DWORD
	ds_read2_b32 v[208:209], v207 offset1:1
	ds_read2_b32 v[210:211], v212 offset0:2 offset1:3
	v_dot4c_i32_i8_e32 v214, v194, v33
	v_dot4c_i32_i8_e32 v219, v198, v37
	;; [unrolled: 1-line block ×3, first 2 shown]
	s_waitcnt lgkmcnt(1)
	v_ashrrev_i32_e32 v207, s20, v208
	s_waitcnt lgkmcnt(0)
	v_ashrrev_i32_e32 v210, s18, v210
	v_lshlrev_b32_e32 v210, 2, v210
	v_bfe_u32 v208, v207, 24, 2
	v_and_b32_e32 v207, 0x3030303, v207
	v_and_b32_e32 v210, 0x4040404, v210
	v_sub_u16_e32 v216, v207, v210
	v_sub_u16_sdwa v217, v207, v210 dst_sel:BYTE_1 dst_unused:UNUSED_PAD src0_sel:BYTE_1 src1_sel:BYTE_1
	v_sub_u16_sdwa v207, v207, v210 dst_sel:DWORD dst_unused:UNUSED_PAD src0_sel:WORD_1 src1_sel:WORD_1
	v_sub_u16_sdwa v208, v208, v210 dst_sel:BYTE_1 dst_unused:UNUSED_PAD src0_sel:DWORD src1_sel:BYTE_3
	v_ashrrev_i32_e32 v210, s18, v211
	v_bitop3_b16 v207, v207, v208, s8 bitop3:0xec
	v_ashrrev_i32_e32 v208, s20, v209
	v_lshlrev_b32_e32 v210, 2, v210
	v_bitop3_b16 v216, v216, v217, s8 bitop3:0xec
	v_lshlrev_b32_e32 v207, 16, v207
	v_bfe_u32 v209, v208, 24, 2
	v_and_b32_e32 v208, 0x3030303, v208
	v_and_b32_e32 v210, 0x4040404, v210
	v_or_b32_sdwa v207, v216, v207 dst_sel:DWORD dst_unused:UNUSED_PAD src0_sel:WORD_0 src1_sel:DWORD
	v_sub_u16_e32 v211, v208, v210
	v_sub_u16_sdwa v216, v208, v210 dst_sel:BYTE_1 dst_unused:UNUSED_PAD src0_sel:BYTE_1 src1_sel:BYTE_1
	v_sub_u16_sdwa v208, v208, v210 dst_sel:DWORD dst_unused:UNUSED_PAD src0_sel:WORD_1 src1_sel:WORD_1
	v_sub_u16_sdwa v209, v209, v210 dst_sel:BYTE_1 dst_unused:UNUSED_PAD src0_sel:DWORD src1_sel:BYTE_3
	v_bitop3_b16 v211, v211, v216, s8 bitop3:0xec
	v_bitop3_b16 v208, v208, v209, s8 bitop3:0xec
	v_lshlrev_b32_e32 v208, 16, v208
	v_add_u32_e32 v209, 0x3190, v154
	v_or_b32_sdwa v208, v211, v208 dst_sel:DWORD dst_unused:UNUSED_PAD src0_sel:WORD_0 src1_sel:DWORD
	ds_read2_b32 v[210:211], v209 offset1:1
	ds_read2_b32 v[216:217], v212 offset0:4 offset1:5
	v_add_u32_e32 v154, 0x3198, v154
	v_ashrrev_i32_e32 v212, s18, v222
	v_lshlrev_b32_e32 v212, 2, v212
	s_waitcnt lgkmcnt(1)
	v_ashrrev_i32_e32 v209, s20, v210
	s_waitcnt lgkmcnt(0)
	v_ashrrev_i32_e32 v216, s18, v216
	v_lshlrev_b32_e32 v216, 2, v216
	v_bfe_u32 v210, v209, 24, 2
	v_and_b32_e32 v209, 0x3030303, v209
	v_and_b32_e32 v216, 0x4040404, v216
	v_sub_u16_e32 v218, v209, v216
	v_sub_u16_sdwa v220, v209, v216 dst_sel:BYTE_1 dst_unused:UNUSED_PAD src0_sel:BYTE_1 src1_sel:BYTE_1
	v_sub_u16_sdwa v209, v209, v216 dst_sel:DWORD dst_unused:UNUSED_PAD src0_sel:WORD_1 src1_sel:WORD_1
	v_sub_u16_sdwa v210, v210, v216 dst_sel:BYTE_1 dst_unused:UNUSED_PAD src0_sel:DWORD src1_sel:BYTE_3
	v_ashrrev_i32_e32 v216, s18, v217
	v_bitop3_b16 v209, v209, v210, s8 bitop3:0xec
	v_ashrrev_i32_e32 v210, s20, v211
	v_lshlrev_b32_e32 v216, 2, v216
	v_bitop3_b16 v218, v218, v220, s8 bitop3:0xec
	v_lshlrev_b32_e32 v209, 16, v209
	v_bfe_u32 v211, v210, 24, 2
	v_and_b32_e32 v210, 0x3030303, v210
	v_and_b32_e32 v216, 0x4040404, v216
	v_or_b32_sdwa v209, v218, v209 dst_sel:DWORD dst_unused:UNUSED_PAD src0_sel:WORD_0 src1_sel:DWORD
	v_sub_u16_e32 v217, v210, v216
	v_sub_u16_sdwa v218, v210, v216 dst_sel:BYTE_1 dst_unused:UNUSED_PAD src0_sel:BYTE_1 src1_sel:BYTE_1
	v_sub_u16_sdwa v210, v210, v216 dst_sel:DWORD dst_unused:UNUSED_PAD src0_sel:WORD_1 src1_sel:WORD_1
	v_sub_u16_sdwa v211, v211, v216 dst_sel:BYTE_1 dst_unused:UNUSED_PAD src0_sel:DWORD src1_sel:BYTE_3
	v_bitop3_b16 v217, v217, v218, s8 bitop3:0xec
	v_bitop3_b16 v210, v210, v211, s8 bitop3:0xec
	v_lshlrev_b32_e32 v210, 16, v210
	v_or_b32_sdwa v210, v217, v210 dst_sel:DWORD dst_unused:UNUSED_PAD src0_sel:WORD_0 src1_sel:DWORD
	ds_read2_b32 v[216:217], v154 offset1:1
	v_and_b32_e32 v212, 0x4040404, v212
	v_dot4c_i32_i8_e32 v236, v209, v32
	v_dot4c_i32_i8_e32 v236, v210, v33
	;; [unrolled: 1-line block ×3, first 2 shown]
	s_waitcnt lgkmcnt(0)
	v_ashrrev_i32_e32 v154, s20, v216
	v_bfe_u32 v211, v154, 24, 2
	v_and_b32_e32 v154, 0x3030303, v154
	v_sub_u16_e32 v216, v154, v212
	v_sub_u16_sdwa v218, v154, v212 dst_sel:BYTE_1 dst_unused:UNUSED_PAD src0_sel:BYTE_1 src1_sel:BYTE_1
	v_sub_u16_sdwa v154, v154, v212 dst_sel:DWORD dst_unused:UNUSED_PAD src0_sel:WORD_1 src1_sel:WORD_1
	v_sub_u16_sdwa v211, v211, v212 dst_sel:BYTE_1 dst_unused:UNUSED_PAD src0_sel:DWORD src1_sel:BYTE_3
	v_bitop3_b16 v216, v216, v218, s8 bitop3:0xec
	v_bitop3_b16 v154, v154, v211, s8 bitop3:0xec
	v_lshlrev_b32_e32 v154, 16, v154
	v_or_b32_sdwa v211, v216, v154 dst_sel:DWORD dst_unused:UNUSED_PAD src0_sel:WORD_0 src1_sel:DWORD
	v_ashrrev_i32_e32 v216, s18, v223
	v_ashrrev_i32_e32 v154, s20, v217
	v_lshlrev_b32_e32 v216, 2, v216
	v_bfe_u32 v212, v154, 24, 2
	v_and_b32_e32 v154, 0x3030303, v154
	v_and_b32_e32 v216, 0x4040404, v216
	v_sub_u16_e32 v217, v154, v216
	v_sub_u16_sdwa v218, v154, v216 dst_sel:BYTE_1 dst_unused:UNUSED_PAD src0_sel:BYTE_1 src1_sel:BYTE_1
	v_sub_u16_sdwa v154, v154, v216 dst_sel:DWORD dst_unused:UNUSED_PAD src0_sel:WORD_1 src1_sel:WORD_1
	v_sub_u16_sdwa v212, v212, v216 dst_sel:BYTE_1 dst_unused:UNUSED_PAD src0_sel:DWORD src1_sel:BYTE_3
	v_mov_b32_e32 v223, 0
	v_bitop3_b16 v154, v154, v212, s8 bitop3:0xec
	v_dot4c_i32_i8_e32 v223, v205, v36
	v_bitop3_b16 v217, v217, v218, s8 bitop3:0xec
	v_lshlrev_b32_e32 v154, 16, v154
	v_dot4c_i32_i8_e32 v223, v206, v37
	v_dot4c_i32_i8_e32 v168, v164, v34
	v_dot4c_i32_i8_e32 v213, v191, v38
	v_dot4c_i32_i8_e32 v214, v195, v34
	v_dot4c_i32_i8_e32 v219, v199, v38
	v_dot4c_i32_i8_e32 v221, v203, v34
	v_or_b32_sdwa v212, v217, v154 dst_sel:DWORD dst_unused:UNUSED_PAD src0_sel:WORD_0 src1_sel:DWORD
	v_add3_u32 v154, s23, v173, v129
	v_dot4c_i32_i8_e32 v223, v207, v38
	v_dot4c_i32_i8_e32 v236, v211, v34
	;; [unrolled: 1-line block ×8, first 2 shown]
	ds_read_b32 v154, v154
	v_dot4c_i32_i8_e32 v223, v208, v39
	v_dot4c_i32_i8_e32 v236, v212, v35
	ds_read_b128 v[32:35], v170 offset:1024
	ds_read_b128 v[36:39], v170 offset:1040
	v_mov_b32_e32 v218, 0
	v_mov_b32_e32 v228, 0
	;; [unrolled: 1-line block ×8, first 2 shown]
	s_waitcnt lgkmcnt(1)
	v_dot4c_i32_i8_e32 v218, v158, v32
	s_waitcnt lgkmcnt(0)
	v_dot4c_i32_i8_e32 v228, v162, v36
	v_dot4c_i32_i8_e32 v237, v189, v32
	;; [unrolled: 1-line block ×31, first 2 shown]
	ds_read2_b32 v[216:217], v171 offset0:64 offset1:96
	ds_read_b128 v[32:35], v170 offset:2048
	ds_read_b128 v[36:39], v170 offset:2064
	v_mov_b32_e32 v225, 0
	v_mov_b32_e32 v224, 0
	;; [unrolled: 1-line block ×8, first 2 shown]
	s_waitcnt lgkmcnt(1)
	v_dot4c_i32_i8_e32 v225, v158, v32
	s_waitcnt lgkmcnt(0)
	v_dot4c_i32_i8_e32 v224, v162, v36
	v_dot4c_i32_i8_e32 v243, v189, v32
	;; [unrolled: 1-line block ×15, first 2 shown]
	v_add_u32_e32 v166, s22, v179
	v_dot4c_i32_i8_e32 v225, v160, v34
	v_dot4c_i32_i8_e32 v224, v164, v38
	;; [unrolled: 1-line block ×16, first 2 shown]
	ds_read_b128 v[32:35], v170 offset:3072
	ds_read_b128 v[36:39], v170 offset:3088
	ds_read_u16 v166, v166 offset:2
	v_add_u32_e32 v169, s22, v180
	v_add_u32_e32 v215, s22, v181
	;; [unrolled: 1-line block ×3, first 2 shown]
	v_mov_b32_e32 v226, 0
	s_waitcnt lgkmcnt(0)
	v_lshrrev_b16_e32 v220, 8, v166
	v_bfe_i32 v166, v166, 0, 8
	v_bfe_i32 v220, v220, 0, 8
	v_mul_lo_u32 v168, v168, v220
	v_mul_lo_u32 v218, v218, v166
	v_mad_u64_u32 v[228:229], s[22:23], v228, v220, v[218:219]
	v_mad_u64_u32 v[230:231], s[22:23], v167, v166, v[168:169]
	v_dot4c_i32_i8_e32 v226, v158, v32
	v_mov_b32_e32 v227, 0
	v_cvt_f32_i32_e32 v229, v230
	v_cvt_f32_i32_e32 v228, v228
	v_dot4c_i32_i8_e32 v226, v159, v33
	v_dot4c_i32_i8_e32 v227, v162, v36
	;; [unrolled: 1-line block ×4, first 2 shown]
	v_mov_b32_e32 v232, v157
	v_mov_b32_e32 v233, v156
	v_dot4c_i32_i8_e32 v226, v161, v35
	v_dot4c_i32_i8_e32 v227, v164, v38
	v_pk_mul_f32 v[156:157], v[148:149], v[232:233] op_sel_hi:[0,1]
	v_dot4c_i32_i8_e32 v227, v165, v39
	v_mul_lo_u32 v224, v224, v220
	v_mul_lo_u32 v226, v226, v166
	v_pk_fma_f32 v[16:17], v[156:157], v[228:229], v[16:17]
	ds_read_u16 v156, v169 offset:2
	v_mad_u64_u32 v[226:227], s[22:23], v227, v220, v[226:227]
	v_mad_u64_u32 v[224:225], s[22:23], v225, v166, v[224:225]
	v_cvt_f32_i32_e32 v225, v224
	v_cvt_f32_i32_e32 v224, v226
	v_mov_b32_e32 v157, 0
	v_dot4c_i32_i8_e32 v157, v189, v32
	v_mov_b32_e32 v234, v217
	v_mov_b32_e32 v235, v216
	v_dot4c_i32_i8_e32 v157, v190, v33
	v_pk_mul_f32 v[216:217], v[148:149], v[234:235] op_sel_hi:[0,1]
	v_dot4c_i32_i8_e32 v157, v191, v34
	s_waitcnt lgkmcnt(0)
	v_lshrrev_b16_e32 v168, 8, v156
	v_pk_fma_f32 v[18:19], v[216:217], v[224:225], v[18:19]
	v_dot4c_i32_i8_e32 v157, v192, v35
	v_bfe_i32 v217, v156, 0, 8
	v_bfe_i32 v218, v168, 0, 8
	v_mul_lo_u32 v156, v214, v218
	v_mul_lo_u32 v168, v237, v217
	;; [unrolled: 1-line block ×3, first 2 shown]
                                        ; kill: def $vgpr157 killed $sgpr0 killed $exec
	v_mov_b32_e32 v167, 0
	v_mad_u64_u32 v[168:169], s[22:23], v238, v218, v[168:169]
	v_mad_u64_u32 v[156:157], s[22:23], v213, v217, v[156:157]
	v_dot4c_i32_i8_e32 v167, v193, v36
	v_cvt_f32_i32_e32 v157, v156
	v_cvt_f32_i32_e32 v156, v168
	v_dot4c_i32_i8_e32 v167, v194, v37
	v_dot4c_i32_i8_e32 v167, v195, v38
	;; [unrolled: 1-line block ×3, first 2 shown]
	v_mul_lo_u32 v214, v244, v218
	v_pk_mul_f32 v[228:229], v[150:151], v[232:233] op_sel_hi:[0,1]
	v_mad_u64_u32 v[226:227], s[22:23], v243, v217, v[214:215]
	v_mad_u64_u32 v[224:225], s[22:23], v167, v218, v[216:217]
	v_pk_fma_f32 v[28:29], v[228:229], v[156:157], v[28:29]
	ds_read_u16 v156, v215 offset:2
	v_cvt_f32_i32_e32 v169, v226
	v_cvt_f32_i32_e32 v168, v224
	v_mov_b32_e32 v157, 0
	v_dot4c_i32_i8_e32 v157, v197, v32
	v_pk_mul_f32 v[230:231], v[150:151], v[234:235] op_sel_hi:[0,1]
	v_dot4c_i32_i8_e32 v157, v198, v33
	v_pk_fma_f32 v[30:31], v[230:231], v[168:169], v[30:31]
	v_dot4c_i32_i8_e32 v157, v199, v34
	s_waitcnt lgkmcnt(0)
	v_lshrrev_b16_e32 v168, 8, v156
	v_dot4c_i32_i8_e32 v157, v200, v35
	v_bfe_i32 v215, v156, 0, 8
	v_bfe_i32 v216, v168, 0, 8
	v_mul_lo_u32 v156, v221, v216
	v_mul_lo_u32 v168, v239, v215
	;; [unrolled: 1-line block ×3, first 2 shown]
                                        ; kill: def $vgpr157 killed $sgpr0 killed $exec
	v_mad_u64_u32 v[168:169], s[22:23], v240, v216, v[168:169]
	v_mad_u64_u32 v[156:157], s[22:23], v219, v215, v[156:157]
	v_cvt_f32_i32_e32 v157, v156
	v_cvt_f32_i32_e32 v156, v168
	v_pk_mul_f32 v[228:229], v[152:153], v[232:233] op_sel_hi:[0,1]
	v_mov_b32_e32 v167, 0
	v_dot4c_i32_i8_e32 v167, v201, v36
	v_pk_fma_f32 v[24:25], v[228:229], v[156:157], v[24:25]
	v_mov_b32_e32 v156, 0
	v_dot4c_i32_i8_e32 v156, v205, v32
	ds_read_u16 v32, v222 offset:2
	v_dot4c_i32_i8_e32 v156, v206, v33
	v_mov_b32_e32 v33, 0
	v_dot4c_i32_i8_e32 v33, v209, v36
	v_dot4c_i32_i8_e32 v167, v202, v37
	;; [unrolled: 1-line block ×5, first 2 shown]
	v_mul_lo_u32 v214, v246, v216
	v_dot4c_i32_i8_e32 v156, v208, v35
	v_dot4c_i32_i8_e32 v33, v211, v38
	s_waitcnt lgkmcnt(0)
	v_lshrrev_b16_e32 v34, 8, v32
	v_bfe_i32 v213, v32, 0, 8
	v_dot4c_i32_i8_e32 v167, v204, v39
	v_mad_u64_u32 v[226:227], s[22:23], v245, v215, v[214:215]
	v_dot4c_i32_i8_e32 v33, v212, v39
	v_bfe_i32 v214, v34, 0, 8
	v_mul_lo_u32 v38, v156, v213
	v_mad_u64_u32 v[224:225], s[22:23], v167, v216, v[224:225]
	v_mul_lo_u32 v32, v236, v214
	v_mul_lo_u32 v34, v241, v213
	;; [unrolled: 1-line block ×3, first 2 shown]
                                        ; kill: def $vgpr35 killed $sgpr0 killed $exec
	v_mad_u64_u32 v[38:39], s[22:23], v33, v214, v[38:39]
                                        ; kill: def $vgpr33 killed $sgpr0 killed $exec
	v_cvt_f32_i32_e32 v169, v226
	v_cvt_f32_i32_e32 v168, v224
	v_mad_u64_u32 v[36:37], s[22:23], v247, v213, v[36:37]
	v_mad_u64_u32 v[34:35], s[22:23], v242, v214, v[34:35]
	;; [unrolled: 1-line block ×3, first 2 shown]
	v_cvt_f32_i32_e32 v33, v32
	v_cvt_f32_i32_e32 v32, v34
	;; [unrolled: 1-line block ×4, first 2 shown]
	v_pk_mul_f32 v[230:231], v[152:153], v[234:235] op_sel_hi:[0,1]
	v_pk_fma_f32 v[26:27], v[230:231], v[168:169], v[26:27]
	v_pk_mul_f32 v[156:157], v[154:155], v[232:233] op_sel_hi:[0,1]
	v_pk_mul_f32 v[168:169], v[154:155], v[234:235] op_sel_hi:[0,1]
	v_pk_fma_f32 v[22:23], v[168:169], v[34:35], v[22:23]
	v_pk_fma_f32 v[20:21], v[156:157], v[32:33], v[20:21]
	ds_read2_b32 v[156:157], v171 offset0:128 offset1:160
	ds_read_b128 v[32:35], v170 offset:4096
	ds_read_b128 v[36:39], v170 offset:4112
	v_mov_b32_e32 v167, 0
	v_mov_b32_e32 v232, 0
	;; [unrolled: 1-line block ×8, first 2 shown]
	s_waitcnt lgkmcnt(1)
	v_dot4c_i32_i8_e32 v167, v158, v32
	s_waitcnt lgkmcnt(0)
	v_dot4c_i32_i8_e32 v232, v162, v36
	v_dot4c_i32_i8_e32 v228, v189, v32
	v_dot4c_i32_i8_e32 v229, v193, v36
	v_dot4c_i32_i8_e32 v224, v197, v32
	v_dot4c_i32_i8_e32 v225, v201, v36
	v_dot4c_i32_i8_e32 v219, v205, v32
	v_dot4c_i32_i8_e32 v221, v209, v36
	v_dot4c_i32_i8_e32 v167, v159, v33
	v_dot4c_i32_i8_e32 v232, v163, v37
	v_dot4c_i32_i8_e32 v228, v190, v33
	v_dot4c_i32_i8_e32 v229, v194, v37
	v_dot4c_i32_i8_e32 v224, v198, v33
	v_dot4c_i32_i8_e32 v225, v202, v37
	v_dot4c_i32_i8_e32 v219, v206, v33
	v_dot4c_i32_i8_e32 v221, v210, v37
	v_dot4c_i32_i8_e32 v167, v160, v34
	v_dot4c_i32_i8_e32 v232, v164, v38
	v_dot4c_i32_i8_e32 v228, v191, v34
	v_dot4c_i32_i8_e32 v229, v195, v38
	v_dot4c_i32_i8_e32 v224, v199, v34
	v_dot4c_i32_i8_e32 v225, v203, v38
	v_dot4c_i32_i8_e32 v219, v207, v34
	v_dot4c_i32_i8_e32 v221, v211, v38
	v_dot4c_i32_i8_e32 v167, v161, v35
	v_dot4c_i32_i8_e32 v232, v165, v39
	v_dot4c_i32_i8_e32 v228, v192, v35
	v_dot4c_i32_i8_e32 v229, v196, v39
	v_dot4c_i32_i8_e32 v224, v200, v35
	v_dot4c_i32_i8_e32 v225, v204, v39
	v_dot4c_i32_i8_e32 v219, v208, v35
	v_dot4c_i32_i8_e32 v221, v212, v39
	ds_read_b128 v[32:35], v170 offset:5120
	ds_read_b128 v[36:39], v170 offset:5136
	v_mov_b32_e32 v234, 0
	v_mov_b32_e32 v233, 0
	;; [unrolled: 1-line block ×8, first 2 shown]
	s_waitcnt lgkmcnt(1)
	v_dot4c_i32_i8_e32 v234, v158, v32
	s_waitcnt lgkmcnt(0)
	v_dot4c_i32_i8_e32 v233, v162, v36
	v_dot4c_i32_i8_e32 v231, v189, v32
	;; [unrolled: 1-line block ×31, first 2 shown]
	ds_read2_b32 v[168:169], v171 offset0:192 offset1:224
	ds_read_b128 v[32:35], v170 offset:6144
	ds_read_b128 v[36:39], v170 offset:6160
	v_mov_b32_e32 v241, 0
	v_mov_b32_e32 v242, 0
	;; [unrolled: 1-line block ×8, first 2 shown]
	s_waitcnt lgkmcnt(1)
	v_dot4c_i32_i8_e32 v241, v158, v32
	s_waitcnt lgkmcnt(0)
	v_dot4c_i32_i8_e32 v242, v162, v36
	v_dot4c_i32_i8_e32 v239, v189, v32
	;; [unrolled: 1-line block ×31, first 2 shown]
	ds_read_b128 v[36:39], v170 offset:7168
	ds_read_b128 v[32:35], v170 offset:7184
	v_mov_b32_e32 v243, 0
	s_add_i32 s19, s19, 2
	s_add_i32 s18, s18, 1
	s_waitcnt lgkmcnt(1)
	v_dot4c_i32_i8_e32 v243, v158, v36
	v_dot4c_i32_i8_e32 v243, v159, v37
	v_mov_b32_e32 v159, 0
	s_waitcnt lgkmcnt(0)
	v_dot4c_i32_i8_e32 v159, v162, v32
	v_dot4c_i32_i8_e32 v243, v160, v38
	v_dot4c_i32_i8_e32 v159, v163, v33
	v_dot4c_i32_i8_e32 v243, v161, v39
	v_dot4c_i32_i8_e32 v159, v164, v34
	v_dot4c_i32_i8_e32 v159, v165, v35
	v_mul_lo_u32 v162, v242, v220
	v_mul_lo_u32 v160, v243, v166
                                        ; kill: def $vgpr161 killed $sgpr0 killed $exec
	v_mad_u64_u32 v[162:163], s[22:23], v241, v166, v[162:163]
	v_mad_u64_u32 v[160:161], s[22:23], v159, v220, v[160:161]
	v_cvt_f32_i32_e32 v161, v162
	v_cvt_f32_i32_e32 v160, v160
	v_mul_lo_u32 v158, v232, v220
                                        ; kill: def $vgpr159 killed $sgpr0 killed $exec
	v_mul_lo_u32 v164, v234, v166
	v_mad_u64_u32 v[166:167], s[22:23], v167, v166, v[158:159]
	v_mov_b32_e32 v158, v157
	v_mov_b32_e32 v159, v156
	;; [unrolled: 1-line block ×4, first 2 shown]
	v_pk_mul_f32 v[168:169], v[148:149], v[156:157] op_sel_hi:[0,1]
	v_mad_u64_u32 v[164:165], s[22:23], v233, v220, v[164:165]
	v_pk_fma_f32 v[14:15], v[168:169], v[160:161], v[14:15]
	v_mov_b32_e32 v161, 0
	v_cvt_f32_i32_e32 v165, v166
	v_cvt_f32_i32_e32 v164, v164
	v_dot4c_i32_i8_e32 v161, v189, v36
	v_dot4c_i32_i8_e32 v161, v190, v37
	;; [unrolled: 1-line block ×3, first 2 shown]
	v_mov_b32_e32 v163, 0
	v_pk_mul_f32 v[232:233], v[148:149], v[158:159] op_sel_hi:[0,1]
	v_dot4c_i32_i8_e32 v161, v192, v39
	v_dot4c_i32_i8_e32 v163, v193, v32
	v_pk_fma_f32 v[12:13], v[232:233], v[164:165], v[12:13]
	v_dot4c_i32_i8_e32 v163, v194, v33
	v_mul_lo_u32 v148, v229, v218
	v_mul_lo_u32 v160, v231, v217
	;; [unrolled: 1-line block ×3, first 2 shown]
                                        ; kill: def $vgpr161 killed $sgpr0 killed $exec
	v_dot4c_i32_i8_e32 v163, v195, v34
	v_mad_u64_u32 v[160:161], s[22:23], v230, v218, v[160:161]
	v_mad_u64_u32 v[166:167], s[22:23], v228, v217, v[148:149]
	v_dot4c_i32_i8_e32 v163, v196, v35
	v_mul_lo_u32 v162, v240, v218
	v_cvt_f32_i32_e32 v161, v166
	v_cvt_f32_i32_e32 v160, v160
	v_mad_u64_u32 v[164:165], s[22:23], v163, v218, v[164:165]
	v_mad_u64_u32 v[162:163], s[22:23], v239, v217, v[162:163]
	v_cvt_f32_i32_e32 v163, v162
	v_cvt_f32_i32_e32 v162, v164
	v_pk_mul_f32 v[168:169], v[150:151], v[158:159] op_sel_hi:[0,1]
	v_mul_lo_u32 v148, v225, v216
	v_pk_fma_f32 v[8:9], v[168:169], v[160:161], v[8:9]
	v_mov_b32_e32 v161, 0
	v_mad_u64_u32 v[166:167], s[22:23], v224, v215, v[148:149]
	v_mov_b32_e32 v148, 0
	v_pk_mul_f32 v[190:191], v[150:151], v[156:157] op_sel_hi:[0,1]
	v_dot4c_i32_i8_e32 v161, v197, v36
	v_dot4c_i32_i8_e32 v148, v205, v36
	v_pk_fma_f32 v[10:11], v[190:191], v[162:163], v[10:11]
	v_dot4c_i32_i8_e32 v161, v198, v37
	v_mov_b32_e32 v163, 0
	v_dot4c_i32_i8_e32 v148, v206, v37
	v_mov_b32_e32 v37, 0
	v_dot4c_i32_i8_e32 v163, v201, v32
	v_dot4c_i32_i8_e32 v37, v209, v32
	;; [unrolled: 1-line block ×11, first 2 shown]
	v_mul_lo_u32 v150, v227, v215
	v_mul_lo_u32 v160, v238, v216
	;; [unrolled: 1-line block ×3, first 2 shown]
                                        ; kill: def $vgpr161 killed $sgpr0 killed $exec
	v_dot4c_i32_i8_e32 v37, v212, v35
	v_mul_lo_u32 v38, v221, v214
	v_mul_lo_u32 v36, v223, v213
	v_mul_lo_u32 v34, v236, v214
	v_mul_lo_u32 v32, v148, v213
                                        ; kill: def $vgpr33 killed $sgpr0 killed $exec
	v_mad_u64_u32 v[162:163], s[22:23], v163, v216, v[162:163]
	v_mad_u64_u32 v[160:161], s[22:23], v237, v215, v[160:161]
	;; [unrolled: 1-line block ×7, first 2 shown]
	v_cvt_f32_i32_e32 v165, v166
	v_cvt_f32_i32_e32 v164, v164
	;; [unrolled: 1-line block ×8, first 2 shown]
	v_pk_mul_f32 v[168:169], v[152:153], v[158:159] op_sel_hi:[0,1]
	v_pk_mul_f32 v[190:191], v[152:153], v[156:157] op_sel_hi:[0,1]
	;; [unrolled: 1-line block ×4, first 2 shown]
	v_pk_fma_f32 v[6:7], v[190:191], v[160:161], v[6:7]
	v_pk_fma_f32 v[4:5], v[168:169], v[164:165], v[4:5]
	;; [unrolled: 1-line block ×4, first 2 shown]
	v_add_u32_e32 v171, 4, v171
	v_add_u32_e32 v170, 32, v170
	s_cmp_lt_u32 s20, 6
	s_mov_b32 s22, s20
	s_cbranch_scc1 .LBB170_7
; %bb.8:                                ;   in Loop: Header=BB170_6 Depth=1
	v_add_u32_e32 v148, s17, v119
	v_add_u32_e32 v150, v148, v97
	v_mad_i64_i32 v[156:157], s[18:19], v150, 36, v[84:85]
	v_add_u32_e32 v150, v148, v99
	v_add_u32_e32 v32, v148, v89
	;; [unrolled: 1-line block ×5, first 2 shown]
	v_mad_i64_i32 v[158:159], s[18:19], v150, 36, v[84:85]
	v_add_u32_e32 v150, v148, v101
	v_add_u32_e32 v148, v148, v103
	v_mad_i64_i32 v[162:163], s[18:19], v148, 36, v[84:85]
	v_add_u32_e32 v148, 4, v187
	v_mad_i64_i32 v[32:33], s[18:19], v32, 36, v[84:85]
	v_mad_i64_i32 v[34:35], s[18:19], v34, 36, v[84:85]
	;; [unrolled: 1-line block ×4, first 2 shown]
	v_mad_u64_u32 v[164:165], s[18:19], v148, 36, s[2:3]
	s_barrier
	v_mad_i64_i32 v[160:161], s[18:19], v150, 36, v[84:85]
	global_load_dword v148, v[164:165], off
	s_nop 0
	global_load_dword v32, v[32:33], off offset:4
	s_nop 0
	global_load_dword v33, v[34:35], off offset:4
	;; [unrolled: 2-line block ×3, first 2 shown]
	global_load_dword v35, v[38:39], off offset:4
	s_nop 0
	global_load_dword v36, v[156:157], off offset:4
	global_load_dword v37, v[158:159], off offset:4
	;; [unrolled: 1-line block ×4, first 2 shown]
	s_mov_b32 s18, 4
	s_mov_b32 s19, 8
	;; [unrolled: 1-line block ×3, first 2 shown]
	v_mov_b32_e32 v189, v183
	v_mov_b32_e32 v190, v133
	s_waitcnt vmcnt(8)
	v_cvt_f32_f16_e32 v148, v148
	s_waitcnt vmcnt(7)
	ds_write_b32 v188, v32
	s_waitcnt vmcnt(6)
	ds_write_b32 v135, v33
	;; [unrolled: 2-line block ×8, first 2 shown]
	ds_write_b32 v87, v148
	s_waitcnt lgkmcnt(0)
	s_barrier
.LBB170_9:                              ;   Parent Loop BB170_6 Depth=1
                                        ; =>  This Inner Loop Header: Depth=2
	s_add_i32 s20, s22, 2
	s_lshr_b32 s25, s20, 4
	s_and_b32 s23, s20, 0x3ffffff8
	v_lshl_add_u32 v154, s23, 2, v177
	s_lshl_b32 s23, s25, 5
	s_addk_i32 s23, 0x4200
	v_add3_u32 v152, s23, v184, v178
	v_add3_u32 v214, s23, v172, v127
	ds_read2_b32 v[156:157], v190 offset1:32
	ds_read_b128 v[36:39], v189
	ds_read_b128 v[32:35], v189 offset:16
	ds_read2_b32 v[158:159], v154 offset1:1
	ds_read2_b32 v[222:223], v214 offset0:6 offset1:7
	ds_read2_b32 v[160:161], v152 offset1:1
	s_add_i32 s21, s22, -6
	s_and_b32 s24, s19, -16
	s_waitcnt lgkmcnt(2)
	v_ashrrev_i32_e32 v148, s21, v158
	v_bfe_u32 v150, v148, 24, 2
	s_waitcnt lgkmcnt(0)
	v_ashrrev_i32_e32 v158, s18, v160
	v_lshlrev_b32_e32 v158, 2, v158
	v_and_b32_e32 v148, 0x3030303, v148
	v_and_b32_e32 v158, 0x4040404, v158
	v_sub_u16_e32 v160, v148, v158
	v_sub_u16_sdwa v162, v148, v158 dst_sel:BYTE_1 dst_unused:UNUSED_PAD src0_sel:BYTE_1 src1_sel:BYTE_1
	v_sub_u16_sdwa v148, v148, v158 dst_sel:DWORD dst_unused:UNUSED_PAD src0_sel:WORD_1 src1_sel:WORD_1
	v_sub_u16_sdwa v150, v150, v158 dst_sel:BYTE_1 dst_unused:UNUSED_PAD src0_sel:DWORD src1_sel:BYTE_3
	v_bitop3_b16 v160, v160, v162, s8 bitop3:0xec
	v_bitop3_b16 v148, v148, v150, s8 bitop3:0xec
	v_lshlrev_b32_e32 v148, 16, v148
	v_or_b32_sdwa v158, v160, v148 dst_sel:DWORD dst_unused:UNUSED_PAD src0_sel:WORD_0 src1_sel:DWORD
	v_ashrrev_i32_e32 v148, s21, v159
	v_ashrrev_i32_e32 v159, s18, v161
	v_lshlrev_b32_e32 v159, 2, v159
	v_bfe_u32 v150, v148, 24, 2
	v_and_b32_e32 v148, 0x3030303, v148
	v_and_b32_e32 v159, 0x4040404, v159
	v_sub_u16_e32 v160, v148, v159
	v_sub_u16_sdwa v161, v148, v159 dst_sel:BYTE_1 dst_unused:UNUSED_PAD src0_sel:BYTE_1 src1_sel:BYTE_1
	v_sub_u16_sdwa v148, v148, v159 dst_sel:DWORD dst_unused:UNUSED_PAD src0_sel:WORD_1 src1_sel:WORD_1
	v_sub_u16_sdwa v150, v150, v159 dst_sel:BYTE_1 dst_unused:UNUSED_PAD src0_sel:DWORD src1_sel:BYTE_3
	v_bitop3_b16 v160, v160, v161, s8 bitop3:0xec
	v_bitop3_b16 v148, v148, v150, s8 bitop3:0xec
	v_lshlrev_b32_e32 v148, 16, v148
	v_or_b32_sdwa v159, v160, v148 dst_sel:DWORD dst_unused:UNUSED_PAD src0_sel:WORD_0 src1_sel:DWORD
	ds_read2_b32 v[160:161], v154 offset0:2 offset1:3
	ds_read2_b32 v[162:163], v152 offset0:2 offset1:3
	s_add_i32 s22, s22, s24
	s_lshl_b32 s24, s25, 2
	s_add_i32 s24, s24, 0x9380
	s_waitcnt lgkmcnt(1)
	v_ashrrev_i32_e32 v148, s21, v160
	s_waitcnt lgkmcnt(0)
	v_ashrrev_i32_e32 v160, s18, v162
	v_lshlrev_b32_e32 v160, 2, v160
	v_bfe_u32 v150, v148, 24, 2
	v_and_b32_e32 v148, 0x3030303, v148
	v_and_b32_e32 v160, 0x4040404, v160
	v_sub_u16_e32 v162, v148, v160
	v_sub_u16_sdwa v164, v148, v160 dst_sel:BYTE_1 dst_unused:UNUSED_PAD src0_sel:BYTE_1 src1_sel:BYTE_1
	v_sub_u16_sdwa v148, v148, v160 dst_sel:DWORD dst_unused:UNUSED_PAD src0_sel:WORD_1 src1_sel:WORD_1
	v_sub_u16_sdwa v150, v150, v160 dst_sel:BYTE_1 dst_unused:UNUSED_PAD src0_sel:DWORD src1_sel:BYTE_3
	v_bitop3_b16 v162, v162, v164, s8 bitop3:0xec
	v_bitop3_b16 v148, v148, v150, s8 bitop3:0xec
	v_lshlrev_b32_e32 v148, 16, v148
	v_or_b32_sdwa v160, v162, v148 dst_sel:DWORD dst_unused:UNUSED_PAD src0_sel:WORD_0 src1_sel:DWORD
	v_ashrrev_i32_e32 v148, s21, v161
	v_ashrrev_i32_e32 v161, s18, v163
	v_lshlrev_b32_e32 v161, 2, v161
	v_bfe_u32 v150, v148, 24, 2
	v_and_b32_e32 v148, 0x3030303, v148
	v_and_b32_e32 v161, 0x4040404, v161
	v_sub_u16_e32 v162, v148, v161
	v_sub_u16_sdwa v163, v148, v161 dst_sel:BYTE_1 dst_unused:UNUSED_PAD src0_sel:BYTE_1 src1_sel:BYTE_1
	v_sub_u16_sdwa v148, v148, v161 dst_sel:DWORD dst_unused:UNUSED_PAD src0_sel:WORD_1 src1_sel:WORD_1
	v_sub_u16_sdwa v150, v150, v161 dst_sel:BYTE_1 dst_unused:UNUSED_PAD src0_sel:DWORD src1_sel:BYTE_3
	v_bitop3_b16 v162, v162, v163, s8 bitop3:0xec
	v_bitop3_b16 v148, v148, v150, s8 bitop3:0xec
	v_lshlrev_b32_e32 v148, 16, v148
	v_or_b32_sdwa v161, v162, v148 dst_sel:DWORD dst_unused:UNUSED_PAD src0_sel:WORD_0 src1_sel:DWORD
	ds_read2_b32 v[162:163], v154 offset0:4 offset1:5
	ds_read2_b32 v[164:165], v152 offset0:4 offset1:5
	v_add3_u32 v169, s23, v149, v113
	ds_read2_b32 v[192:193], v169 offset1:1
	v_add3_u32 v208, s23, v153, v121
	s_waitcnt lgkmcnt(2)
	v_ashrrev_i32_e32 v148, s21, v162
	s_waitcnt lgkmcnt(1)
	v_ashrrev_i32_e32 v162, s18, v164
	v_lshlrev_b32_e32 v162, 2, v162
	v_bfe_u32 v150, v148, 24, 2
	v_and_b32_e32 v148, 0x3030303, v148
	v_and_b32_e32 v162, 0x4040404, v162
	v_sub_u16_e32 v164, v148, v162
	v_sub_u16_sdwa v166, v148, v162 dst_sel:BYTE_1 dst_unused:UNUSED_PAD src0_sel:BYTE_1 src1_sel:BYTE_1
	v_sub_u16_sdwa v148, v148, v162 dst_sel:DWORD dst_unused:UNUSED_PAD src0_sel:WORD_1 src1_sel:WORD_1
	v_sub_u16_sdwa v150, v150, v162 dst_sel:BYTE_1 dst_unused:UNUSED_PAD src0_sel:DWORD src1_sel:BYTE_3
	v_bitop3_b16 v164, v164, v166, s8 bitop3:0xec
	v_bitop3_b16 v148, v148, v150, s8 bitop3:0xec
	v_lshlrev_b32_e32 v148, 16, v148
	v_or_b32_sdwa v162, v164, v148 dst_sel:DWORD dst_unused:UNUSED_PAD src0_sel:WORD_0 src1_sel:DWORD
	v_ashrrev_i32_e32 v148, s21, v163
	v_ashrrev_i32_e32 v163, s18, v165
	v_lshlrev_b32_e32 v163, 2, v163
	v_bfe_u32 v150, v148, 24, 2
	v_and_b32_e32 v148, 0x3030303, v148
	v_and_b32_e32 v163, 0x4040404, v163
	v_sub_u16_e32 v164, v148, v163
	v_sub_u16_sdwa v165, v148, v163 dst_sel:BYTE_1 dst_unused:UNUSED_PAD src0_sel:BYTE_1 src1_sel:BYTE_1
	v_sub_u16_sdwa v148, v148, v163 dst_sel:DWORD dst_unused:UNUSED_PAD src0_sel:WORD_1 src1_sel:WORD_1
	v_sub_u16_sdwa v150, v150, v163 dst_sel:BYTE_1 dst_unused:UNUSED_PAD src0_sel:DWORD src1_sel:BYTE_3
	v_bitop3_b16 v164, v164, v165, s8 bitop3:0xec
	v_bitop3_b16 v148, v148, v150, s8 bitop3:0xec
	v_lshlrev_b32_e32 v148, 16, v148
	v_or_b32_sdwa v163, v164, v148 dst_sel:DWORD dst_unused:UNUSED_PAD src0_sel:WORD_0 src1_sel:DWORD
	ds_read2_b32 v[164:165], v154 offset0:6 offset1:7
	ds_read2_b32 v[166:167], v152 offset0:6 offset1:7
	;; [unrolled: 1-line block ×4, first 2 shown]
	v_mov_b32_e32 v168, 0
	s_waitcnt lgkmcnt(3)
	v_ashrrev_i32_e32 v148, s21, v164
	s_waitcnt lgkmcnt(2)
	v_ashrrev_i32_e32 v152, s18, v166
	v_lshlrev_b32_e32 v152, 2, v152
	v_bfe_u32 v150, v148, 24, 2
	v_and_b32_e32 v148, 0x3030303, v148
	v_and_b32_e32 v152, 0x4040404, v152
	v_sub_u16_e32 v164, v148, v152
	v_sub_u16_sdwa v166, v148, v152 dst_sel:BYTE_1 dst_unused:UNUSED_PAD src0_sel:BYTE_1 src1_sel:BYTE_1
	v_sub_u16_sdwa v148, v148, v152 dst_sel:DWORD dst_unused:UNUSED_PAD src0_sel:WORD_1 src1_sel:WORD_1
	v_sub_u16_sdwa v150, v150, v152 dst_sel:BYTE_1 dst_unused:UNUSED_PAD src0_sel:DWORD src1_sel:BYTE_3
	v_bitop3_b16 v164, v164, v166, s8 bitop3:0xec
	v_bitop3_b16 v148, v148, v150, s8 bitop3:0xec
	v_lshlrev_b32_e32 v148, 16, v148
	v_ashrrev_i32_e32 v152, s18, v167
	v_or_b32_sdwa v164, v164, v148 dst_sel:DWORD dst_unused:UNUSED_PAD src0_sel:WORD_0 src1_sel:DWORD
	v_ashrrev_i32_e32 v148, s21, v165
	v_lshlrev_b32_e32 v152, 2, v152
	v_bfe_u32 v150, v148, 24, 2
	v_and_b32_e32 v148, 0x3030303, v148
	v_and_b32_e32 v152, 0x4040404, v152
	v_sub_u16_e32 v165, v148, v152
	v_sub_u16_sdwa v166, v148, v152 dst_sel:BYTE_1 dst_unused:UNUSED_PAD src0_sel:BYTE_1 src1_sel:BYTE_1
	v_sub_u16_sdwa v148, v148, v152 dst_sel:DWORD dst_unused:UNUSED_PAD src0_sel:WORD_1 src1_sel:WORD_1
	v_sub_u16_sdwa v150, v150, v152 dst_sel:BYTE_1 dst_unused:UNUSED_PAD src0_sel:DWORD src1_sel:BYTE_3
	v_bitop3_b16 v165, v165, v166, s8 bitop3:0xec
	v_bitop3_b16 v148, v148, v150, s8 bitop3:0xec
	v_lshlrev_b32_e32 v148, 16, v148
	v_or_b32_sdwa v165, v165, v148 dst_sel:DWORD dst_unused:UNUSED_PAD src0_sel:WORD_0 src1_sel:DWORD
	v_add3_u32 v148, s24, v185, v186
	v_add_u32_e32 v150, 0x1080, v154
	ds_read_b32 v148, v148
	ds_read2_b32 v[170:171], v150 offset1:1
	ds_read2_b32 v[198:199], v169 offset0:6 offset1:7
	ds_read2_b32 v[202:203], v208 offset1:1
	v_mov_b32_e32 v167, 0
	v_mov_b32_e32 v216, 0
	s_waitcnt lgkmcnt(2)
	v_ashrrev_i32_e32 v150, s21, v170
	v_ashrrev_i32_e32 v170, s18, v192
	v_lshlrev_b32_e32 v170, 2, v170
	v_bfe_u32 v152, v150, 24, 2
	v_and_b32_e32 v150, 0x3030303, v150
	v_and_b32_e32 v170, 0x4040404, v170
	v_sub_u16_e32 v191, v150, v170
	v_sub_u16_sdwa v192, v150, v170 dst_sel:BYTE_1 dst_unused:UNUSED_PAD src0_sel:BYTE_1 src1_sel:BYTE_1
	v_sub_u16_sdwa v150, v150, v170 dst_sel:DWORD dst_unused:UNUSED_PAD src0_sel:WORD_1 src1_sel:WORD_1
	v_sub_u16_sdwa v152, v152, v170 dst_sel:BYTE_1 dst_unused:UNUSED_PAD src0_sel:DWORD src1_sel:BYTE_3
	v_bitop3_b16 v191, v191, v192, s8 bitop3:0xec
	v_bitop3_b16 v150, v150, v152, s8 bitop3:0xec
	v_lshlrev_b32_e32 v150, 16, v150
	v_ashrrev_i32_e32 v170, s18, v193
	v_or_b32_sdwa v191, v191, v150 dst_sel:DWORD dst_unused:UNUSED_PAD src0_sel:WORD_0 src1_sel:DWORD
	v_ashrrev_i32_e32 v150, s21, v171
	v_lshlrev_b32_e32 v170, 2, v170
	v_bfe_u32 v152, v150, 24, 2
	v_and_b32_e32 v150, 0x3030303, v150
	v_and_b32_e32 v170, 0x4040404, v170
	v_sub_u16_e32 v171, v150, v170
	v_sub_u16_sdwa v192, v150, v170 dst_sel:BYTE_1 dst_unused:UNUSED_PAD src0_sel:BYTE_1 src1_sel:BYTE_1
	v_sub_u16_sdwa v150, v150, v170 dst_sel:DWORD dst_unused:UNUSED_PAD src0_sel:WORD_1 src1_sel:WORD_1
	v_sub_u16_sdwa v152, v152, v170 dst_sel:BYTE_1 dst_unused:UNUSED_PAD src0_sel:DWORD src1_sel:BYTE_3
	v_bitop3_b16 v171, v171, v192, s8 bitop3:0xec
	v_bitop3_b16 v150, v150, v152, s8 bitop3:0xec
	v_lshlrev_b32_e32 v150, 16, v150
	v_or_b32_sdwa v192, v171, v150 dst_sel:DWORD dst_unused:UNUSED_PAD src0_sel:WORD_0 src1_sel:DWORD
	v_add_u32_e32 v150, 0x1088, v154
	ds_read2_b32 v[170:171], v150 offset1:1
	s_waitcnt lgkmcnt(2)
	v_ashrrev_i32_e32 v169, s18, v198
	v_lshlrev_b32_e32 v169, 2, v169
	v_and_b32_e32 v169, 0x4040404, v169
	v_mov_b32_e32 v221, 0
	s_waitcnt lgkmcnt(0)
	v_ashrrev_i32_e32 v150, s21, v170
	v_ashrrev_i32_e32 v170, s18, v194
	v_lshlrev_b32_e32 v170, 2, v170
	v_bfe_u32 v152, v150, 24, 2
	v_and_b32_e32 v150, 0x3030303, v150
	v_and_b32_e32 v170, 0x4040404, v170
	v_sub_u16_e32 v193, v150, v170
	v_sub_u16_sdwa v194, v150, v170 dst_sel:BYTE_1 dst_unused:UNUSED_PAD src0_sel:BYTE_1 src1_sel:BYTE_1
	v_sub_u16_sdwa v150, v150, v170 dst_sel:DWORD dst_unused:UNUSED_PAD src0_sel:WORD_1 src1_sel:WORD_1
	v_sub_u16_sdwa v152, v152, v170 dst_sel:BYTE_1 dst_unused:UNUSED_PAD src0_sel:DWORD src1_sel:BYTE_3
	v_bitop3_b16 v193, v193, v194, s8 bitop3:0xec
	v_bitop3_b16 v150, v150, v152, s8 bitop3:0xec
	v_lshlrev_b32_e32 v150, 16, v150
	v_ashrrev_i32_e32 v170, s18, v195
	v_or_b32_sdwa v193, v193, v150 dst_sel:DWORD dst_unused:UNUSED_PAD src0_sel:WORD_0 src1_sel:DWORD
	v_ashrrev_i32_e32 v150, s21, v171
	v_lshlrev_b32_e32 v170, 2, v170
	v_bfe_u32 v152, v150, 24, 2
	v_and_b32_e32 v150, 0x3030303, v150
	v_and_b32_e32 v170, 0x4040404, v170
	v_sub_u16_e32 v171, v150, v170
	v_sub_u16_sdwa v194, v150, v170 dst_sel:BYTE_1 dst_unused:UNUSED_PAD src0_sel:BYTE_1 src1_sel:BYTE_1
	v_sub_u16_sdwa v150, v150, v170 dst_sel:DWORD dst_unused:UNUSED_PAD src0_sel:WORD_1 src1_sel:WORD_1
	v_sub_u16_sdwa v152, v152, v170 dst_sel:BYTE_1 dst_unused:UNUSED_PAD src0_sel:DWORD src1_sel:BYTE_3
	v_bitop3_b16 v171, v171, v194, s8 bitop3:0xec
	v_bitop3_b16 v150, v150, v152, s8 bitop3:0xec
	v_lshlrev_b32_e32 v150, 16, v150
	v_or_b32_sdwa v194, v171, v150 dst_sel:DWORD dst_unused:UNUSED_PAD src0_sel:WORD_0 src1_sel:DWORD
	v_add_u32_e32 v150, 0x1090, v154
	ds_read2_b32 v[170:171], v150 offset1:1
	v_mov_b32_e32 v232, 0
	v_dot4c_i32_i8_e32 v167, v158, v36
	v_dot4c_i32_i8_e32 v168, v162, v32
	;; [unrolled: 1-line block ×3, first 2 shown]
	s_waitcnt lgkmcnt(0)
	v_ashrrev_i32_e32 v150, s21, v170
	v_ashrrev_i32_e32 v170, s18, v196
	v_lshlrev_b32_e32 v170, 2, v170
	v_bfe_u32 v152, v150, 24, 2
	v_and_b32_e32 v150, 0x3030303, v150
	v_and_b32_e32 v170, 0x4040404, v170
	v_sub_u16_e32 v195, v150, v170
	v_sub_u16_sdwa v196, v150, v170 dst_sel:BYTE_1 dst_unused:UNUSED_PAD src0_sel:BYTE_1 src1_sel:BYTE_1
	v_sub_u16_sdwa v150, v150, v170 dst_sel:DWORD dst_unused:UNUSED_PAD src0_sel:WORD_1 src1_sel:WORD_1
	v_sub_u16_sdwa v152, v152, v170 dst_sel:BYTE_1 dst_unused:UNUSED_PAD src0_sel:DWORD src1_sel:BYTE_3
	v_bitop3_b16 v195, v195, v196, s8 bitop3:0xec
	v_bitop3_b16 v150, v150, v152, s8 bitop3:0xec
	v_lshlrev_b32_e32 v150, 16, v150
	v_ashrrev_i32_e32 v170, s18, v197
	v_or_b32_sdwa v195, v195, v150 dst_sel:DWORD dst_unused:UNUSED_PAD src0_sel:WORD_0 src1_sel:DWORD
	v_ashrrev_i32_e32 v150, s21, v171
	v_lshlrev_b32_e32 v170, 2, v170
	v_bfe_u32 v152, v150, 24, 2
	v_and_b32_e32 v150, 0x3030303, v150
	v_and_b32_e32 v170, 0x4040404, v170
	v_sub_u16_e32 v171, v150, v170
	v_sub_u16_sdwa v196, v150, v170 dst_sel:BYTE_1 dst_unused:UNUSED_PAD src0_sel:BYTE_1 src1_sel:BYTE_1
	v_sub_u16_sdwa v150, v150, v170 dst_sel:DWORD dst_unused:UNUSED_PAD src0_sel:WORD_1 src1_sel:WORD_1
	v_sub_u16_sdwa v152, v152, v170 dst_sel:BYTE_1 dst_unused:UNUSED_PAD src0_sel:DWORD src1_sel:BYTE_3
	v_bitop3_b16 v171, v171, v196, s8 bitop3:0xec
	v_bitop3_b16 v150, v150, v152, s8 bitop3:0xec
	v_lshlrev_b32_e32 v150, 16, v150
	v_or_b32_sdwa v196, v171, v150 dst_sel:DWORD dst_unused:UNUSED_PAD src0_sel:WORD_0 src1_sel:DWORD
	v_add_u32_e32 v150, 0x1098, v154
	ds_read2_b32 v[170:171], v150 offset1:1
	v_dot4c_i32_i8_e32 v168, v163, v33
	v_dot4c_i32_i8_e32 v167, v160, v38
	;; [unrolled: 1-line block ×4, first 2 shown]
	s_waitcnt lgkmcnt(0)
	v_ashrrev_i32_e32 v150, s21, v170
	v_bfe_u32 v152, v150, 24, 2
	v_and_b32_e32 v150, 0x3030303, v150
	v_sub_u16_e32 v170, v150, v169
	v_sub_u16_sdwa v197, v150, v169 dst_sel:BYTE_1 dst_unused:UNUSED_PAD src0_sel:BYTE_1 src1_sel:BYTE_1
	v_sub_u16_sdwa v150, v150, v169 dst_sel:DWORD dst_unused:UNUSED_PAD src0_sel:WORD_1 src1_sel:WORD_1
	v_sub_u16_sdwa v152, v152, v169 dst_sel:BYTE_1 dst_unused:UNUSED_PAD src0_sel:DWORD src1_sel:BYTE_3
	v_bitop3_b16 v170, v170, v197, s8 bitop3:0xec
	v_bitop3_b16 v150, v150, v152, s8 bitop3:0xec
	v_lshlrev_b32_e32 v150, 16, v150
	v_ashrrev_i32_e32 v169, s18, v199
	v_or_b32_sdwa v197, v170, v150 dst_sel:DWORD dst_unused:UNUSED_PAD src0_sel:WORD_0 src1_sel:DWORD
	v_ashrrev_i32_e32 v150, s21, v171
	v_lshlrev_b32_e32 v169, 2, v169
	v_bfe_u32 v152, v150, 24, 2
	v_and_b32_e32 v150, 0x3030303, v150
	v_and_b32_e32 v169, 0x4040404, v169
	v_sub_u16_e32 v170, v150, v169
	v_sub_u16_sdwa v171, v150, v169 dst_sel:BYTE_1 dst_unused:UNUSED_PAD src0_sel:BYTE_1 src1_sel:BYTE_1
	v_sub_u16_sdwa v150, v150, v169 dst_sel:DWORD dst_unused:UNUSED_PAD src0_sel:WORD_1 src1_sel:WORD_1
	v_sub_u16_sdwa v152, v152, v169 dst_sel:BYTE_1 dst_unused:UNUSED_PAD src0_sel:DWORD src1_sel:BYTE_3
	v_bitop3_b16 v170, v170, v171, s8 bitop3:0xec
	v_bitop3_b16 v150, v150, v152, s8 bitop3:0xec
	v_lshlrev_b32_e32 v150, 16, v150
	v_or_b32_sdwa v198, v170, v150 dst_sel:DWORD dst_unused:UNUSED_PAD src0_sel:WORD_0 src1_sel:DWORD
	v_add3_u32 v150, s24, v151, v117
	v_add_u32_e32 v152, 0x2100, v154
	ds_read_b32 v150, v150
	ds_read2_b32 v[200:201], v152 offset1:1
	v_mov_b32_e32 v170, 0
	v_mov_b32_e32 v171, 0
	v_dot4c_i32_i8_e32 v170, v191, v36
	v_dot4c_i32_i8_e32 v171, v195, v32
	s_waitcnt lgkmcnt(0)
	v_ashrrev_i32_e32 v152, s21, v200
	v_ashrrev_i32_e32 v200, s18, v202
	v_lshlrev_b32_e32 v200, 2, v200
	v_bfe_u32 v199, v152, 24, 2
	v_and_b32_e32 v152, 0x3030303, v152
	v_and_b32_e32 v200, 0x4040404, v200
	v_sub_u16_e32 v202, v152, v200
	v_sub_u16_sdwa v204, v152, v200 dst_sel:BYTE_1 dst_unused:UNUSED_PAD src0_sel:BYTE_1 src1_sel:BYTE_1
	v_sub_u16_sdwa v152, v152, v200 dst_sel:DWORD dst_unused:UNUSED_PAD src0_sel:WORD_1 src1_sel:WORD_1
	v_sub_u16_sdwa v199, v199, v200 dst_sel:BYTE_1 dst_unused:UNUSED_PAD src0_sel:DWORD src1_sel:BYTE_3
	v_bitop3_b16 v202, v202, v204, s8 bitop3:0xec
	v_bitop3_b16 v152, v152, v199, s8 bitop3:0xec
	v_lshlrev_b32_e32 v152, 16, v152
	v_or_b32_sdwa v199, v202, v152 dst_sel:DWORD dst_unused:UNUSED_PAD src0_sel:WORD_0 src1_sel:DWORD
	v_ashrrev_i32_e32 v152, s21, v201
	v_ashrrev_i32_e32 v201, s18, v203
	v_lshlrev_b32_e32 v201, 2, v201
	v_bfe_u32 v200, v152, 24, 2
	v_and_b32_e32 v152, 0x3030303, v152
	v_and_b32_e32 v201, 0x4040404, v201
	v_sub_u16_e32 v202, v152, v201
	v_sub_u16_sdwa v203, v152, v201 dst_sel:BYTE_1 dst_unused:UNUSED_PAD src0_sel:BYTE_1 src1_sel:BYTE_1
	v_sub_u16_sdwa v152, v152, v201 dst_sel:DWORD dst_unused:UNUSED_PAD src0_sel:WORD_1 src1_sel:WORD_1
	v_sub_u16_sdwa v200, v200, v201 dst_sel:BYTE_1 dst_unused:UNUSED_PAD src0_sel:DWORD src1_sel:BYTE_3
	v_bitop3_b16 v202, v202, v203, s8 bitop3:0xec
	v_bitop3_b16 v152, v152, v200, s8 bitop3:0xec
	v_lshlrev_b32_e32 v152, 16, v152
	v_or_b32_sdwa v200, v202, v152 dst_sel:DWORD dst_unused:UNUSED_PAD src0_sel:WORD_0 src1_sel:DWORD
	v_add_u32_e32 v152, 0x2108, v154
	ds_read2_b32 v[202:203], v152 offset1:1
	ds_read2_b32 v[204:205], v208 offset0:2 offset1:3
	v_dot4c_i32_i8_e32 v216, v199, v36
	v_dot4c_i32_i8_e32 v170, v192, v37
	v_dot4c_i32_i8_e32 v171, v196, v33
	s_waitcnt lgkmcnt(1)
	v_ashrrev_i32_e32 v152, s21, v202
	s_waitcnt lgkmcnt(0)
	v_ashrrev_i32_e32 v202, s18, v204
	v_lshlrev_b32_e32 v202, 2, v202
	v_bfe_u32 v201, v152, 24, 2
	v_and_b32_e32 v152, 0x3030303, v152
	v_and_b32_e32 v202, 0x4040404, v202
	v_sub_u16_e32 v204, v152, v202
	v_sub_u16_sdwa v206, v152, v202 dst_sel:BYTE_1 dst_unused:UNUSED_PAD src0_sel:BYTE_1 src1_sel:BYTE_1
	v_sub_u16_sdwa v152, v152, v202 dst_sel:DWORD dst_unused:UNUSED_PAD src0_sel:WORD_1 src1_sel:WORD_1
	v_sub_u16_sdwa v201, v201, v202 dst_sel:BYTE_1 dst_unused:UNUSED_PAD src0_sel:DWORD src1_sel:BYTE_3
	v_bitop3_b16 v204, v204, v206, s8 bitop3:0xec
	v_bitop3_b16 v152, v152, v201, s8 bitop3:0xec
	v_lshlrev_b32_e32 v152, 16, v152
	v_or_b32_sdwa v201, v204, v152 dst_sel:DWORD dst_unused:UNUSED_PAD src0_sel:WORD_0 src1_sel:DWORD
	v_ashrrev_i32_e32 v152, s21, v203
	v_ashrrev_i32_e32 v203, s18, v205
	v_lshlrev_b32_e32 v203, 2, v203
	v_bfe_u32 v202, v152, 24, 2
	v_and_b32_e32 v152, 0x3030303, v152
	v_and_b32_e32 v203, 0x4040404, v203
	v_sub_u16_e32 v204, v152, v203
	v_sub_u16_sdwa v205, v152, v203 dst_sel:BYTE_1 dst_unused:UNUSED_PAD src0_sel:BYTE_1 src1_sel:BYTE_1
	v_sub_u16_sdwa v152, v152, v203 dst_sel:DWORD dst_unused:UNUSED_PAD src0_sel:WORD_1 src1_sel:WORD_1
	v_sub_u16_sdwa v202, v202, v203 dst_sel:BYTE_1 dst_unused:UNUSED_PAD src0_sel:DWORD src1_sel:BYTE_3
	v_bitop3_b16 v204, v204, v205, s8 bitop3:0xec
	v_bitop3_b16 v152, v152, v202, s8 bitop3:0xec
	v_lshlrev_b32_e32 v152, 16, v152
	v_or_b32_sdwa v202, v204, v152 dst_sel:DWORD dst_unused:UNUSED_PAD src0_sel:WORD_0 src1_sel:DWORD
	v_add_u32_e32 v152, 0x2110, v154
	ds_read2_b32 v[204:205], v152 offset1:1
	ds_read2_b32 v[206:207], v208 offset0:4 offset1:5
	v_dot4c_i32_i8_e32 v216, v200, v37
	v_dot4c_i32_i8_e32 v170, v193, v38
	v_dot4c_i32_i8_e32 v171, v197, v34
	s_waitcnt lgkmcnt(1)
	v_ashrrev_i32_e32 v152, s21, v204
	s_waitcnt lgkmcnt(0)
	;; [unrolled: 36-line block ×3, first 2 shown]
	v_ashrrev_i32_e32 v206, s18, v208
	v_lshlrev_b32_e32 v206, 2, v206
	v_bfe_u32 v205, v152, 24, 2
	v_and_b32_e32 v152, 0x3030303, v152
	v_and_b32_e32 v206, 0x4040404, v206
	v_sub_u16_e32 v208, v152, v206
	v_sub_u16_sdwa v210, v152, v206 dst_sel:BYTE_1 dst_unused:UNUSED_PAD src0_sel:BYTE_1 src1_sel:BYTE_1
	v_sub_u16_sdwa v152, v152, v206 dst_sel:DWORD dst_unused:UNUSED_PAD src0_sel:WORD_1 src1_sel:WORD_1
	v_sub_u16_sdwa v205, v205, v206 dst_sel:BYTE_1 dst_unused:UNUSED_PAD src0_sel:DWORD src1_sel:BYTE_3
	v_bitop3_b16 v208, v208, v210, s8 bitop3:0xec
	v_bitop3_b16 v152, v152, v205, s8 bitop3:0xec
	v_lshlrev_b32_e32 v152, 16, v152
	v_or_b32_sdwa v205, v208, v152 dst_sel:DWORD dst_unused:UNUSED_PAD src0_sel:WORD_0 src1_sel:DWORD
	v_ashrrev_i32_e32 v152, s21, v207
	v_ashrrev_i32_e32 v207, s18, v209
	v_lshlrev_b32_e32 v207, 2, v207
	v_bfe_u32 v206, v152, 24, 2
	v_and_b32_e32 v152, 0x3030303, v152
	v_and_b32_e32 v207, 0x4040404, v207
	v_sub_u16_e32 v208, v152, v207
	v_sub_u16_sdwa v209, v152, v207 dst_sel:BYTE_1 dst_unused:UNUSED_PAD src0_sel:BYTE_1 src1_sel:BYTE_1
	v_sub_u16_sdwa v152, v152, v207 dst_sel:DWORD dst_unused:UNUSED_PAD src0_sel:WORD_1 src1_sel:WORD_1
	v_sub_u16_sdwa v206, v206, v207 dst_sel:BYTE_1 dst_unused:UNUSED_PAD src0_sel:DWORD src1_sel:BYTE_3
	v_bitop3_b16 v208, v208, v209, s8 bitop3:0xec
	v_bitop3_b16 v152, v152, v206, s8 bitop3:0xec
	v_lshlrev_b32_e32 v152, 16, v152
	v_add_u32_e32 v207, 0x3180, v154
	v_or_b32_sdwa v206, v208, v152 dst_sel:DWORD dst_unused:UNUSED_PAD src0_sel:WORD_0 src1_sel:DWORD
	ds_read2_b32 v[208:209], v207 offset1:1
	ds_read2_b32 v[210:211], v214 offset1:1
	v_add3_u32 v152, s24, v155, v123
	ds_read_b32 v152, v152
	v_dot4c_i32_i8_e32 v221, v205, v34
	s_waitcnt lgkmcnt(2)
	v_ashrrev_i32_e32 v207, s21, v208
	s_waitcnt lgkmcnt(1)
	v_ashrrev_i32_e32 v210, s18, v210
	v_lshlrev_b32_e32 v210, 2, v210
	v_bfe_u32 v208, v207, 24, 2
	v_and_b32_e32 v207, 0x3030303, v207
	v_and_b32_e32 v210, 0x4040404, v210
	v_sub_u16_e32 v212, v207, v210
	v_sub_u16_sdwa v213, v207, v210 dst_sel:BYTE_1 dst_unused:UNUSED_PAD src0_sel:BYTE_1 src1_sel:BYTE_1
	v_sub_u16_sdwa v207, v207, v210 dst_sel:DWORD dst_unused:UNUSED_PAD src0_sel:WORD_1 src1_sel:WORD_1
	v_sub_u16_sdwa v208, v208, v210 dst_sel:BYTE_1 dst_unused:UNUSED_PAD src0_sel:DWORD src1_sel:BYTE_3
	v_ashrrev_i32_e32 v210, s18, v211
	v_bitop3_b16 v207, v207, v208, s8 bitop3:0xec
	v_ashrrev_i32_e32 v208, s21, v209
	v_lshlrev_b32_e32 v210, 2, v210
	v_bitop3_b16 v212, v212, v213, s8 bitop3:0xec
	v_lshlrev_b32_e32 v207, 16, v207
	v_bfe_u32 v209, v208, 24, 2
	v_and_b32_e32 v208, 0x3030303, v208
	v_and_b32_e32 v210, 0x4040404, v210
	v_or_b32_sdwa v207, v212, v207 dst_sel:DWORD dst_unused:UNUSED_PAD src0_sel:WORD_0 src1_sel:DWORD
	v_sub_u16_e32 v211, v208, v210
	v_sub_u16_sdwa v212, v208, v210 dst_sel:BYTE_1 dst_unused:UNUSED_PAD src0_sel:BYTE_1 src1_sel:BYTE_1
	v_sub_u16_sdwa v208, v208, v210 dst_sel:DWORD dst_unused:UNUSED_PAD src0_sel:WORD_1 src1_sel:WORD_1
	v_sub_u16_sdwa v209, v209, v210 dst_sel:BYTE_1 dst_unused:UNUSED_PAD src0_sel:DWORD src1_sel:BYTE_3
	v_bitop3_b16 v211, v211, v212, s8 bitop3:0xec
	v_bitop3_b16 v208, v208, v209, s8 bitop3:0xec
	v_lshlrev_b32_e32 v208, 16, v208
	v_add_u32_e32 v209, 0x3188, v154
	v_or_b32_sdwa v208, v211, v208 dst_sel:DWORD dst_unused:UNUSED_PAD src0_sel:WORD_0 src1_sel:DWORD
	ds_read2_b32 v[210:211], v209 offset1:1
	ds_read2_b32 v[212:213], v214 offset0:2 offset1:3
	v_dot4c_i32_i8_e32 v168, v165, v35
	v_dot4c_i32_i8_e32 v170, v194, v39
	;; [unrolled: 1-line block ×3, first 2 shown]
	s_waitcnt lgkmcnt(1)
	v_ashrrev_i32_e32 v209, s21, v210
	s_waitcnt lgkmcnt(0)
	v_ashrrev_i32_e32 v212, s18, v212
	v_lshlrev_b32_e32 v212, 2, v212
	v_bfe_u32 v210, v209, 24, 2
	v_and_b32_e32 v209, 0x3030303, v209
	v_and_b32_e32 v212, 0x4040404, v212
	v_sub_u16_e32 v217, v209, v212
	v_sub_u16_sdwa v218, v209, v212 dst_sel:BYTE_1 dst_unused:UNUSED_PAD src0_sel:BYTE_1 src1_sel:BYTE_1
	v_sub_u16_sdwa v209, v209, v212 dst_sel:DWORD dst_unused:UNUSED_PAD src0_sel:WORD_1 src1_sel:WORD_1
	v_sub_u16_sdwa v210, v210, v212 dst_sel:BYTE_1 dst_unused:UNUSED_PAD src0_sel:DWORD src1_sel:BYTE_3
	v_ashrrev_i32_e32 v212, s18, v213
	v_bitop3_b16 v209, v209, v210, s8 bitop3:0xec
	v_ashrrev_i32_e32 v210, s21, v211
	v_lshlrev_b32_e32 v212, 2, v212
	v_bitop3_b16 v217, v217, v218, s8 bitop3:0xec
	v_lshlrev_b32_e32 v209, 16, v209
	v_bfe_u32 v211, v210, 24, 2
	v_and_b32_e32 v210, 0x3030303, v210
	v_and_b32_e32 v212, 0x4040404, v212
	v_or_b32_sdwa v209, v217, v209 dst_sel:DWORD dst_unused:UNUSED_PAD src0_sel:WORD_0 src1_sel:DWORD
	v_sub_u16_e32 v213, v210, v212
	v_sub_u16_sdwa v217, v210, v212 dst_sel:BYTE_1 dst_unused:UNUSED_PAD src0_sel:BYTE_1 src1_sel:BYTE_1
	v_sub_u16_sdwa v210, v210, v212 dst_sel:DWORD dst_unused:UNUSED_PAD src0_sel:WORD_1 src1_sel:WORD_1
	v_sub_u16_sdwa v211, v211, v212 dst_sel:BYTE_1 dst_unused:UNUSED_PAD src0_sel:DWORD src1_sel:BYTE_3
	v_bitop3_b16 v213, v213, v217, s8 bitop3:0xec
	v_bitop3_b16 v210, v210, v211, s8 bitop3:0xec
	v_lshlrev_b32_e32 v210, 16, v210
	v_add_u32_e32 v211, 0x3190, v154
	v_or_b32_sdwa v210, v213, v210 dst_sel:DWORD dst_unused:UNUSED_PAD src0_sel:WORD_0 src1_sel:DWORD
	ds_read2_b32 v[212:213], v211 offset1:1
	ds_read2_b32 v[218:219], v214 offset0:4 offset1:5
	v_add_u32_e32 v154, 0x3198, v154
	v_ashrrev_i32_e32 v214, s18, v222
	v_lshlrev_b32_e32 v214, 2, v214
	s_waitcnt lgkmcnt(1)
	v_ashrrev_i32_e32 v211, s21, v212
	s_waitcnt lgkmcnt(0)
	v_ashrrev_i32_e32 v217, s18, v218
	v_lshlrev_b32_e32 v217, 2, v217
	v_bfe_u32 v212, v211, 24, 2
	v_and_b32_e32 v211, 0x3030303, v211
	v_and_b32_e32 v217, 0x4040404, v217
	v_sub_u16_e32 v218, v211, v217
	v_sub_u16_sdwa v220, v211, v217 dst_sel:BYTE_1 dst_unused:UNUSED_PAD src0_sel:BYTE_1 src1_sel:BYTE_1
	v_sub_u16_sdwa v211, v211, v217 dst_sel:DWORD dst_unused:UNUSED_PAD src0_sel:WORD_1 src1_sel:WORD_1
	v_sub_u16_sdwa v212, v212, v217 dst_sel:BYTE_1 dst_unused:UNUSED_PAD src0_sel:DWORD src1_sel:BYTE_3
	v_ashrrev_i32_e32 v217, s18, v219
	v_bitop3_b16 v211, v211, v212, s8 bitop3:0xec
	v_ashrrev_i32_e32 v212, s21, v213
	v_lshlrev_b32_e32 v217, 2, v217
	v_bitop3_b16 v218, v218, v220, s8 bitop3:0xec
	v_lshlrev_b32_e32 v211, 16, v211
	v_bfe_u32 v213, v212, 24, 2
	v_and_b32_e32 v212, 0x3030303, v212
	v_and_b32_e32 v217, 0x4040404, v217
	v_or_b32_sdwa v211, v218, v211 dst_sel:DWORD dst_unused:UNUSED_PAD src0_sel:WORD_0 src1_sel:DWORD
	v_sub_u16_e32 v218, v212, v217
	v_sub_u16_sdwa v219, v212, v217 dst_sel:BYTE_1 dst_unused:UNUSED_PAD src0_sel:BYTE_1 src1_sel:BYTE_1
	v_sub_u16_sdwa v212, v212, v217 dst_sel:DWORD dst_unused:UNUSED_PAD src0_sel:WORD_1 src1_sel:WORD_1
	v_sub_u16_sdwa v213, v213, v217 dst_sel:BYTE_1 dst_unused:UNUSED_PAD src0_sel:DWORD src1_sel:BYTE_3
	v_bitop3_b16 v218, v218, v219, s8 bitop3:0xec
	v_bitop3_b16 v212, v212, v213, s8 bitop3:0xec
	v_lshlrev_b32_e32 v212, 16, v212
	v_or_b32_sdwa v212, v218, v212 dst_sel:DWORD dst_unused:UNUSED_PAD src0_sel:WORD_0 src1_sel:DWORD
	ds_read2_b32 v[218:219], v154 offset1:1
	v_and_b32_e32 v214, 0x4040404, v214
	v_dot4c_i32_i8_e32 v232, v211, v32
	v_dot4c_i32_i8_e32 v232, v212, v33
	;; [unrolled: 1-line block ×3, first 2 shown]
	s_waitcnt lgkmcnt(0)
	v_ashrrev_i32_e32 v154, s21, v218
	v_bfe_u32 v213, v154, 24, 2
	v_and_b32_e32 v154, 0x3030303, v154
	v_sub_u16_e32 v217, v154, v214
	v_sub_u16_sdwa v218, v154, v214 dst_sel:BYTE_1 dst_unused:UNUSED_PAD src0_sel:BYTE_1 src1_sel:BYTE_1
	v_sub_u16_sdwa v154, v154, v214 dst_sel:DWORD dst_unused:UNUSED_PAD src0_sel:WORD_1 src1_sel:WORD_1
	v_sub_u16_sdwa v213, v213, v214 dst_sel:BYTE_1 dst_unused:UNUSED_PAD src0_sel:DWORD src1_sel:BYTE_3
	v_bitop3_b16 v217, v217, v218, s8 bitop3:0xec
	v_bitop3_b16 v154, v154, v213, s8 bitop3:0xec
	v_lshlrev_b32_e32 v154, 16, v154
	v_or_b32_sdwa v213, v217, v154 dst_sel:DWORD dst_unused:UNUSED_PAD src0_sel:WORD_0 src1_sel:DWORD
	v_ashrrev_i32_e32 v217, s18, v223
	v_ashrrev_i32_e32 v154, s21, v219
	v_lshlrev_b32_e32 v217, 2, v217
	v_bfe_u32 v214, v154, 24, 2
	v_and_b32_e32 v154, 0x3030303, v154
	v_and_b32_e32 v217, 0x4040404, v217
	v_sub_u16_e32 v218, v154, v217
	v_sub_u16_sdwa v219, v154, v217 dst_sel:BYTE_1 dst_unused:UNUSED_PAD src0_sel:BYTE_1 src1_sel:BYTE_1
	v_sub_u16_sdwa v154, v154, v217 dst_sel:DWORD dst_unused:UNUSED_PAD src0_sel:WORD_1 src1_sel:WORD_1
	v_sub_u16_sdwa v214, v214, v217 dst_sel:BYTE_1 dst_unused:UNUSED_PAD src0_sel:DWORD src1_sel:BYTE_3
	v_mov_b32_e32 v223, 0
	v_bitop3_b16 v154, v154, v214, s8 bitop3:0xec
	v_dot4c_i32_i8_e32 v223, v207, v36
	v_bitop3_b16 v218, v218, v219, s8 bitop3:0xec
	v_lshlrev_b32_e32 v154, 16, v154
	v_dot4c_i32_i8_e32 v223, v208, v37
	v_or_b32_sdwa v214, v218, v154 dst_sel:DWORD dst_unused:UNUSED_PAD src0_sel:WORD_0 src1_sel:DWORD
	v_add3_u32 v154, s24, v173, v129
	v_dot4c_i32_i8_e32 v223, v209, v38
	v_dot4c_i32_i8_e32 v232, v213, v34
	v_dot4c_i32_i8_e32 v221, v206, v35
	ds_read_b32 v154, v154
	v_dot4c_i32_i8_e32 v223, v210, v39
	v_dot4c_i32_i8_e32 v232, v214, v35
	ds_read_b128 v[32:35], v189 offset:1024
	ds_read_b128 v[36:39], v189 offset:1040
	v_mov_b32_e32 v217, 0
	v_mov_b32_e32 v228, 0
	;; [unrolled: 1-line block ×8, first 2 shown]
	s_waitcnt lgkmcnt(1)
	v_dot4c_i32_i8_e32 v217, v158, v32
	s_waitcnt lgkmcnt(0)
	v_dot4c_i32_i8_e32 v228, v162, v36
	v_dot4c_i32_i8_e32 v238, v191, v32
	;; [unrolled: 1-line block ×31, first 2 shown]
	ds_read2_b32 v[218:219], v190 offset0:64 offset1:96
	ds_read_b128 v[32:35], v189 offset:2048
	ds_read_b128 v[36:39], v189 offset:2064
	v_mov_b32_e32 v225, 0
	v_mov_b32_e32 v224, 0
	;; [unrolled: 1-line block ×8, first 2 shown]
	s_waitcnt lgkmcnt(1)
	v_dot4c_i32_i8_e32 v225, v158, v32
	s_waitcnt lgkmcnt(0)
	v_dot4c_i32_i8_e32 v224, v162, v36
	v_dot4c_i32_i8_e32 v244, v191, v32
	;; [unrolled: 1-line block ×15, first 2 shown]
	v_add_u32_e32 v166, s22, v55
	v_dot4c_i32_i8_e32 v225, v160, v34
	v_dot4c_i32_i8_e32 v224, v164, v38
	v_dot4c_i32_i8_e32 v244, v193, v34
	v_dot4c_i32_i8_e32 v245, v197, v38
	v_dot4c_i32_i8_e32 v246, v201, v34
	v_dot4c_i32_i8_e32 v247, v205, v38
	v_dot4c_i32_i8_e32 v248, v209, v34
	v_dot4c_i32_i8_e32 v249, v213, v38
	v_dot4c_i32_i8_e32 v225, v161, v35
	v_dot4c_i32_i8_e32 v224, v165, v39
	v_dot4c_i32_i8_e32 v244, v194, v35
	v_dot4c_i32_i8_e32 v245, v198, v39
	v_dot4c_i32_i8_e32 v246, v202, v35
	v_dot4c_i32_i8_e32 v247, v206, v39
	v_dot4c_i32_i8_e32 v248, v210, v35
	v_dot4c_i32_i8_e32 v249, v214, v39
	ds_read_b128 v[32:35], v189 offset:3072
	ds_read_b128 v[36:39], v189 offset:3088
	ds_read_u16 v166, v166 offset:33538
	v_add_u32_e32 v169, s22, v57
	v_add_u32_e32 v215, s22, v59
	;; [unrolled: 1-line block ×3, first 2 shown]
	v_mov_b32_e32 v226, 0
	s_waitcnt lgkmcnt(0)
	v_lshrrev_b16_e32 v220, 8, v166
	v_bfe_i32 v166, v166, 0, 8
	v_bfe_i32 v233, v220, 0, 8
	v_mul_lo_u32 v168, v168, v233
	v_mul_lo_u32 v220, v217, v166
	v_mad_u64_u32 v[228:229], s[22:23], v228, v233, v[220:221]
	v_mad_u64_u32 v[230:231], s[22:23], v167, v166, v[168:169]
	v_dot4c_i32_i8_e32 v226, v158, v32
	v_mov_b32_e32 v227, 0
	v_cvt_f32_i32_e32 v229, v230
	v_cvt_f32_i32_e32 v228, v228
	v_dot4c_i32_i8_e32 v226, v159, v33
	v_dot4c_i32_i8_e32 v227, v162, v36
	;; [unrolled: 1-line block ×4, first 2 shown]
	v_mov_b32_e32 v234, v157
	v_mov_b32_e32 v235, v156
	v_dot4c_i32_i8_e32 v226, v161, v35
	v_dot4c_i32_i8_e32 v227, v164, v38
	v_pk_mul_f32 v[156:157], v[148:149], v[234:235] op_sel_hi:[0,1]
	v_dot4c_i32_i8_e32 v227, v165, v39
	v_mul_lo_u32 v224, v224, v233
	v_mul_lo_u32 v226, v226, v166
	v_pk_fma_f32 v[16:17], v[156:157], v[228:229], v[16:17]
	ds_read_u16 v156, v169 offset:34562
	v_mad_u64_u32 v[226:227], s[22:23], v227, v233, v[226:227]
	v_mad_u64_u32 v[224:225], s[22:23], v225, v166, v[224:225]
	v_cvt_f32_i32_e32 v225, v224
	v_cvt_f32_i32_e32 v224, v226
	v_mov_b32_e32 v157, 0
	v_dot4c_i32_i8_e32 v157, v191, v32
	v_mov_b32_e32 v236, v219
	v_mov_b32_e32 v237, v218
	v_dot4c_i32_i8_e32 v157, v192, v33
	v_pk_mul_f32 v[218:219], v[148:149], v[236:237] op_sel_hi:[0,1]
	v_dot4c_i32_i8_e32 v157, v193, v34
	s_waitcnt lgkmcnt(0)
	v_lshrrev_b16_e32 v168, 8, v156
	v_pk_fma_f32 v[18:19], v[218:219], v[224:225], v[18:19]
	v_dot4c_i32_i8_e32 v157, v194, v35
	v_bfe_i32 v219, v156, 0, 8
	v_bfe_i32 v220, v168, 0, 8
	v_mul_lo_u32 v156, v171, v220
	v_mul_lo_u32 v168, v238, v219
	;; [unrolled: 1-line block ×3, first 2 shown]
                                        ; kill: def $vgpr157 killed $sgpr0 killed $exec
	v_mov_b32_e32 v167, 0
	v_mad_u64_u32 v[168:169], s[22:23], v239, v220, v[168:169]
	v_mad_u64_u32 v[156:157], s[22:23], v170, v219, v[156:157]
	v_dot4c_i32_i8_e32 v167, v195, v36
	v_cvt_f32_i32_e32 v157, v156
	v_cvt_f32_i32_e32 v156, v168
	v_dot4c_i32_i8_e32 v167, v196, v37
	v_dot4c_i32_i8_e32 v167, v197, v38
	;; [unrolled: 1-line block ×3, first 2 shown]
	v_mul_lo_u32 v218, v245, v220
	v_pk_mul_f32 v[170:171], v[150:151], v[234:235] op_sel_hi:[0,1]
	v_mad_u64_u32 v[226:227], s[22:23], v244, v219, v[218:219]
	v_mad_u64_u32 v[224:225], s[22:23], v167, v220, v[224:225]
	v_pk_fma_f32 v[28:29], v[170:171], v[156:157], v[28:29]
	ds_read_u16 v156, v215 offset:35586
	v_cvt_f32_i32_e32 v169, v226
	v_cvt_f32_i32_e32 v168, v224
	v_mov_b32_e32 v157, 0
	v_dot4c_i32_i8_e32 v157, v199, v32
	v_pk_mul_f32 v[228:229], v[150:151], v[236:237] op_sel_hi:[0,1]
	v_dot4c_i32_i8_e32 v157, v200, v33
	v_pk_fma_f32 v[30:31], v[228:229], v[168:169], v[30:31]
	v_dot4c_i32_i8_e32 v157, v201, v34
	s_waitcnt lgkmcnt(0)
	v_lshrrev_b16_e32 v168, 8, v156
	v_dot4c_i32_i8_e32 v157, v202, v35
	v_bfe_i32 v217, v156, 0, 8
	v_bfe_i32 v218, v168, 0, 8
	v_mul_lo_u32 v156, v221, v218
	v_mul_lo_u32 v168, v240, v217
	;; [unrolled: 1-line block ×3, first 2 shown]
                                        ; kill: def $vgpr157 killed $sgpr0 killed $exec
	v_mad_u64_u32 v[168:169], s[22:23], v241, v218, v[168:169]
	v_mad_u64_u32 v[156:157], s[22:23], v216, v217, v[156:157]
	v_cvt_f32_i32_e32 v157, v156
	v_cvt_f32_i32_e32 v156, v168
	v_pk_mul_f32 v[226:227], v[152:153], v[234:235] op_sel_hi:[0,1]
	v_mov_b32_e32 v167, 0
	v_dot4c_i32_i8_e32 v167, v203, v36
	v_pk_fma_f32 v[24:25], v[226:227], v[156:157], v[24:25]
	v_mov_b32_e32 v156, 0
	v_dot4c_i32_i8_e32 v156, v207, v32
	ds_read_u16 v32, v222 offset:36610
	v_dot4c_i32_i8_e32 v156, v208, v33
	v_mov_b32_e32 v33, 0
	v_dot4c_i32_i8_e32 v33, v211, v36
	v_dot4c_i32_i8_e32 v167, v204, v37
	;; [unrolled: 1-line block ×7, first 2 shown]
	s_waitcnt lgkmcnt(0)
	v_lshrrev_b16_e32 v34, 8, v32
	v_bfe_i32 v215, v32, 0, 8
	v_dot4c_i32_i8_e32 v167, v206, v39
	v_mul_lo_u32 v170, v247, v218
	v_dot4c_i32_i8_e32 v33, v214, v39
	v_bfe_i32 v216, v34, 0, 8
	v_mul_lo_u32 v38, v156, v215
	v_mad_u64_u32 v[224:225], s[22:23], v167, v218, v[224:225]
	v_mad_u64_u32 v[170:171], s[22:23], v246, v217, v[170:171]
	v_mul_lo_u32 v32, v232, v216
	v_mul_lo_u32 v34, v242, v215
	;; [unrolled: 1-line block ×3, first 2 shown]
                                        ; kill: def $vgpr35 killed $sgpr0 killed $exec
	v_mad_u64_u32 v[38:39], s[22:23], v33, v216, v[38:39]
                                        ; kill: def $vgpr33 killed $sgpr0 killed $exec
	v_cvt_f32_i32_e32 v169, v170
	v_cvt_f32_i32_e32 v168, v224
	v_mad_u64_u32 v[36:37], s[22:23], v248, v215, v[36:37]
	v_mad_u64_u32 v[34:35], s[22:23], v243, v216, v[34:35]
	;; [unrolled: 1-line block ×3, first 2 shown]
	v_cvt_f32_i32_e32 v33, v32
	v_cvt_f32_i32_e32 v32, v34
	;; [unrolled: 1-line block ×4, first 2 shown]
	v_pk_mul_f32 v[228:229], v[152:153], v[236:237] op_sel_hi:[0,1]
	v_pk_fma_f32 v[26:27], v[228:229], v[168:169], v[26:27]
	v_pk_mul_f32 v[156:157], v[154:155], v[234:235] op_sel_hi:[0,1]
	v_pk_mul_f32 v[168:169], v[154:155], v[236:237] op_sel_hi:[0,1]
	v_pk_fma_f32 v[22:23], v[168:169], v[34:35], v[22:23]
	v_pk_fma_f32 v[20:21], v[156:157], v[32:33], v[20:21]
	ds_read2_b32 v[156:157], v190 offset0:128 offset1:160
	ds_read_b128 v[32:35], v189 offset:4096
	ds_read_b128 v[36:39], v189 offset:4112
	v_mov_b32_e32 v167, 0
	v_mov_b32_e32 v170, 0
	;; [unrolled: 1-line block ×8, first 2 shown]
	s_waitcnt lgkmcnt(1)
	v_dot4c_i32_i8_e32 v167, v158, v32
	s_waitcnt lgkmcnt(0)
	v_dot4c_i32_i8_e32 v170, v162, v36
	v_dot4c_i32_i8_e32 v229, v191, v32
	;; [unrolled: 1-line block ×31, first 2 shown]
	ds_read_b128 v[32:35], v189 offset:5120
	ds_read_b128 v[36:39], v189 offset:5136
	v_mov_b32_e32 v171, 0
	v_mov_b32_e32 v240, 0
	;; [unrolled: 1-line block ×8, first 2 shown]
	s_waitcnt lgkmcnt(1)
	v_dot4c_i32_i8_e32 v171, v158, v32
	s_waitcnt lgkmcnt(0)
	v_dot4c_i32_i8_e32 v240, v162, v36
	v_dot4c_i32_i8_e32 v232, v191, v32
	;; [unrolled: 1-line block ×31, first 2 shown]
	ds_read2_b32 v[168:169], v190 offset0:192 offset1:224
	ds_read_b128 v[32:35], v189 offset:6144
	ds_read_b128 v[36:39], v189 offset:6160
	v_mov_b32_e32 v241, 0
	v_mov_b32_e32 v242, 0
	v_mov_b32_e32 v238, 0
	v_mov_b32_e32 v239, 0
	v_mov_b32_e32 v236, 0
	v_mov_b32_e32 v237, 0
	v_mov_b32_e32 v234, 0
	v_mov_b32_e32 v235, 0
	s_waitcnt lgkmcnt(1)
	v_dot4c_i32_i8_e32 v241, v158, v32
	s_waitcnt lgkmcnt(0)
	v_dot4c_i32_i8_e32 v242, v162, v36
	v_dot4c_i32_i8_e32 v238, v191, v32
	;; [unrolled: 1-line block ×31, first 2 shown]
	ds_read_b128 v[36:39], v189 offset:7168
	ds_read_b128 v[32:35], v189 offset:7184
	v_mov_b32_e32 v243, 0
	s_add_i32 s19, s19, 2
	s_add_i32 s18, s18, 1
	s_waitcnt lgkmcnt(1)
	v_dot4c_i32_i8_e32 v243, v158, v36
	v_dot4c_i32_i8_e32 v243, v159, v37
	v_mov_b32_e32 v159, 0
	s_waitcnt lgkmcnt(0)
	v_dot4c_i32_i8_e32 v159, v162, v32
	v_dot4c_i32_i8_e32 v243, v160, v38
	;; [unrolled: 1-line block ×6, first 2 shown]
	v_mul_lo_u32 v160, v242, v233
	v_mul_lo_u32 v158, v243, v166
                                        ; kill: def $vgpr161 killed $sgpr0 killed $exec
	v_mul_lo_u32 v164, v170, v233
	v_mad_u64_u32 v[158:159], s[22:23], v159, v233, v[158:159]
	v_mad_u64_u32 v[160:161], s[22:23], v241, v166, v[160:161]
	v_cvt_f32_i32_e32 v159, v160
	v_cvt_f32_i32_e32 v158, v158
	v_mul_lo_u32 v162, v171, v166
	v_mad_u64_u32 v[164:165], s[22:23], v167, v166, v[164:165]
	v_mov_b32_e32 v166, v157
	v_mov_b32_e32 v167, v156
	v_mov_b32_e32 v156, v169
	v_mov_b32_e32 v157, v168
	v_pk_mul_f32 v[168:169], v[148:149], v[156:157] op_sel_hi:[0,1]
	v_mad_u64_u32 v[162:163], s[22:23], v240, v233, v[162:163]
	v_pk_fma_f32 v[14:15], v[168:169], v[158:159], v[14:15]
	v_mov_b32_e32 v159, 0
	v_cvt_f32_i32_e32 v163, v164
	v_cvt_f32_i32_e32 v162, v162
	v_dot4c_i32_i8_e32 v159, v191, v36
	v_dot4c_i32_i8_e32 v159, v192, v37
	v_mov_b32_e32 v161, 0
	v_dot4c_i32_i8_e32 v159, v193, v38
	v_dot4c_i32_i8_e32 v161, v195, v32
	v_pk_mul_f32 v[170:171], v[148:149], v[166:167] op_sel_hi:[0,1]
	v_dot4c_i32_i8_e32 v159, v194, v39
	v_dot4c_i32_i8_e32 v161, v196, v33
	v_pk_fma_f32 v[12:13], v[170:171], v[162:163], v[12:13]
	v_dot4c_i32_i8_e32 v161, v197, v34
	v_mul_lo_u32 v148, v230, v220
	v_mul_lo_u32 v158, v232, v219
	;; [unrolled: 1-line block ×3, first 2 shown]
                                        ; kill: def $vgpr159 killed $sgpr0 killed $exec
	v_dot4c_i32_i8_e32 v161, v198, v35
	v_mul_lo_u32 v160, v239, v220
	v_mad_u64_u32 v[158:159], s[22:23], v231, v220, v[158:159]
	v_mad_u64_u32 v[164:165], s[22:23], v229, v219, v[148:149]
	;; [unrolled: 1-line block ×4, first 2 shown]
	v_cvt_f32_i32_e32 v159, v164
	v_cvt_f32_i32_e32 v158, v158
	;; [unrolled: 1-line block ×4, first 2 shown]
	v_pk_mul_f32 v[168:169], v[150:151], v[166:167] op_sel_hi:[0,1]
	v_mul_lo_u32 v148, v226, v218
	v_pk_mul_f32 v[170:171], v[150:151], v[156:157] op_sel_hi:[0,1]
	v_pk_fma_f32 v[8:9], v[168:169], v[158:159], v[8:9]
	v_mov_b32_e32 v159, 0
	v_mad_u64_u32 v[164:165], s[22:23], v225, v217, v[148:149]
	v_mov_b32_e32 v148, 0
	v_pk_fma_f32 v[10:11], v[170:171], v[160:161], v[10:11]
	v_dot4c_i32_i8_e32 v159, v199, v36
	v_mov_b32_e32 v161, 0
	v_dot4c_i32_i8_e32 v148, v207, v36
	v_dot4c_i32_i8_e32 v159, v200, v37
	;; [unrolled: 1-line block ×4, first 2 shown]
	v_mov_b32_e32 v37, 0
	v_dot4c_i32_i8_e32 v159, v201, v38
	v_dot4c_i32_i8_e32 v161, v204, v33
	;; [unrolled: 1-line block ×8, first 2 shown]
	v_mul_lo_u32 v158, v237, v218
	v_mul_lo_u32 v160, v159, v217
                                        ; kill: def $vgpr159 killed $sgpr0 killed $exec
	v_dot4c_i32_i8_e32 v148, v210, v39
	v_dot4c_i32_i8_e32 v37, v213, v34
	v_mul_lo_u32 v150, v228, v217
	v_mad_u64_u32 v[160:161], s[22:23], v161, v218, v[160:161]
	v_mad_u64_u32 v[158:159], s[22:23], v236, v217, v[158:159]
	v_dot4c_i32_i8_e32 v37, v214, v35
	v_mul_lo_u32 v32, v222, v216
	v_mul_lo_u32 v34, v224, v215
	v_mul_lo_u32 v36, v235, v216
	v_mul_lo_u32 v38, v148, v215
                                        ; kill: def $vgpr33 killed $sgpr0 killed $exec
	v_mad_u64_u32 v[162:163], s[22:23], v227, v218, v[150:151]
	v_cvt_f32_i32_e32 v159, v158
	v_cvt_f32_i32_e32 v158, v160
	v_mad_u64_u32 v[38:39], s[22:23], v37, v216, v[38:39]
	v_mad_u64_u32 v[36:37], s[22:23], v234, v215, v[36:37]
	;; [unrolled: 1-line block ×4, first 2 shown]
	v_cvt_f32_i32_e32 v163, v164
	v_cvt_f32_i32_e32 v162, v162
	;; [unrolled: 1-line block ×6, first 2 shown]
	v_pk_mul_f32 v[170:171], v[152:153], v[156:157] op_sel_hi:[0,1]
	v_pk_mul_f32 v[168:169], v[152:153], v[166:167] op_sel_hi:[0,1]
	v_pk_fma_f32 v[6:7], v[170:171], v[158:159], v[6:7]
	v_pk_mul_f32 v[158:159], v[154:155], v[166:167] op_sel_hi:[0,1]
	v_pk_mul_f32 v[156:157], v[154:155], v[156:157] op_sel_hi:[0,1]
	v_pk_fma_f32 v[4:5], v[168:169], v[162:163], v[4:5]
	v_pk_fma_f32 v[2:3], v[156:157], v[34:35], v[2:3]
	;; [unrolled: 1-line block ×3, first 2 shown]
	v_add_u32_e32 v190, 4, v190
	v_add_u32_e32 v189, 32, v189
	s_cmp_lt_u32 s20, 14
	s_mov_b32 s22, s20
	s_cbranch_scc1 .LBB170_9
; %bb.10:                               ;   in Loop: Header=BB170_6 Depth=1
	s_or_b32 s18, s4, 1
	s_cmp_ge_i32 s18, s5
	s_barrier
	s_cbranch_scc1 .LBB170_5
; %bb.11:                               ;   in Loop: Header=BB170_6 Depth=1
	v_add_u32_e32 v148, s17, v125
	v_add_u32_e32 v150, v148, v97
	v_mad_i64_i32 v[156:157], s[18:19], v150, 36, v[84:85]
	v_add_u32_e32 v150, v148, v99
	v_add_u32_e32 v32, v148, v89
	;; [unrolled: 1-line block ×5, first 2 shown]
	v_mad_i64_i32 v[158:159], s[18:19], v150, 36, v[84:85]
	v_add_u32_e32 v150, v148, v101
	v_add_u32_e32 v148, v148, v103
	v_mad_i64_i32 v[162:163], s[18:19], v148, 36, v[84:85]
	v_add_u32_e32 v148, 8, v187
	v_mad_i64_i32 v[32:33], s[18:19], v32, 36, v[84:85]
	v_mad_i64_i32 v[34:35], s[18:19], v34, 36, v[84:85]
	;; [unrolled: 1-line block ×4, first 2 shown]
	v_mad_u64_u32 v[164:165], s[18:19], v148, 36, s[2:3]
	v_mad_i64_i32 v[160:161], s[18:19], v150, 36, v[84:85]
	global_load_dword v148, v[164:165], off
	s_nop 0
	global_load_dword v32, v[32:33], off offset:4
	s_nop 0
	global_load_dword v33, v[34:35], off offset:4
	;; [unrolled: 2-line block ×3, first 2 shown]
	global_load_dword v35, v[38:39], off offset:4
	s_nop 0
	global_load_dword v36, v[156:157], off offset:4
	global_load_dword v37, v[158:159], off offset:4
	;; [unrolled: 1-line block ×4, first 2 shown]
	s_mov_b32 s18, 16
	s_mov_b32 s22, 14
	;; [unrolled: 1-line block ×3, first 2 shown]
	v_mov_b32_e32 v189, v183
	v_mov_b32_e32 v190, v133
	s_waitcnt vmcnt(8)
	v_cvt_f32_f16_e32 v148, v148
	s_waitcnt vmcnt(7)
	ds_write_b32 v188, v32
	s_waitcnt vmcnt(6)
	ds_write_b32 v135, v33
	;; [unrolled: 2-line block ×8, first 2 shown]
	ds_write_b32 v87, v148
	s_waitcnt lgkmcnt(0)
	s_barrier
.LBB170_12:                             ;   Parent Loop BB170_6 Depth=1
                                        ; =>  This Inner Loop Header: Depth=2
	s_add_i32 s20, s22, 2
	s_lshr_b32 s25, s20, 4
	s_and_b32 s23, s20, 0x3ffffff8
	v_lshl_add_u32 v154, s23, 2, v177
	s_lshl_b32 s23, s25, 5
	s_addk_i32 s23, 0x4200
	v_add3_u32 v152, s23, v184, v178
	v_add3_u32 v214, s23, v172, v127
	ds_read2_b32 v[156:157], v190 offset1:32
	ds_read_b128 v[36:39], v189
	ds_read_b128 v[32:35], v189 offset:16
	ds_read2_b32 v[158:159], v154 offset1:1
	ds_read2_b32 v[222:223], v214 offset0:6 offset1:7
	ds_read2_b32 v[160:161], v152 offset1:1
	s_add_i32 s21, s22, -14
	s_and_b32 s24, s18, -16
	s_waitcnt lgkmcnt(2)
	v_ashrrev_i32_e32 v148, s21, v158
	v_bfe_u32 v150, v148, 24, 2
	s_waitcnt lgkmcnt(0)
	v_ashrrev_i32_e32 v158, s19, v160
	v_lshlrev_b32_e32 v158, 2, v158
	v_and_b32_e32 v148, 0x3030303, v148
	v_and_b32_e32 v158, 0x4040404, v158
	v_sub_u16_e32 v160, v148, v158
	v_sub_u16_sdwa v162, v148, v158 dst_sel:BYTE_1 dst_unused:UNUSED_PAD src0_sel:BYTE_1 src1_sel:BYTE_1
	v_sub_u16_sdwa v148, v148, v158 dst_sel:DWORD dst_unused:UNUSED_PAD src0_sel:WORD_1 src1_sel:WORD_1
	v_sub_u16_sdwa v150, v150, v158 dst_sel:BYTE_1 dst_unused:UNUSED_PAD src0_sel:DWORD src1_sel:BYTE_3
	v_bitop3_b16 v160, v160, v162, s8 bitop3:0xec
	v_bitop3_b16 v148, v148, v150, s8 bitop3:0xec
	v_lshlrev_b32_e32 v148, 16, v148
	v_or_b32_sdwa v158, v160, v148 dst_sel:DWORD dst_unused:UNUSED_PAD src0_sel:WORD_0 src1_sel:DWORD
	v_ashrrev_i32_e32 v148, s21, v159
	v_ashrrev_i32_e32 v159, s19, v161
	v_lshlrev_b32_e32 v159, 2, v159
	v_bfe_u32 v150, v148, 24, 2
	v_and_b32_e32 v148, 0x3030303, v148
	v_and_b32_e32 v159, 0x4040404, v159
	v_sub_u16_e32 v160, v148, v159
	v_sub_u16_sdwa v161, v148, v159 dst_sel:BYTE_1 dst_unused:UNUSED_PAD src0_sel:BYTE_1 src1_sel:BYTE_1
	v_sub_u16_sdwa v148, v148, v159 dst_sel:DWORD dst_unused:UNUSED_PAD src0_sel:WORD_1 src1_sel:WORD_1
	v_sub_u16_sdwa v150, v150, v159 dst_sel:BYTE_1 dst_unused:UNUSED_PAD src0_sel:DWORD src1_sel:BYTE_3
	v_bitop3_b16 v160, v160, v161, s8 bitop3:0xec
	v_bitop3_b16 v148, v148, v150, s8 bitop3:0xec
	v_lshlrev_b32_e32 v148, 16, v148
	v_or_b32_sdwa v159, v160, v148 dst_sel:DWORD dst_unused:UNUSED_PAD src0_sel:WORD_0 src1_sel:DWORD
	ds_read2_b32 v[160:161], v154 offset0:2 offset1:3
	ds_read2_b32 v[162:163], v152 offset0:2 offset1:3
	s_add_i32 s22, s22, s24
	s_lshl_b32 s24, s25, 2
	s_add_i32 s24, s24, 0x9380
	s_waitcnt lgkmcnt(1)
	v_ashrrev_i32_e32 v148, s21, v160
	s_waitcnt lgkmcnt(0)
	v_ashrrev_i32_e32 v160, s19, v162
	v_lshlrev_b32_e32 v160, 2, v160
	v_bfe_u32 v150, v148, 24, 2
	v_and_b32_e32 v148, 0x3030303, v148
	v_and_b32_e32 v160, 0x4040404, v160
	v_sub_u16_e32 v162, v148, v160
	v_sub_u16_sdwa v164, v148, v160 dst_sel:BYTE_1 dst_unused:UNUSED_PAD src0_sel:BYTE_1 src1_sel:BYTE_1
	v_sub_u16_sdwa v148, v148, v160 dst_sel:DWORD dst_unused:UNUSED_PAD src0_sel:WORD_1 src1_sel:WORD_1
	v_sub_u16_sdwa v150, v150, v160 dst_sel:BYTE_1 dst_unused:UNUSED_PAD src0_sel:DWORD src1_sel:BYTE_3
	v_bitop3_b16 v162, v162, v164, s8 bitop3:0xec
	v_bitop3_b16 v148, v148, v150, s8 bitop3:0xec
	v_lshlrev_b32_e32 v148, 16, v148
	v_or_b32_sdwa v160, v162, v148 dst_sel:DWORD dst_unused:UNUSED_PAD src0_sel:WORD_0 src1_sel:DWORD
	v_ashrrev_i32_e32 v148, s21, v161
	v_ashrrev_i32_e32 v161, s19, v163
	v_lshlrev_b32_e32 v161, 2, v161
	v_bfe_u32 v150, v148, 24, 2
	v_and_b32_e32 v148, 0x3030303, v148
	v_and_b32_e32 v161, 0x4040404, v161
	v_sub_u16_e32 v162, v148, v161
	v_sub_u16_sdwa v163, v148, v161 dst_sel:BYTE_1 dst_unused:UNUSED_PAD src0_sel:BYTE_1 src1_sel:BYTE_1
	v_sub_u16_sdwa v148, v148, v161 dst_sel:DWORD dst_unused:UNUSED_PAD src0_sel:WORD_1 src1_sel:WORD_1
	v_sub_u16_sdwa v150, v150, v161 dst_sel:BYTE_1 dst_unused:UNUSED_PAD src0_sel:DWORD src1_sel:BYTE_3
	v_bitop3_b16 v162, v162, v163, s8 bitop3:0xec
	v_bitop3_b16 v148, v148, v150, s8 bitop3:0xec
	v_lshlrev_b32_e32 v148, 16, v148
	v_or_b32_sdwa v161, v162, v148 dst_sel:DWORD dst_unused:UNUSED_PAD src0_sel:WORD_0 src1_sel:DWORD
	ds_read2_b32 v[162:163], v154 offset0:4 offset1:5
	ds_read2_b32 v[164:165], v152 offset0:4 offset1:5
	v_add3_u32 v169, s23, v149, v113
	ds_read2_b32 v[192:193], v169 offset1:1
	v_add3_u32 v208, s23, v153, v121
	s_waitcnt lgkmcnt(2)
	v_ashrrev_i32_e32 v148, s21, v162
	s_waitcnt lgkmcnt(1)
	v_ashrrev_i32_e32 v162, s19, v164
	v_lshlrev_b32_e32 v162, 2, v162
	v_bfe_u32 v150, v148, 24, 2
	v_and_b32_e32 v148, 0x3030303, v148
	v_and_b32_e32 v162, 0x4040404, v162
	v_sub_u16_e32 v164, v148, v162
	v_sub_u16_sdwa v166, v148, v162 dst_sel:BYTE_1 dst_unused:UNUSED_PAD src0_sel:BYTE_1 src1_sel:BYTE_1
	v_sub_u16_sdwa v148, v148, v162 dst_sel:DWORD dst_unused:UNUSED_PAD src0_sel:WORD_1 src1_sel:WORD_1
	v_sub_u16_sdwa v150, v150, v162 dst_sel:BYTE_1 dst_unused:UNUSED_PAD src0_sel:DWORD src1_sel:BYTE_3
	v_bitop3_b16 v164, v164, v166, s8 bitop3:0xec
	v_bitop3_b16 v148, v148, v150, s8 bitop3:0xec
	v_lshlrev_b32_e32 v148, 16, v148
	v_or_b32_sdwa v162, v164, v148 dst_sel:DWORD dst_unused:UNUSED_PAD src0_sel:WORD_0 src1_sel:DWORD
	v_ashrrev_i32_e32 v148, s21, v163
	v_ashrrev_i32_e32 v163, s19, v165
	v_lshlrev_b32_e32 v163, 2, v163
	v_bfe_u32 v150, v148, 24, 2
	v_and_b32_e32 v148, 0x3030303, v148
	v_and_b32_e32 v163, 0x4040404, v163
	v_sub_u16_e32 v164, v148, v163
	v_sub_u16_sdwa v165, v148, v163 dst_sel:BYTE_1 dst_unused:UNUSED_PAD src0_sel:BYTE_1 src1_sel:BYTE_1
	v_sub_u16_sdwa v148, v148, v163 dst_sel:DWORD dst_unused:UNUSED_PAD src0_sel:WORD_1 src1_sel:WORD_1
	v_sub_u16_sdwa v150, v150, v163 dst_sel:BYTE_1 dst_unused:UNUSED_PAD src0_sel:DWORD src1_sel:BYTE_3
	v_bitop3_b16 v164, v164, v165, s8 bitop3:0xec
	v_bitop3_b16 v148, v148, v150, s8 bitop3:0xec
	v_lshlrev_b32_e32 v148, 16, v148
	v_or_b32_sdwa v163, v164, v148 dst_sel:DWORD dst_unused:UNUSED_PAD src0_sel:WORD_0 src1_sel:DWORD
	ds_read2_b32 v[164:165], v154 offset0:6 offset1:7
	ds_read2_b32 v[166:167], v152 offset0:6 offset1:7
	;; [unrolled: 1-line block ×4, first 2 shown]
	v_mov_b32_e32 v168, 0
	s_waitcnt lgkmcnt(3)
	v_ashrrev_i32_e32 v148, s21, v164
	s_waitcnt lgkmcnt(2)
	v_ashrrev_i32_e32 v152, s19, v166
	v_lshlrev_b32_e32 v152, 2, v152
	v_bfe_u32 v150, v148, 24, 2
	v_and_b32_e32 v148, 0x3030303, v148
	v_and_b32_e32 v152, 0x4040404, v152
	v_sub_u16_e32 v164, v148, v152
	v_sub_u16_sdwa v166, v148, v152 dst_sel:BYTE_1 dst_unused:UNUSED_PAD src0_sel:BYTE_1 src1_sel:BYTE_1
	v_sub_u16_sdwa v148, v148, v152 dst_sel:DWORD dst_unused:UNUSED_PAD src0_sel:WORD_1 src1_sel:WORD_1
	v_sub_u16_sdwa v150, v150, v152 dst_sel:BYTE_1 dst_unused:UNUSED_PAD src0_sel:DWORD src1_sel:BYTE_3
	v_bitop3_b16 v164, v164, v166, s8 bitop3:0xec
	v_bitop3_b16 v148, v148, v150, s8 bitop3:0xec
	v_lshlrev_b32_e32 v148, 16, v148
	v_ashrrev_i32_e32 v152, s19, v167
	v_or_b32_sdwa v164, v164, v148 dst_sel:DWORD dst_unused:UNUSED_PAD src0_sel:WORD_0 src1_sel:DWORD
	v_ashrrev_i32_e32 v148, s21, v165
	v_lshlrev_b32_e32 v152, 2, v152
	v_bfe_u32 v150, v148, 24, 2
	v_and_b32_e32 v148, 0x3030303, v148
	v_and_b32_e32 v152, 0x4040404, v152
	v_sub_u16_e32 v165, v148, v152
	v_sub_u16_sdwa v166, v148, v152 dst_sel:BYTE_1 dst_unused:UNUSED_PAD src0_sel:BYTE_1 src1_sel:BYTE_1
	v_sub_u16_sdwa v148, v148, v152 dst_sel:DWORD dst_unused:UNUSED_PAD src0_sel:WORD_1 src1_sel:WORD_1
	v_sub_u16_sdwa v150, v150, v152 dst_sel:BYTE_1 dst_unused:UNUSED_PAD src0_sel:DWORD src1_sel:BYTE_3
	v_bitop3_b16 v165, v165, v166, s8 bitop3:0xec
	v_bitop3_b16 v148, v148, v150, s8 bitop3:0xec
	v_lshlrev_b32_e32 v148, 16, v148
	v_or_b32_sdwa v165, v165, v148 dst_sel:DWORD dst_unused:UNUSED_PAD src0_sel:WORD_0 src1_sel:DWORD
	v_add3_u32 v148, s24, v185, v186
	v_add_u32_e32 v150, 0x1080, v154
	ds_read_b32 v148, v148
	ds_read2_b32 v[170:171], v150 offset1:1
	ds_read2_b32 v[198:199], v169 offset0:6 offset1:7
	ds_read2_b32 v[202:203], v208 offset1:1
	v_mov_b32_e32 v167, 0
	v_mov_b32_e32 v216, 0
	s_waitcnt lgkmcnt(2)
	v_ashrrev_i32_e32 v150, s21, v170
	v_ashrrev_i32_e32 v170, s19, v192
	v_lshlrev_b32_e32 v170, 2, v170
	v_bfe_u32 v152, v150, 24, 2
	v_and_b32_e32 v150, 0x3030303, v150
	v_and_b32_e32 v170, 0x4040404, v170
	v_sub_u16_e32 v191, v150, v170
	v_sub_u16_sdwa v192, v150, v170 dst_sel:BYTE_1 dst_unused:UNUSED_PAD src0_sel:BYTE_1 src1_sel:BYTE_1
	v_sub_u16_sdwa v150, v150, v170 dst_sel:DWORD dst_unused:UNUSED_PAD src0_sel:WORD_1 src1_sel:WORD_1
	v_sub_u16_sdwa v152, v152, v170 dst_sel:BYTE_1 dst_unused:UNUSED_PAD src0_sel:DWORD src1_sel:BYTE_3
	v_bitop3_b16 v191, v191, v192, s8 bitop3:0xec
	v_bitop3_b16 v150, v150, v152, s8 bitop3:0xec
	v_lshlrev_b32_e32 v150, 16, v150
	v_ashrrev_i32_e32 v170, s19, v193
	v_or_b32_sdwa v191, v191, v150 dst_sel:DWORD dst_unused:UNUSED_PAD src0_sel:WORD_0 src1_sel:DWORD
	v_ashrrev_i32_e32 v150, s21, v171
	v_lshlrev_b32_e32 v170, 2, v170
	v_bfe_u32 v152, v150, 24, 2
	v_and_b32_e32 v150, 0x3030303, v150
	v_and_b32_e32 v170, 0x4040404, v170
	v_sub_u16_e32 v171, v150, v170
	v_sub_u16_sdwa v192, v150, v170 dst_sel:BYTE_1 dst_unused:UNUSED_PAD src0_sel:BYTE_1 src1_sel:BYTE_1
	v_sub_u16_sdwa v150, v150, v170 dst_sel:DWORD dst_unused:UNUSED_PAD src0_sel:WORD_1 src1_sel:WORD_1
	v_sub_u16_sdwa v152, v152, v170 dst_sel:BYTE_1 dst_unused:UNUSED_PAD src0_sel:DWORD src1_sel:BYTE_3
	v_bitop3_b16 v171, v171, v192, s8 bitop3:0xec
	v_bitop3_b16 v150, v150, v152, s8 bitop3:0xec
	v_lshlrev_b32_e32 v150, 16, v150
	v_or_b32_sdwa v192, v171, v150 dst_sel:DWORD dst_unused:UNUSED_PAD src0_sel:WORD_0 src1_sel:DWORD
	v_add_u32_e32 v150, 0x1088, v154
	ds_read2_b32 v[170:171], v150 offset1:1
	s_waitcnt lgkmcnt(2)
	v_ashrrev_i32_e32 v169, s19, v198
	v_lshlrev_b32_e32 v169, 2, v169
	v_and_b32_e32 v169, 0x4040404, v169
	v_mov_b32_e32 v221, 0
	s_waitcnt lgkmcnt(0)
	v_ashrrev_i32_e32 v150, s21, v170
	v_ashrrev_i32_e32 v170, s19, v194
	v_lshlrev_b32_e32 v170, 2, v170
	v_bfe_u32 v152, v150, 24, 2
	v_and_b32_e32 v150, 0x3030303, v150
	v_and_b32_e32 v170, 0x4040404, v170
	v_sub_u16_e32 v193, v150, v170
	v_sub_u16_sdwa v194, v150, v170 dst_sel:BYTE_1 dst_unused:UNUSED_PAD src0_sel:BYTE_1 src1_sel:BYTE_1
	v_sub_u16_sdwa v150, v150, v170 dst_sel:DWORD dst_unused:UNUSED_PAD src0_sel:WORD_1 src1_sel:WORD_1
	v_sub_u16_sdwa v152, v152, v170 dst_sel:BYTE_1 dst_unused:UNUSED_PAD src0_sel:DWORD src1_sel:BYTE_3
	v_bitop3_b16 v193, v193, v194, s8 bitop3:0xec
	v_bitop3_b16 v150, v150, v152, s8 bitop3:0xec
	v_lshlrev_b32_e32 v150, 16, v150
	v_ashrrev_i32_e32 v170, s19, v195
	v_or_b32_sdwa v193, v193, v150 dst_sel:DWORD dst_unused:UNUSED_PAD src0_sel:WORD_0 src1_sel:DWORD
	v_ashrrev_i32_e32 v150, s21, v171
	v_lshlrev_b32_e32 v170, 2, v170
	v_bfe_u32 v152, v150, 24, 2
	v_and_b32_e32 v150, 0x3030303, v150
	v_and_b32_e32 v170, 0x4040404, v170
	v_sub_u16_e32 v171, v150, v170
	v_sub_u16_sdwa v194, v150, v170 dst_sel:BYTE_1 dst_unused:UNUSED_PAD src0_sel:BYTE_1 src1_sel:BYTE_1
	v_sub_u16_sdwa v150, v150, v170 dst_sel:DWORD dst_unused:UNUSED_PAD src0_sel:WORD_1 src1_sel:WORD_1
	v_sub_u16_sdwa v152, v152, v170 dst_sel:BYTE_1 dst_unused:UNUSED_PAD src0_sel:DWORD src1_sel:BYTE_3
	v_bitop3_b16 v171, v171, v194, s8 bitop3:0xec
	v_bitop3_b16 v150, v150, v152, s8 bitop3:0xec
	v_lshlrev_b32_e32 v150, 16, v150
	v_or_b32_sdwa v194, v171, v150 dst_sel:DWORD dst_unused:UNUSED_PAD src0_sel:WORD_0 src1_sel:DWORD
	v_add_u32_e32 v150, 0x1090, v154
	ds_read2_b32 v[170:171], v150 offset1:1
	v_mov_b32_e32 v232, 0
	v_dot4c_i32_i8_e32 v167, v158, v36
	v_dot4c_i32_i8_e32 v168, v162, v32
	;; [unrolled: 1-line block ×3, first 2 shown]
	s_waitcnt lgkmcnt(0)
	v_ashrrev_i32_e32 v150, s21, v170
	v_ashrrev_i32_e32 v170, s19, v196
	v_lshlrev_b32_e32 v170, 2, v170
	v_bfe_u32 v152, v150, 24, 2
	v_and_b32_e32 v150, 0x3030303, v150
	v_and_b32_e32 v170, 0x4040404, v170
	v_sub_u16_e32 v195, v150, v170
	v_sub_u16_sdwa v196, v150, v170 dst_sel:BYTE_1 dst_unused:UNUSED_PAD src0_sel:BYTE_1 src1_sel:BYTE_1
	v_sub_u16_sdwa v150, v150, v170 dst_sel:DWORD dst_unused:UNUSED_PAD src0_sel:WORD_1 src1_sel:WORD_1
	v_sub_u16_sdwa v152, v152, v170 dst_sel:BYTE_1 dst_unused:UNUSED_PAD src0_sel:DWORD src1_sel:BYTE_3
	v_bitop3_b16 v195, v195, v196, s8 bitop3:0xec
	v_bitop3_b16 v150, v150, v152, s8 bitop3:0xec
	v_lshlrev_b32_e32 v150, 16, v150
	v_ashrrev_i32_e32 v170, s19, v197
	v_or_b32_sdwa v195, v195, v150 dst_sel:DWORD dst_unused:UNUSED_PAD src0_sel:WORD_0 src1_sel:DWORD
	v_ashrrev_i32_e32 v150, s21, v171
	v_lshlrev_b32_e32 v170, 2, v170
	v_bfe_u32 v152, v150, 24, 2
	v_and_b32_e32 v150, 0x3030303, v150
	v_and_b32_e32 v170, 0x4040404, v170
	v_sub_u16_e32 v171, v150, v170
	v_sub_u16_sdwa v196, v150, v170 dst_sel:BYTE_1 dst_unused:UNUSED_PAD src0_sel:BYTE_1 src1_sel:BYTE_1
	v_sub_u16_sdwa v150, v150, v170 dst_sel:DWORD dst_unused:UNUSED_PAD src0_sel:WORD_1 src1_sel:WORD_1
	v_sub_u16_sdwa v152, v152, v170 dst_sel:BYTE_1 dst_unused:UNUSED_PAD src0_sel:DWORD src1_sel:BYTE_3
	v_bitop3_b16 v171, v171, v196, s8 bitop3:0xec
	v_bitop3_b16 v150, v150, v152, s8 bitop3:0xec
	v_lshlrev_b32_e32 v150, 16, v150
	v_or_b32_sdwa v196, v171, v150 dst_sel:DWORD dst_unused:UNUSED_PAD src0_sel:WORD_0 src1_sel:DWORD
	v_add_u32_e32 v150, 0x1098, v154
	ds_read2_b32 v[170:171], v150 offset1:1
	v_dot4c_i32_i8_e32 v168, v163, v33
	v_dot4c_i32_i8_e32 v167, v160, v38
	;; [unrolled: 1-line block ×4, first 2 shown]
	s_waitcnt lgkmcnt(0)
	v_ashrrev_i32_e32 v150, s21, v170
	v_bfe_u32 v152, v150, 24, 2
	v_and_b32_e32 v150, 0x3030303, v150
	v_sub_u16_e32 v170, v150, v169
	v_sub_u16_sdwa v197, v150, v169 dst_sel:BYTE_1 dst_unused:UNUSED_PAD src0_sel:BYTE_1 src1_sel:BYTE_1
	v_sub_u16_sdwa v150, v150, v169 dst_sel:DWORD dst_unused:UNUSED_PAD src0_sel:WORD_1 src1_sel:WORD_1
	v_sub_u16_sdwa v152, v152, v169 dst_sel:BYTE_1 dst_unused:UNUSED_PAD src0_sel:DWORD src1_sel:BYTE_3
	v_bitop3_b16 v170, v170, v197, s8 bitop3:0xec
	v_bitop3_b16 v150, v150, v152, s8 bitop3:0xec
	v_lshlrev_b32_e32 v150, 16, v150
	v_ashrrev_i32_e32 v169, s19, v199
	v_or_b32_sdwa v197, v170, v150 dst_sel:DWORD dst_unused:UNUSED_PAD src0_sel:WORD_0 src1_sel:DWORD
	v_ashrrev_i32_e32 v150, s21, v171
	v_lshlrev_b32_e32 v169, 2, v169
	v_bfe_u32 v152, v150, 24, 2
	v_and_b32_e32 v150, 0x3030303, v150
	v_and_b32_e32 v169, 0x4040404, v169
	v_sub_u16_e32 v170, v150, v169
	v_sub_u16_sdwa v171, v150, v169 dst_sel:BYTE_1 dst_unused:UNUSED_PAD src0_sel:BYTE_1 src1_sel:BYTE_1
	v_sub_u16_sdwa v150, v150, v169 dst_sel:DWORD dst_unused:UNUSED_PAD src0_sel:WORD_1 src1_sel:WORD_1
	v_sub_u16_sdwa v152, v152, v169 dst_sel:BYTE_1 dst_unused:UNUSED_PAD src0_sel:DWORD src1_sel:BYTE_3
	v_bitop3_b16 v170, v170, v171, s8 bitop3:0xec
	v_bitop3_b16 v150, v150, v152, s8 bitop3:0xec
	v_lshlrev_b32_e32 v150, 16, v150
	v_or_b32_sdwa v198, v170, v150 dst_sel:DWORD dst_unused:UNUSED_PAD src0_sel:WORD_0 src1_sel:DWORD
	v_add3_u32 v150, s24, v151, v117
	v_add_u32_e32 v152, 0x2100, v154
	ds_read_b32 v150, v150
	ds_read2_b32 v[200:201], v152 offset1:1
	v_mov_b32_e32 v170, 0
	v_mov_b32_e32 v171, 0
	v_dot4c_i32_i8_e32 v170, v191, v36
	v_dot4c_i32_i8_e32 v171, v195, v32
	s_waitcnt lgkmcnt(0)
	v_ashrrev_i32_e32 v152, s21, v200
	v_ashrrev_i32_e32 v200, s19, v202
	v_lshlrev_b32_e32 v200, 2, v200
	v_bfe_u32 v199, v152, 24, 2
	v_and_b32_e32 v152, 0x3030303, v152
	v_and_b32_e32 v200, 0x4040404, v200
	v_sub_u16_e32 v202, v152, v200
	v_sub_u16_sdwa v204, v152, v200 dst_sel:BYTE_1 dst_unused:UNUSED_PAD src0_sel:BYTE_1 src1_sel:BYTE_1
	v_sub_u16_sdwa v152, v152, v200 dst_sel:DWORD dst_unused:UNUSED_PAD src0_sel:WORD_1 src1_sel:WORD_1
	v_sub_u16_sdwa v199, v199, v200 dst_sel:BYTE_1 dst_unused:UNUSED_PAD src0_sel:DWORD src1_sel:BYTE_3
	v_bitop3_b16 v202, v202, v204, s8 bitop3:0xec
	v_bitop3_b16 v152, v152, v199, s8 bitop3:0xec
	v_lshlrev_b32_e32 v152, 16, v152
	v_or_b32_sdwa v199, v202, v152 dst_sel:DWORD dst_unused:UNUSED_PAD src0_sel:WORD_0 src1_sel:DWORD
	v_ashrrev_i32_e32 v152, s21, v201
	v_ashrrev_i32_e32 v201, s19, v203
	v_lshlrev_b32_e32 v201, 2, v201
	v_bfe_u32 v200, v152, 24, 2
	v_and_b32_e32 v152, 0x3030303, v152
	v_and_b32_e32 v201, 0x4040404, v201
	v_sub_u16_e32 v202, v152, v201
	v_sub_u16_sdwa v203, v152, v201 dst_sel:BYTE_1 dst_unused:UNUSED_PAD src0_sel:BYTE_1 src1_sel:BYTE_1
	v_sub_u16_sdwa v152, v152, v201 dst_sel:DWORD dst_unused:UNUSED_PAD src0_sel:WORD_1 src1_sel:WORD_1
	v_sub_u16_sdwa v200, v200, v201 dst_sel:BYTE_1 dst_unused:UNUSED_PAD src0_sel:DWORD src1_sel:BYTE_3
	v_bitop3_b16 v202, v202, v203, s8 bitop3:0xec
	v_bitop3_b16 v152, v152, v200, s8 bitop3:0xec
	v_lshlrev_b32_e32 v152, 16, v152
	v_or_b32_sdwa v200, v202, v152 dst_sel:DWORD dst_unused:UNUSED_PAD src0_sel:WORD_0 src1_sel:DWORD
	v_add_u32_e32 v152, 0x2108, v154
	ds_read2_b32 v[202:203], v152 offset1:1
	ds_read2_b32 v[204:205], v208 offset0:2 offset1:3
	v_dot4c_i32_i8_e32 v216, v199, v36
	v_dot4c_i32_i8_e32 v170, v192, v37
	v_dot4c_i32_i8_e32 v171, v196, v33
	s_waitcnt lgkmcnt(1)
	v_ashrrev_i32_e32 v152, s21, v202
	s_waitcnt lgkmcnt(0)
	v_ashrrev_i32_e32 v202, s19, v204
	v_lshlrev_b32_e32 v202, 2, v202
	v_bfe_u32 v201, v152, 24, 2
	v_and_b32_e32 v152, 0x3030303, v152
	v_and_b32_e32 v202, 0x4040404, v202
	v_sub_u16_e32 v204, v152, v202
	v_sub_u16_sdwa v206, v152, v202 dst_sel:BYTE_1 dst_unused:UNUSED_PAD src0_sel:BYTE_1 src1_sel:BYTE_1
	v_sub_u16_sdwa v152, v152, v202 dst_sel:DWORD dst_unused:UNUSED_PAD src0_sel:WORD_1 src1_sel:WORD_1
	v_sub_u16_sdwa v201, v201, v202 dst_sel:BYTE_1 dst_unused:UNUSED_PAD src0_sel:DWORD src1_sel:BYTE_3
	v_bitop3_b16 v204, v204, v206, s8 bitop3:0xec
	v_bitop3_b16 v152, v152, v201, s8 bitop3:0xec
	v_lshlrev_b32_e32 v152, 16, v152
	v_or_b32_sdwa v201, v204, v152 dst_sel:DWORD dst_unused:UNUSED_PAD src0_sel:WORD_0 src1_sel:DWORD
	v_ashrrev_i32_e32 v152, s21, v203
	v_ashrrev_i32_e32 v203, s19, v205
	v_lshlrev_b32_e32 v203, 2, v203
	v_bfe_u32 v202, v152, 24, 2
	v_and_b32_e32 v152, 0x3030303, v152
	v_and_b32_e32 v203, 0x4040404, v203
	v_sub_u16_e32 v204, v152, v203
	v_sub_u16_sdwa v205, v152, v203 dst_sel:BYTE_1 dst_unused:UNUSED_PAD src0_sel:BYTE_1 src1_sel:BYTE_1
	v_sub_u16_sdwa v152, v152, v203 dst_sel:DWORD dst_unused:UNUSED_PAD src0_sel:WORD_1 src1_sel:WORD_1
	v_sub_u16_sdwa v202, v202, v203 dst_sel:BYTE_1 dst_unused:UNUSED_PAD src0_sel:DWORD src1_sel:BYTE_3
	v_bitop3_b16 v204, v204, v205, s8 bitop3:0xec
	v_bitop3_b16 v152, v152, v202, s8 bitop3:0xec
	v_lshlrev_b32_e32 v152, 16, v152
	v_or_b32_sdwa v202, v204, v152 dst_sel:DWORD dst_unused:UNUSED_PAD src0_sel:WORD_0 src1_sel:DWORD
	v_add_u32_e32 v152, 0x2110, v154
	ds_read2_b32 v[204:205], v152 offset1:1
	ds_read2_b32 v[206:207], v208 offset0:4 offset1:5
	v_dot4c_i32_i8_e32 v216, v200, v37
	v_dot4c_i32_i8_e32 v170, v193, v38
	v_dot4c_i32_i8_e32 v171, v197, v34
	s_waitcnt lgkmcnt(1)
	v_ashrrev_i32_e32 v152, s21, v204
	s_waitcnt lgkmcnt(0)
	;; [unrolled: 36-line block ×3, first 2 shown]
	v_ashrrev_i32_e32 v206, s19, v208
	v_lshlrev_b32_e32 v206, 2, v206
	v_bfe_u32 v205, v152, 24, 2
	v_and_b32_e32 v152, 0x3030303, v152
	v_and_b32_e32 v206, 0x4040404, v206
	v_sub_u16_e32 v208, v152, v206
	v_sub_u16_sdwa v210, v152, v206 dst_sel:BYTE_1 dst_unused:UNUSED_PAD src0_sel:BYTE_1 src1_sel:BYTE_1
	v_sub_u16_sdwa v152, v152, v206 dst_sel:DWORD dst_unused:UNUSED_PAD src0_sel:WORD_1 src1_sel:WORD_1
	v_sub_u16_sdwa v205, v205, v206 dst_sel:BYTE_1 dst_unused:UNUSED_PAD src0_sel:DWORD src1_sel:BYTE_3
	v_bitop3_b16 v208, v208, v210, s8 bitop3:0xec
	v_bitop3_b16 v152, v152, v205, s8 bitop3:0xec
	v_lshlrev_b32_e32 v152, 16, v152
	v_or_b32_sdwa v205, v208, v152 dst_sel:DWORD dst_unused:UNUSED_PAD src0_sel:WORD_0 src1_sel:DWORD
	v_ashrrev_i32_e32 v152, s21, v207
	v_ashrrev_i32_e32 v207, s19, v209
	v_lshlrev_b32_e32 v207, 2, v207
	v_bfe_u32 v206, v152, 24, 2
	v_and_b32_e32 v152, 0x3030303, v152
	v_and_b32_e32 v207, 0x4040404, v207
	v_sub_u16_e32 v208, v152, v207
	v_sub_u16_sdwa v209, v152, v207 dst_sel:BYTE_1 dst_unused:UNUSED_PAD src0_sel:BYTE_1 src1_sel:BYTE_1
	v_sub_u16_sdwa v152, v152, v207 dst_sel:DWORD dst_unused:UNUSED_PAD src0_sel:WORD_1 src1_sel:WORD_1
	v_sub_u16_sdwa v206, v206, v207 dst_sel:BYTE_1 dst_unused:UNUSED_PAD src0_sel:DWORD src1_sel:BYTE_3
	v_bitop3_b16 v208, v208, v209, s8 bitop3:0xec
	v_bitop3_b16 v152, v152, v206, s8 bitop3:0xec
	v_lshlrev_b32_e32 v152, 16, v152
	v_add_u32_e32 v207, 0x3180, v154
	v_or_b32_sdwa v206, v208, v152 dst_sel:DWORD dst_unused:UNUSED_PAD src0_sel:WORD_0 src1_sel:DWORD
	ds_read2_b32 v[208:209], v207 offset1:1
	ds_read2_b32 v[210:211], v214 offset1:1
	v_add3_u32 v152, s24, v155, v123
	ds_read_b32 v152, v152
	v_dot4c_i32_i8_e32 v221, v205, v34
	s_waitcnt lgkmcnt(2)
	v_ashrrev_i32_e32 v207, s21, v208
	s_waitcnt lgkmcnt(1)
	v_ashrrev_i32_e32 v210, s19, v210
	v_lshlrev_b32_e32 v210, 2, v210
	v_bfe_u32 v208, v207, 24, 2
	v_and_b32_e32 v207, 0x3030303, v207
	v_and_b32_e32 v210, 0x4040404, v210
	v_sub_u16_e32 v212, v207, v210
	v_sub_u16_sdwa v213, v207, v210 dst_sel:BYTE_1 dst_unused:UNUSED_PAD src0_sel:BYTE_1 src1_sel:BYTE_1
	v_sub_u16_sdwa v207, v207, v210 dst_sel:DWORD dst_unused:UNUSED_PAD src0_sel:WORD_1 src1_sel:WORD_1
	v_sub_u16_sdwa v208, v208, v210 dst_sel:BYTE_1 dst_unused:UNUSED_PAD src0_sel:DWORD src1_sel:BYTE_3
	v_ashrrev_i32_e32 v210, s19, v211
	v_bitop3_b16 v207, v207, v208, s8 bitop3:0xec
	v_ashrrev_i32_e32 v208, s21, v209
	v_lshlrev_b32_e32 v210, 2, v210
	v_bitop3_b16 v212, v212, v213, s8 bitop3:0xec
	v_lshlrev_b32_e32 v207, 16, v207
	v_bfe_u32 v209, v208, 24, 2
	v_and_b32_e32 v208, 0x3030303, v208
	v_and_b32_e32 v210, 0x4040404, v210
	v_or_b32_sdwa v207, v212, v207 dst_sel:DWORD dst_unused:UNUSED_PAD src0_sel:WORD_0 src1_sel:DWORD
	v_sub_u16_e32 v211, v208, v210
	v_sub_u16_sdwa v212, v208, v210 dst_sel:BYTE_1 dst_unused:UNUSED_PAD src0_sel:BYTE_1 src1_sel:BYTE_1
	v_sub_u16_sdwa v208, v208, v210 dst_sel:DWORD dst_unused:UNUSED_PAD src0_sel:WORD_1 src1_sel:WORD_1
	v_sub_u16_sdwa v209, v209, v210 dst_sel:BYTE_1 dst_unused:UNUSED_PAD src0_sel:DWORD src1_sel:BYTE_3
	v_bitop3_b16 v211, v211, v212, s8 bitop3:0xec
	v_bitop3_b16 v208, v208, v209, s8 bitop3:0xec
	v_lshlrev_b32_e32 v208, 16, v208
	v_add_u32_e32 v209, 0x3188, v154
	v_or_b32_sdwa v208, v211, v208 dst_sel:DWORD dst_unused:UNUSED_PAD src0_sel:WORD_0 src1_sel:DWORD
	ds_read2_b32 v[210:211], v209 offset1:1
	ds_read2_b32 v[212:213], v214 offset0:2 offset1:3
	v_dot4c_i32_i8_e32 v168, v165, v35
	v_dot4c_i32_i8_e32 v170, v194, v39
	v_dot4c_i32_i8_e32 v171, v198, v35
	s_waitcnt lgkmcnt(1)
	v_ashrrev_i32_e32 v209, s21, v210
	s_waitcnt lgkmcnt(0)
	v_ashrrev_i32_e32 v212, s19, v212
	v_lshlrev_b32_e32 v212, 2, v212
	v_bfe_u32 v210, v209, 24, 2
	v_and_b32_e32 v209, 0x3030303, v209
	v_and_b32_e32 v212, 0x4040404, v212
	v_sub_u16_e32 v217, v209, v212
	v_sub_u16_sdwa v218, v209, v212 dst_sel:BYTE_1 dst_unused:UNUSED_PAD src0_sel:BYTE_1 src1_sel:BYTE_1
	v_sub_u16_sdwa v209, v209, v212 dst_sel:DWORD dst_unused:UNUSED_PAD src0_sel:WORD_1 src1_sel:WORD_1
	v_sub_u16_sdwa v210, v210, v212 dst_sel:BYTE_1 dst_unused:UNUSED_PAD src0_sel:DWORD src1_sel:BYTE_3
	v_ashrrev_i32_e32 v212, s19, v213
	v_bitop3_b16 v209, v209, v210, s8 bitop3:0xec
	v_ashrrev_i32_e32 v210, s21, v211
	v_lshlrev_b32_e32 v212, 2, v212
	v_bitop3_b16 v217, v217, v218, s8 bitop3:0xec
	v_lshlrev_b32_e32 v209, 16, v209
	v_bfe_u32 v211, v210, 24, 2
	v_and_b32_e32 v210, 0x3030303, v210
	v_and_b32_e32 v212, 0x4040404, v212
	v_or_b32_sdwa v209, v217, v209 dst_sel:DWORD dst_unused:UNUSED_PAD src0_sel:WORD_0 src1_sel:DWORD
	v_sub_u16_e32 v213, v210, v212
	v_sub_u16_sdwa v217, v210, v212 dst_sel:BYTE_1 dst_unused:UNUSED_PAD src0_sel:BYTE_1 src1_sel:BYTE_1
	v_sub_u16_sdwa v210, v210, v212 dst_sel:DWORD dst_unused:UNUSED_PAD src0_sel:WORD_1 src1_sel:WORD_1
	v_sub_u16_sdwa v211, v211, v212 dst_sel:BYTE_1 dst_unused:UNUSED_PAD src0_sel:DWORD src1_sel:BYTE_3
	v_bitop3_b16 v213, v213, v217, s8 bitop3:0xec
	v_bitop3_b16 v210, v210, v211, s8 bitop3:0xec
	v_lshlrev_b32_e32 v210, 16, v210
	v_add_u32_e32 v211, 0x3190, v154
	v_or_b32_sdwa v210, v213, v210 dst_sel:DWORD dst_unused:UNUSED_PAD src0_sel:WORD_0 src1_sel:DWORD
	ds_read2_b32 v[212:213], v211 offset1:1
	ds_read2_b32 v[218:219], v214 offset0:4 offset1:5
	v_add_u32_e32 v154, 0x3198, v154
	v_ashrrev_i32_e32 v214, s19, v222
	v_lshlrev_b32_e32 v214, 2, v214
	s_waitcnt lgkmcnt(1)
	v_ashrrev_i32_e32 v211, s21, v212
	s_waitcnt lgkmcnt(0)
	v_ashrrev_i32_e32 v217, s19, v218
	v_lshlrev_b32_e32 v217, 2, v217
	v_bfe_u32 v212, v211, 24, 2
	v_and_b32_e32 v211, 0x3030303, v211
	v_and_b32_e32 v217, 0x4040404, v217
	v_sub_u16_e32 v218, v211, v217
	v_sub_u16_sdwa v220, v211, v217 dst_sel:BYTE_1 dst_unused:UNUSED_PAD src0_sel:BYTE_1 src1_sel:BYTE_1
	v_sub_u16_sdwa v211, v211, v217 dst_sel:DWORD dst_unused:UNUSED_PAD src0_sel:WORD_1 src1_sel:WORD_1
	v_sub_u16_sdwa v212, v212, v217 dst_sel:BYTE_1 dst_unused:UNUSED_PAD src0_sel:DWORD src1_sel:BYTE_3
	v_ashrrev_i32_e32 v217, s19, v219
	v_bitop3_b16 v211, v211, v212, s8 bitop3:0xec
	v_ashrrev_i32_e32 v212, s21, v213
	v_lshlrev_b32_e32 v217, 2, v217
	v_bitop3_b16 v218, v218, v220, s8 bitop3:0xec
	v_lshlrev_b32_e32 v211, 16, v211
	v_bfe_u32 v213, v212, 24, 2
	v_and_b32_e32 v212, 0x3030303, v212
	v_and_b32_e32 v217, 0x4040404, v217
	v_or_b32_sdwa v211, v218, v211 dst_sel:DWORD dst_unused:UNUSED_PAD src0_sel:WORD_0 src1_sel:DWORD
	v_sub_u16_e32 v218, v212, v217
	v_sub_u16_sdwa v219, v212, v217 dst_sel:BYTE_1 dst_unused:UNUSED_PAD src0_sel:BYTE_1 src1_sel:BYTE_1
	v_sub_u16_sdwa v212, v212, v217 dst_sel:DWORD dst_unused:UNUSED_PAD src0_sel:WORD_1 src1_sel:WORD_1
	v_sub_u16_sdwa v213, v213, v217 dst_sel:BYTE_1 dst_unused:UNUSED_PAD src0_sel:DWORD src1_sel:BYTE_3
	v_bitop3_b16 v218, v218, v219, s8 bitop3:0xec
	v_bitop3_b16 v212, v212, v213, s8 bitop3:0xec
	v_lshlrev_b32_e32 v212, 16, v212
	v_or_b32_sdwa v212, v218, v212 dst_sel:DWORD dst_unused:UNUSED_PAD src0_sel:WORD_0 src1_sel:DWORD
	ds_read2_b32 v[218:219], v154 offset1:1
	v_and_b32_e32 v214, 0x4040404, v214
	v_dot4c_i32_i8_e32 v232, v211, v32
	v_dot4c_i32_i8_e32 v232, v212, v33
	;; [unrolled: 1-line block ×3, first 2 shown]
	s_waitcnt lgkmcnt(0)
	v_ashrrev_i32_e32 v154, s21, v218
	v_bfe_u32 v213, v154, 24, 2
	v_and_b32_e32 v154, 0x3030303, v154
	v_sub_u16_e32 v217, v154, v214
	v_sub_u16_sdwa v218, v154, v214 dst_sel:BYTE_1 dst_unused:UNUSED_PAD src0_sel:BYTE_1 src1_sel:BYTE_1
	v_sub_u16_sdwa v154, v154, v214 dst_sel:DWORD dst_unused:UNUSED_PAD src0_sel:WORD_1 src1_sel:WORD_1
	v_sub_u16_sdwa v213, v213, v214 dst_sel:BYTE_1 dst_unused:UNUSED_PAD src0_sel:DWORD src1_sel:BYTE_3
	v_bitop3_b16 v217, v217, v218, s8 bitop3:0xec
	v_bitop3_b16 v154, v154, v213, s8 bitop3:0xec
	v_lshlrev_b32_e32 v154, 16, v154
	v_or_b32_sdwa v213, v217, v154 dst_sel:DWORD dst_unused:UNUSED_PAD src0_sel:WORD_0 src1_sel:DWORD
	v_ashrrev_i32_e32 v217, s19, v223
	v_ashrrev_i32_e32 v154, s21, v219
	v_lshlrev_b32_e32 v217, 2, v217
	v_bfe_u32 v214, v154, 24, 2
	v_and_b32_e32 v154, 0x3030303, v154
	v_and_b32_e32 v217, 0x4040404, v217
	v_sub_u16_e32 v218, v154, v217
	v_sub_u16_sdwa v219, v154, v217 dst_sel:BYTE_1 dst_unused:UNUSED_PAD src0_sel:BYTE_1 src1_sel:BYTE_1
	v_sub_u16_sdwa v154, v154, v217 dst_sel:DWORD dst_unused:UNUSED_PAD src0_sel:WORD_1 src1_sel:WORD_1
	v_sub_u16_sdwa v214, v214, v217 dst_sel:BYTE_1 dst_unused:UNUSED_PAD src0_sel:DWORD src1_sel:BYTE_3
	v_mov_b32_e32 v223, 0
	v_bitop3_b16 v154, v154, v214, s8 bitop3:0xec
	v_dot4c_i32_i8_e32 v223, v207, v36
	v_bitop3_b16 v218, v218, v219, s8 bitop3:0xec
	v_lshlrev_b32_e32 v154, 16, v154
	v_dot4c_i32_i8_e32 v223, v208, v37
	v_or_b32_sdwa v214, v218, v154 dst_sel:DWORD dst_unused:UNUSED_PAD src0_sel:WORD_0 src1_sel:DWORD
	v_add3_u32 v154, s24, v173, v129
	v_dot4c_i32_i8_e32 v223, v209, v38
	v_dot4c_i32_i8_e32 v232, v213, v34
	;; [unrolled: 1-line block ×3, first 2 shown]
	ds_read_b32 v154, v154
	v_dot4c_i32_i8_e32 v223, v210, v39
	v_dot4c_i32_i8_e32 v232, v214, v35
	ds_read_b128 v[32:35], v189 offset:1024
	ds_read_b128 v[36:39], v189 offset:1040
	v_mov_b32_e32 v217, 0
	v_mov_b32_e32 v228, 0
	;; [unrolled: 1-line block ×8, first 2 shown]
	s_waitcnt lgkmcnt(1)
	v_dot4c_i32_i8_e32 v217, v158, v32
	s_waitcnt lgkmcnt(0)
	v_dot4c_i32_i8_e32 v228, v162, v36
	v_dot4c_i32_i8_e32 v238, v191, v32
	;; [unrolled: 1-line block ×31, first 2 shown]
	ds_read2_b32 v[218:219], v190 offset0:64 offset1:96
	ds_read_b128 v[32:35], v189 offset:2048
	ds_read_b128 v[36:39], v189 offset:2064
	v_mov_b32_e32 v225, 0
	v_mov_b32_e32 v224, 0
	;; [unrolled: 1-line block ×8, first 2 shown]
	s_waitcnt lgkmcnt(1)
	v_dot4c_i32_i8_e32 v225, v158, v32
	s_waitcnt lgkmcnt(0)
	v_dot4c_i32_i8_e32 v224, v162, v36
	v_dot4c_i32_i8_e32 v244, v191, v32
	;; [unrolled: 1-line block ×15, first 2 shown]
	v_add_u32_e32 v166, s22, v55
	v_dot4c_i32_i8_e32 v225, v160, v34
	v_dot4c_i32_i8_e32 v224, v164, v38
	;; [unrolled: 1-line block ×16, first 2 shown]
	ds_read_b128 v[32:35], v189 offset:3072
	ds_read_b128 v[36:39], v189 offset:3088
	ds_read_u16 v166, v166 offset:33522
	v_add_u32_e32 v169, s22, v57
	v_add_u32_e32 v215, s22, v59
	;; [unrolled: 1-line block ×3, first 2 shown]
	v_mov_b32_e32 v226, 0
	s_waitcnt lgkmcnt(0)
	v_lshrrev_b16_e32 v220, 8, v166
	v_bfe_i32 v166, v166, 0, 8
	v_bfe_i32 v233, v220, 0, 8
	v_mul_lo_u32 v168, v168, v233
	v_mul_lo_u32 v220, v217, v166
	v_mad_u64_u32 v[228:229], s[22:23], v228, v233, v[220:221]
	v_mad_u64_u32 v[230:231], s[22:23], v167, v166, v[168:169]
	v_dot4c_i32_i8_e32 v226, v158, v32
	v_mov_b32_e32 v227, 0
	v_cvt_f32_i32_e32 v229, v230
	v_cvt_f32_i32_e32 v228, v228
	v_dot4c_i32_i8_e32 v226, v159, v33
	v_dot4c_i32_i8_e32 v227, v162, v36
	;; [unrolled: 1-line block ×4, first 2 shown]
	v_mov_b32_e32 v234, v157
	v_mov_b32_e32 v235, v156
	v_dot4c_i32_i8_e32 v226, v161, v35
	v_dot4c_i32_i8_e32 v227, v164, v38
	v_pk_mul_f32 v[156:157], v[148:149], v[234:235] op_sel_hi:[0,1]
	v_dot4c_i32_i8_e32 v227, v165, v39
	v_mul_lo_u32 v224, v224, v233
	v_mul_lo_u32 v226, v226, v166
	v_pk_fma_f32 v[16:17], v[156:157], v[228:229], v[16:17]
	ds_read_u16 v156, v169 offset:34546
	v_mad_u64_u32 v[226:227], s[22:23], v227, v233, v[226:227]
	v_mad_u64_u32 v[224:225], s[22:23], v225, v166, v[224:225]
	v_cvt_f32_i32_e32 v225, v224
	v_cvt_f32_i32_e32 v224, v226
	v_mov_b32_e32 v157, 0
	v_dot4c_i32_i8_e32 v157, v191, v32
	v_mov_b32_e32 v236, v219
	v_mov_b32_e32 v237, v218
	v_dot4c_i32_i8_e32 v157, v192, v33
	v_pk_mul_f32 v[218:219], v[148:149], v[236:237] op_sel_hi:[0,1]
	v_dot4c_i32_i8_e32 v157, v193, v34
	s_waitcnt lgkmcnt(0)
	v_lshrrev_b16_e32 v168, 8, v156
	v_pk_fma_f32 v[18:19], v[218:219], v[224:225], v[18:19]
	v_dot4c_i32_i8_e32 v157, v194, v35
	v_bfe_i32 v219, v156, 0, 8
	v_bfe_i32 v220, v168, 0, 8
	v_mul_lo_u32 v156, v171, v220
	v_mul_lo_u32 v168, v238, v219
	;; [unrolled: 1-line block ×3, first 2 shown]
                                        ; kill: def $vgpr157 killed $sgpr0 killed $exec
	v_mov_b32_e32 v167, 0
	v_mad_u64_u32 v[168:169], s[22:23], v239, v220, v[168:169]
	v_mad_u64_u32 v[156:157], s[22:23], v170, v219, v[156:157]
	v_dot4c_i32_i8_e32 v167, v195, v36
	v_cvt_f32_i32_e32 v157, v156
	v_cvt_f32_i32_e32 v156, v168
	v_dot4c_i32_i8_e32 v167, v196, v37
	v_dot4c_i32_i8_e32 v167, v197, v38
	;; [unrolled: 1-line block ×3, first 2 shown]
	v_mul_lo_u32 v218, v245, v220
	v_pk_mul_f32 v[170:171], v[150:151], v[234:235] op_sel_hi:[0,1]
	v_mad_u64_u32 v[226:227], s[22:23], v244, v219, v[218:219]
	v_mad_u64_u32 v[224:225], s[22:23], v167, v220, v[224:225]
	v_pk_fma_f32 v[28:29], v[170:171], v[156:157], v[28:29]
	ds_read_u16 v156, v215 offset:35570
	v_cvt_f32_i32_e32 v169, v226
	v_cvt_f32_i32_e32 v168, v224
	v_mov_b32_e32 v157, 0
	v_dot4c_i32_i8_e32 v157, v199, v32
	v_pk_mul_f32 v[228:229], v[150:151], v[236:237] op_sel_hi:[0,1]
	v_dot4c_i32_i8_e32 v157, v200, v33
	v_pk_fma_f32 v[30:31], v[228:229], v[168:169], v[30:31]
	v_dot4c_i32_i8_e32 v157, v201, v34
	s_waitcnt lgkmcnt(0)
	v_lshrrev_b16_e32 v168, 8, v156
	v_dot4c_i32_i8_e32 v157, v202, v35
	v_bfe_i32 v217, v156, 0, 8
	v_bfe_i32 v218, v168, 0, 8
	v_mul_lo_u32 v156, v221, v218
	v_mul_lo_u32 v168, v240, v217
	;; [unrolled: 1-line block ×3, first 2 shown]
                                        ; kill: def $vgpr157 killed $sgpr0 killed $exec
	v_mad_u64_u32 v[168:169], s[22:23], v241, v218, v[168:169]
	v_mad_u64_u32 v[156:157], s[22:23], v216, v217, v[156:157]
	v_cvt_f32_i32_e32 v157, v156
	v_cvt_f32_i32_e32 v156, v168
	v_pk_mul_f32 v[226:227], v[152:153], v[234:235] op_sel_hi:[0,1]
	v_mov_b32_e32 v167, 0
	v_dot4c_i32_i8_e32 v167, v203, v36
	v_pk_fma_f32 v[24:25], v[226:227], v[156:157], v[24:25]
	v_mov_b32_e32 v156, 0
	v_dot4c_i32_i8_e32 v156, v207, v32
	ds_read_u16 v32, v222 offset:36594
	v_dot4c_i32_i8_e32 v156, v208, v33
	v_mov_b32_e32 v33, 0
	v_dot4c_i32_i8_e32 v33, v211, v36
	v_dot4c_i32_i8_e32 v167, v204, v37
	;; [unrolled: 1-line block ×7, first 2 shown]
	s_waitcnt lgkmcnt(0)
	v_lshrrev_b16_e32 v34, 8, v32
	v_bfe_i32 v215, v32, 0, 8
	v_dot4c_i32_i8_e32 v167, v206, v39
	v_mul_lo_u32 v170, v247, v218
	v_dot4c_i32_i8_e32 v33, v214, v39
	v_bfe_i32 v216, v34, 0, 8
	v_mul_lo_u32 v38, v156, v215
	v_mad_u64_u32 v[224:225], s[22:23], v167, v218, v[224:225]
	v_mad_u64_u32 v[170:171], s[22:23], v246, v217, v[170:171]
	v_mul_lo_u32 v32, v232, v216
	v_mul_lo_u32 v34, v242, v215
	;; [unrolled: 1-line block ×3, first 2 shown]
                                        ; kill: def $vgpr35 killed $sgpr0 killed $exec
	v_mad_u64_u32 v[38:39], s[22:23], v33, v216, v[38:39]
                                        ; kill: def $vgpr33 killed $sgpr0 killed $exec
	v_cvt_f32_i32_e32 v169, v170
	v_cvt_f32_i32_e32 v168, v224
	v_mad_u64_u32 v[36:37], s[22:23], v248, v215, v[36:37]
	v_mad_u64_u32 v[34:35], s[22:23], v243, v216, v[34:35]
	v_mad_u64_u32 v[32:33], s[22:23], v223, v215, v[32:33]
	v_cvt_f32_i32_e32 v33, v32
	v_cvt_f32_i32_e32 v32, v34
	;; [unrolled: 1-line block ×4, first 2 shown]
	v_pk_mul_f32 v[228:229], v[152:153], v[236:237] op_sel_hi:[0,1]
	v_pk_fma_f32 v[26:27], v[228:229], v[168:169], v[26:27]
	v_pk_mul_f32 v[156:157], v[154:155], v[234:235] op_sel_hi:[0,1]
	v_pk_mul_f32 v[168:169], v[154:155], v[236:237] op_sel_hi:[0,1]
	v_pk_fma_f32 v[22:23], v[168:169], v[34:35], v[22:23]
	v_pk_fma_f32 v[20:21], v[156:157], v[32:33], v[20:21]
	ds_read2_b32 v[156:157], v190 offset0:128 offset1:160
	ds_read_b128 v[32:35], v189 offset:4096
	ds_read_b128 v[36:39], v189 offset:4112
	v_mov_b32_e32 v167, 0
	v_mov_b32_e32 v170, 0
	v_mov_b32_e32 v229, 0
	v_mov_b32_e32 v230, 0
	v_mov_b32_e32 v225, 0
	v_mov_b32_e32 v226, 0
	v_mov_b32_e32 v221, 0
	v_mov_b32_e32 v222, 0
	s_waitcnt lgkmcnt(1)
	v_dot4c_i32_i8_e32 v167, v158, v32
	s_waitcnt lgkmcnt(0)
	v_dot4c_i32_i8_e32 v170, v162, v36
	v_dot4c_i32_i8_e32 v229, v191, v32
	;; [unrolled: 1-line block ×31, first 2 shown]
	ds_read_b128 v[32:35], v189 offset:5120
	ds_read_b128 v[36:39], v189 offset:5136
	v_mov_b32_e32 v171, 0
	v_mov_b32_e32 v240, 0
	;; [unrolled: 1-line block ×8, first 2 shown]
	s_waitcnt lgkmcnt(1)
	v_dot4c_i32_i8_e32 v171, v158, v32
	s_waitcnt lgkmcnt(0)
	v_dot4c_i32_i8_e32 v240, v162, v36
	v_dot4c_i32_i8_e32 v232, v191, v32
	;; [unrolled: 1-line block ×31, first 2 shown]
	ds_read2_b32 v[168:169], v190 offset0:192 offset1:224
	ds_read_b128 v[32:35], v189 offset:6144
	ds_read_b128 v[36:39], v189 offset:6160
	v_mov_b32_e32 v241, 0
	v_mov_b32_e32 v242, 0
	;; [unrolled: 1-line block ×8, first 2 shown]
	s_waitcnt lgkmcnt(1)
	v_dot4c_i32_i8_e32 v241, v158, v32
	s_waitcnt lgkmcnt(0)
	v_dot4c_i32_i8_e32 v242, v162, v36
	v_dot4c_i32_i8_e32 v238, v191, v32
	;; [unrolled: 1-line block ×31, first 2 shown]
	ds_read_b128 v[36:39], v189 offset:7168
	ds_read_b128 v[32:35], v189 offset:7184
	v_mov_b32_e32 v243, 0
	s_add_i32 s18, s18, 2
	s_add_i32 s19, s19, 1
	s_waitcnt lgkmcnt(1)
	v_dot4c_i32_i8_e32 v243, v158, v36
	v_dot4c_i32_i8_e32 v243, v159, v37
	v_mov_b32_e32 v159, 0
	s_waitcnt lgkmcnt(0)
	v_dot4c_i32_i8_e32 v159, v162, v32
	v_dot4c_i32_i8_e32 v243, v160, v38
	;; [unrolled: 1-line block ×6, first 2 shown]
	v_mul_lo_u32 v160, v242, v233
	v_mul_lo_u32 v158, v243, v166
                                        ; kill: def $vgpr161 killed $sgpr0 killed $exec
	v_mul_lo_u32 v164, v170, v233
	v_mad_u64_u32 v[158:159], s[22:23], v159, v233, v[158:159]
	v_mad_u64_u32 v[160:161], s[22:23], v241, v166, v[160:161]
	v_cvt_f32_i32_e32 v159, v160
	v_cvt_f32_i32_e32 v158, v158
	v_mul_lo_u32 v162, v171, v166
	v_mad_u64_u32 v[164:165], s[22:23], v167, v166, v[164:165]
	v_mov_b32_e32 v166, v157
	v_mov_b32_e32 v167, v156
	;; [unrolled: 1-line block ×4, first 2 shown]
	v_pk_mul_f32 v[168:169], v[148:149], v[156:157] op_sel_hi:[0,1]
	v_mad_u64_u32 v[162:163], s[22:23], v240, v233, v[162:163]
	v_pk_fma_f32 v[14:15], v[168:169], v[158:159], v[14:15]
	v_mov_b32_e32 v159, 0
	v_cvt_f32_i32_e32 v163, v164
	v_cvt_f32_i32_e32 v162, v162
	v_dot4c_i32_i8_e32 v159, v191, v36
	v_dot4c_i32_i8_e32 v159, v192, v37
	v_mov_b32_e32 v161, 0
	v_dot4c_i32_i8_e32 v159, v193, v38
	v_dot4c_i32_i8_e32 v161, v195, v32
	v_pk_mul_f32 v[170:171], v[148:149], v[166:167] op_sel_hi:[0,1]
	v_dot4c_i32_i8_e32 v159, v194, v39
	v_dot4c_i32_i8_e32 v161, v196, v33
	v_pk_fma_f32 v[12:13], v[170:171], v[162:163], v[12:13]
	v_dot4c_i32_i8_e32 v161, v197, v34
	v_mul_lo_u32 v148, v230, v220
	v_mul_lo_u32 v158, v232, v219
	v_mul_lo_u32 v162, v159, v219
                                        ; kill: def $vgpr159 killed $sgpr0 killed $exec
	v_dot4c_i32_i8_e32 v161, v198, v35
	v_mul_lo_u32 v160, v239, v220
	v_mad_u64_u32 v[158:159], s[22:23], v231, v220, v[158:159]
	v_mad_u64_u32 v[164:165], s[22:23], v229, v219, v[148:149]
	;; [unrolled: 1-line block ×4, first 2 shown]
	v_cvt_f32_i32_e32 v159, v164
	v_cvt_f32_i32_e32 v158, v158
	;; [unrolled: 1-line block ×4, first 2 shown]
	v_pk_mul_f32 v[168:169], v[150:151], v[166:167] op_sel_hi:[0,1]
	v_mul_lo_u32 v148, v226, v218
	v_pk_mul_f32 v[170:171], v[150:151], v[156:157] op_sel_hi:[0,1]
	v_pk_fma_f32 v[8:9], v[168:169], v[158:159], v[8:9]
	v_mov_b32_e32 v159, 0
	v_mad_u64_u32 v[164:165], s[22:23], v225, v217, v[148:149]
	v_mov_b32_e32 v148, 0
	v_pk_fma_f32 v[10:11], v[170:171], v[160:161], v[10:11]
	v_dot4c_i32_i8_e32 v159, v199, v36
	v_mov_b32_e32 v161, 0
	v_dot4c_i32_i8_e32 v148, v207, v36
	v_dot4c_i32_i8_e32 v159, v200, v37
	;; [unrolled: 1-line block ×4, first 2 shown]
	v_mov_b32_e32 v37, 0
	v_dot4c_i32_i8_e32 v159, v201, v38
	v_dot4c_i32_i8_e32 v161, v204, v33
	;; [unrolled: 1-line block ×8, first 2 shown]
	v_mul_lo_u32 v158, v237, v218
	v_mul_lo_u32 v160, v159, v217
                                        ; kill: def $vgpr159 killed $sgpr0 killed $exec
	v_dot4c_i32_i8_e32 v148, v210, v39
	v_dot4c_i32_i8_e32 v37, v213, v34
	v_mul_lo_u32 v150, v228, v217
	v_mad_u64_u32 v[160:161], s[22:23], v161, v218, v[160:161]
	v_mad_u64_u32 v[158:159], s[22:23], v236, v217, v[158:159]
	v_dot4c_i32_i8_e32 v37, v214, v35
	v_mul_lo_u32 v32, v222, v216
	v_mul_lo_u32 v34, v224, v215
	;; [unrolled: 1-line block ×4, first 2 shown]
                                        ; kill: def $vgpr33 killed $sgpr0 killed $exec
	v_mad_u64_u32 v[162:163], s[22:23], v227, v218, v[150:151]
	v_cvt_f32_i32_e32 v159, v158
	v_cvt_f32_i32_e32 v158, v160
	v_mad_u64_u32 v[38:39], s[22:23], v37, v216, v[38:39]
	v_mad_u64_u32 v[36:37], s[22:23], v234, v215, v[36:37]
	;; [unrolled: 1-line block ×4, first 2 shown]
	v_cvt_f32_i32_e32 v163, v164
	v_cvt_f32_i32_e32 v162, v162
	;; [unrolled: 1-line block ×6, first 2 shown]
	v_pk_mul_f32 v[170:171], v[152:153], v[156:157] op_sel_hi:[0,1]
	v_pk_mul_f32 v[168:169], v[152:153], v[166:167] op_sel_hi:[0,1]
	v_pk_fma_f32 v[6:7], v[170:171], v[158:159], v[6:7]
	v_pk_mul_f32 v[158:159], v[154:155], v[166:167] op_sel_hi:[0,1]
	v_pk_mul_f32 v[156:157], v[154:155], v[156:157] op_sel_hi:[0,1]
	v_pk_fma_f32 v[4:5], v[168:169], v[162:163], v[4:5]
	v_pk_fma_f32 v[2:3], v[156:157], v[34:35], v[2:3]
	;; [unrolled: 1-line block ×3, first 2 shown]
	v_add_u32_e32 v190, 4, v190
	v_add_u32_e32 v189, 32, v189
	s_cmp_lt_u32 s20, 22
	s_mov_b32 s22, s20
	s_cbranch_scc1 .LBB170_12
; %bb.13:                               ;   in Loop: Header=BB170_6 Depth=1
	v_add_u32_e32 v148, s17, v131
	v_add_u32_e32 v150, v148, v97
	v_mad_i64_i32 v[156:157], s[18:19], v150, 36, v[84:85]
	v_add_u32_e32 v150, v148, v99
	v_add_u32_e32 v32, v148, v89
	;; [unrolled: 1-line block ×5, first 2 shown]
	v_mad_i64_i32 v[158:159], s[18:19], v150, 36, v[84:85]
	v_add_u32_e32 v150, v148, v101
	v_add_u32_e32 v148, v148, v103
	v_mad_i64_i32 v[162:163], s[18:19], v148, 36, v[84:85]
	v_add_u32_e32 v148, 12, v187
	v_mad_i64_i32 v[32:33], s[18:19], v32, 36, v[84:85]
	v_mad_i64_i32 v[34:35], s[18:19], v34, 36, v[84:85]
	;; [unrolled: 1-line block ×4, first 2 shown]
	v_mad_u64_u32 v[164:165], s[18:19], v148, 36, s[2:3]
	s_barrier
	v_mad_i64_i32 v[160:161], s[18:19], v150, 36, v[84:85]
	global_load_dword v148, v[164:165], off
	s_nop 0
	global_load_dword v32, v[32:33], off offset:4
	s_nop 0
	global_load_dword v33, v[34:35], off offset:4
	;; [unrolled: 2-line block ×3, first 2 shown]
	global_load_dword v35, v[38:39], off offset:4
	s_nop 0
	global_load_dword v36, v[156:157], off offset:4
	global_load_dword v37, v[158:159], off offset:4
	;; [unrolled: 1-line block ×4, first 2 shown]
	s_mov_b32 s17, 24
	s_mov_b32 s21, 22
	;; [unrolled: 1-line block ×3, first 2 shown]
	v_mov_b32_e32 v187, v183
	s_waitcnt vmcnt(8)
	v_cvt_f32_f16_e32 v148, v148
	s_waitcnt vmcnt(7)
	ds_write_b32 v188, v32
	s_waitcnt vmcnt(6)
	ds_write_b32 v135, v33
	;; [unrolled: 2-line block ×8, first 2 shown]
	ds_write_b32 v87, v148
	v_mov_b32_e32 v188, v133
	s_waitcnt lgkmcnt(0)
	s_barrier
.LBB170_14:                             ;   Parent Loop BB170_6 Depth=1
                                        ; =>  This Inner Loop Header: Depth=2
	s_add_i32 s19, s21, 2
	s_lshr_b32 s24, s19, 4
	s_and_b32 s22, s19, 0x3ffffff8
	v_lshl_add_u32 v154, s22, 2, v177
	s_lshl_b32 s22, s24, 5
	s_addk_i32 s22, 0x4200
	v_add3_u32 v152, s22, v184, v178
	v_add3_u32 v212, s22, v172, v127
	ds_read2_b32 v[156:157], v188 offset1:32
	ds_read_b128 v[36:39], v187
	ds_read_b128 v[32:35], v187 offset:16
	ds_read2_b32 v[158:159], v154 offset1:1
	ds_read2_b32 v[220:221], v212 offset0:6 offset1:7
	ds_read2_b32 v[160:161], v152 offset1:1
	s_sub_i32 s20, s21, 22
	s_and_b32 s23, s17, -16
	s_waitcnt lgkmcnt(2)
	v_ashrrev_i32_e32 v148, s20, v158
	v_bfe_u32 v150, v148, 24, 2
	s_waitcnt lgkmcnt(0)
	v_ashrrev_i32_e32 v158, s18, v160
	v_lshlrev_b32_e32 v158, 2, v158
	v_and_b32_e32 v148, 0x3030303, v148
	v_and_b32_e32 v158, 0x4040404, v158
	v_sub_u16_e32 v160, v148, v158
	v_sub_u16_sdwa v162, v148, v158 dst_sel:BYTE_1 dst_unused:UNUSED_PAD src0_sel:BYTE_1 src1_sel:BYTE_1
	v_sub_u16_sdwa v148, v148, v158 dst_sel:DWORD dst_unused:UNUSED_PAD src0_sel:WORD_1 src1_sel:WORD_1
	v_sub_u16_sdwa v150, v150, v158 dst_sel:BYTE_1 dst_unused:UNUSED_PAD src0_sel:DWORD src1_sel:BYTE_3
	v_bitop3_b16 v160, v160, v162, s8 bitop3:0xec
	v_bitop3_b16 v148, v148, v150, s8 bitop3:0xec
	v_lshlrev_b32_e32 v148, 16, v148
	v_or_b32_sdwa v158, v160, v148 dst_sel:DWORD dst_unused:UNUSED_PAD src0_sel:WORD_0 src1_sel:DWORD
	v_ashrrev_i32_e32 v148, s20, v159
	v_ashrrev_i32_e32 v159, s18, v161
	v_lshlrev_b32_e32 v159, 2, v159
	v_bfe_u32 v150, v148, 24, 2
	v_and_b32_e32 v148, 0x3030303, v148
	v_and_b32_e32 v159, 0x4040404, v159
	v_sub_u16_e32 v160, v148, v159
	v_sub_u16_sdwa v161, v148, v159 dst_sel:BYTE_1 dst_unused:UNUSED_PAD src0_sel:BYTE_1 src1_sel:BYTE_1
	v_sub_u16_sdwa v148, v148, v159 dst_sel:DWORD dst_unused:UNUSED_PAD src0_sel:WORD_1 src1_sel:WORD_1
	v_sub_u16_sdwa v150, v150, v159 dst_sel:BYTE_1 dst_unused:UNUSED_PAD src0_sel:DWORD src1_sel:BYTE_3
	v_bitop3_b16 v160, v160, v161, s8 bitop3:0xec
	v_bitop3_b16 v148, v148, v150, s8 bitop3:0xec
	v_lshlrev_b32_e32 v148, 16, v148
	v_or_b32_sdwa v159, v160, v148 dst_sel:DWORD dst_unused:UNUSED_PAD src0_sel:WORD_0 src1_sel:DWORD
	ds_read2_b32 v[160:161], v154 offset0:2 offset1:3
	ds_read2_b32 v[162:163], v152 offset0:2 offset1:3
	s_add_i32 s21, s21, s23
	s_lshl_b32 s23, s24, 2
	s_add_i32 s23, s23, 0x9380
	s_waitcnt lgkmcnt(1)
	v_ashrrev_i32_e32 v148, s20, v160
	s_waitcnt lgkmcnt(0)
	v_ashrrev_i32_e32 v160, s18, v162
	v_lshlrev_b32_e32 v160, 2, v160
	v_bfe_u32 v150, v148, 24, 2
	v_and_b32_e32 v148, 0x3030303, v148
	v_and_b32_e32 v160, 0x4040404, v160
	v_sub_u16_e32 v162, v148, v160
	v_sub_u16_sdwa v164, v148, v160 dst_sel:BYTE_1 dst_unused:UNUSED_PAD src0_sel:BYTE_1 src1_sel:BYTE_1
	v_sub_u16_sdwa v148, v148, v160 dst_sel:DWORD dst_unused:UNUSED_PAD src0_sel:WORD_1 src1_sel:WORD_1
	v_sub_u16_sdwa v150, v150, v160 dst_sel:BYTE_1 dst_unused:UNUSED_PAD src0_sel:DWORD src1_sel:BYTE_3
	v_bitop3_b16 v162, v162, v164, s8 bitop3:0xec
	v_bitop3_b16 v148, v148, v150, s8 bitop3:0xec
	v_lshlrev_b32_e32 v148, 16, v148
	v_or_b32_sdwa v160, v162, v148 dst_sel:DWORD dst_unused:UNUSED_PAD src0_sel:WORD_0 src1_sel:DWORD
	v_ashrrev_i32_e32 v148, s20, v161
	v_ashrrev_i32_e32 v161, s18, v163
	v_lshlrev_b32_e32 v161, 2, v161
	v_bfe_u32 v150, v148, 24, 2
	v_and_b32_e32 v148, 0x3030303, v148
	v_and_b32_e32 v161, 0x4040404, v161
	v_sub_u16_e32 v162, v148, v161
	v_sub_u16_sdwa v163, v148, v161 dst_sel:BYTE_1 dst_unused:UNUSED_PAD src0_sel:BYTE_1 src1_sel:BYTE_1
	v_sub_u16_sdwa v148, v148, v161 dst_sel:DWORD dst_unused:UNUSED_PAD src0_sel:WORD_1 src1_sel:WORD_1
	v_sub_u16_sdwa v150, v150, v161 dst_sel:BYTE_1 dst_unused:UNUSED_PAD src0_sel:DWORD src1_sel:BYTE_3
	v_bitop3_b16 v162, v162, v163, s8 bitop3:0xec
	v_bitop3_b16 v148, v148, v150, s8 bitop3:0xec
	v_lshlrev_b32_e32 v148, 16, v148
	v_or_b32_sdwa v161, v162, v148 dst_sel:DWORD dst_unused:UNUSED_PAD src0_sel:WORD_0 src1_sel:DWORD
	ds_read2_b32 v[162:163], v154 offset0:4 offset1:5
	ds_read2_b32 v[164:165], v152 offset0:4 offset1:5
	v_add3_u32 v169, s22, v149, v113
	ds_read2_b32 v[190:191], v169 offset1:1
	v_add3_u32 v206, s22, v153, v121
	s_waitcnt lgkmcnt(2)
	v_ashrrev_i32_e32 v148, s20, v162
	s_waitcnt lgkmcnt(1)
	v_ashrrev_i32_e32 v162, s18, v164
	v_lshlrev_b32_e32 v162, 2, v162
	v_bfe_u32 v150, v148, 24, 2
	v_and_b32_e32 v148, 0x3030303, v148
	v_and_b32_e32 v162, 0x4040404, v162
	v_sub_u16_e32 v164, v148, v162
	v_sub_u16_sdwa v166, v148, v162 dst_sel:BYTE_1 dst_unused:UNUSED_PAD src0_sel:BYTE_1 src1_sel:BYTE_1
	v_sub_u16_sdwa v148, v148, v162 dst_sel:DWORD dst_unused:UNUSED_PAD src0_sel:WORD_1 src1_sel:WORD_1
	v_sub_u16_sdwa v150, v150, v162 dst_sel:BYTE_1 dst_unused:UNUSED_PAD src0_sel:DWORD src1_sel:BYTE_3
	v_bitop3_b16 v164, v164, v166, s8 bitop3:0xec
	v_bitop3_b16 v148, v148, v150, s8 bitop3:0xec
	v_lshlrev_b32_e32 v148, 16, v148
	v_or_b32_sdwa v162, v164, v148 dst_sel:DWORD dst_unused:UNUSED_PAD src0_sel:WORD_0 src1_sel:DWORD
	v_ashrrev_i32_e32 v148, s20, v163
	v_ashrrev_i32_e32 v163, s18, v165
	v_lshlrev_b32_e32 v163, 2, v163
	v_bfe_u32 v150, v148, 24, 2
	v_and_b32_e32 v148, 0x3030303, v148
	v_and_b32_e32 v163, 0x4040404, v163
	v_sub_u16_e32 v164, v148, v163
	v_sub_u16_sdwa v165, v148, v163 dst_sel:BYTE_1 dst_unused:UNUSED_PAD src0_sel:BYTE_1 src1_sel:BYTE_1
	v_sub_u16_sdwa v148, v148, v163 dst_sel:DWORD dst_unused:UNUSED_PAD src0_sel:WORD_1 src1_sel:WORD_1
	v_sub_u16_sdwa v150, v150, v163 dst_sel:BYTE_1 dst_unused:UNUSED_PAD src0_sel:DWORD src1_sel:BYTE_3
	v_bitop3_b16 v164, v164, v165, s8 bitop3:0xec
	v_bitop3_b16 v148, v148, v150, s8 bitop3:0xec
	v_lshlrev_b32_e32 v148, 16, v148
	v_or_b32_sdwa v163, v164, v148 dst_sel:DWORD dst_unused:UNUSED_PAD src0_sel:WORD_0 src1_sel:DWORD
	ds_read2_b32 v[164:165], v154 offset0:6 offset1:7
	ds_read2_b32 v[166:167], v152 offset0:6 offset1:7
	;; [unrolled: 1-line block ×4, first 2 shown]
	v_mov_b32_e32 v168, 0
	s_waitcnt lgkmcnt(3)
	v_ashrrev_i32_e32 v148, s20, v164
	s_waitcnt lgkmcnt(2)
	v_ashrrev_i32_e32 v152, s18, v166
	v_lshlrev_b32_e32 v152, 2, v152
	v_bfe_u32 v150, v148, 24, 2
	v_and_b32_e32 v148, 0x3030303, v148
	v_and_b32_e32 v152, 0x4040404, v152
	v_sub_u16_e32 v164, v148, v152
	v_sub_u16_sdwa v166, v148, v152 dst_sel:BYTE_1 dst_unused:UNUSED_PAD src0_sel:BYTE_1 src1_sel:BYTE_1
	v_sub_u16_sdwa v148, v148, v152 dst_sel:DWORD dst_unused:UNUSED_PAD src0_sel:WORD_1 src1_sel:WORD_1
	v_sub_u16_sdwa v150, v150, v152 dst_sel:BYTE_1 dst_unused:UNUSED_PAD src0_sel:DWORD src1_sel:BYTE_3
	v_bitop3_b16 v164, v164, v166, s8 bitop3:0xec
	v_bitop3_b16 v148, v148, v150, s8 bitop3:0xec
	v_lshlrev_b32_e32 v148, 16, v148
	v_ashrrev_i32_e32 v152, s18, v167
	v_or_b32_sdwa v164, v164, v148 dst_sel:DWORD dst_unused:UNUSED_PAD src0_sel:WORD_0 src1_sel:DWORD
	v_ashrrev_i32_e32 v148, s20, v165
	v_lshlrev_b32_e32 v152, 2, v152
	v_bfe_u32 v150, v148, 24, 2
	v_and_b32_e32 v148, 0x3030303, v148
	v_and_b32_e32 v152, 0x4040404, v152
	v_sub_u16_e32 v165, v148, v152
	v_sub_u16_sdwa v166, v148, v152 dst_sel:BYTE_1 dst_unused:UNUSED_PAD src0_sel:BYTE_1 src1_sel:BYTE_1
	v_sub_u16_sdwa v148, v148, v152 dst_sel:DWORD dst_unused:UNUSED_PAD src0_sel:WORD_1 src1_sel:WORD_1
	v_sub_u16_sdwa v150, v150, v152 dst_sel:BYTE_1 dst_unused:UNUSED_PAD src0_sel:DWORD src1_sel:BYTE_3
	v_bitop3_b16 v165, v165, v166, s8 bitop3:0xec
	v_bitop3_b16 v148, v148, v150, s8 bitop3:0xec
	v_lshlrev_b32_e32 v148, 16, v148
	v_or_b32_sdwa v165, v165, v148 dst_sel:DWORD dst_unused:UNUSED_PAD src0_sel:WORD_0 src1_sel:DWORD
	v_add3_u32 v148, s23, v185, v186
	v_add_u32_e32 v150, 0x1080, v154
	ds_read_b32 v148, v148
	ds_read2_b32 v[170:171], v150 offset1:1
	ds_read2_b32 v[196:197], v169 offset0:6 offset1:7
	ds_read2_b32 v[200:201], v206 offset1:1
	v_mov_b32_e32 v167, 0
	v_mov_b32_e32 v214, 0
	s_waitcnt lgkmcnt(2)
	v_ashrrev_i32_e32 v150, s20, v170
	v_ashrrev_i32_e32 v170, s18, v190
	v_lshlrev_b32_e32 v170, 2, v170
	v_bfe_u32 v152, v150, 24, 2
	v_and_b32_e32 v150, 0x3030303, v150
	v_and_b32_e32 v170, 0x4040404, v170
	v_sub_u16_e32 v189, v150, v170
	v_sub_u16_sdwa v190, v150, v170 dst_sel:BYTE_1 dst_unused:UNUSED_PAD src0_sel:BYTE_1 src1_sel:BYTE_1
	v_sub_u16_sdwa v150, v150, v170 dst_sel:DWORD dst_unused:UNUSED_PAD src0_sel:WORD_1 src1_sel:WORD_1
	v_sub_u16_sdwa v152, v152, v170 dst_sel:BYTE_1 dst_unused:UNUSED_PAD src0_sel:DWORD src1_sel:BYTE_3
	v_bitop3_b16 v189, v189, v190, s8 bitop3:0xec
	v_bitop3_b16 v150, v150, v152, s8 bitop3:0xec
	v_lshlrev_b32_e32 v150, 16, v150
	v_ashrrev_i32_e32 v170, s18, v191
	v_or_b32_sdwa v189, v189, v150 dst_sel:DWORD dst_unused:UNUSED_PAD src0_sel:WORD_0 src1_sel:DWORD
	v_ashrrev_i32_e32 v150, s20, v171
	v_lshlrev_b32_e32 v170, 2, v170
	v_bfe_u32 v152, v150, 24, 2
	v_and_b32_e32 v150, 0x3030303, v150
	v_and_b32_e32 v170, 0x4040404, v170
	v_sub_u16_e32 v171, v150, v170
	v_sub_u16_sdwa v190, v150, v170 dst_sel:BYTE_1 dst_unused:UNUSED_PAD src0_sel:BYTE_1 src1_sel:BYTE_1
	v_sub_u16_sdwa v150, v150, v170 dst_sel:DWORD dst_unused:UNUSED_PAD src0_sel:WORD_1 src1_sel:WORD_1
	v_sub_u16_sdwa v152, v152, v170 dst_sel:BYTE_1 dst_unused:UNUSED_PAD src0_sel:DWORD src1_sel:BYTE_3
	v_bitop3_b16 v171, v171, v190, s8 bitop3:0xec
	v_bitop3_b16 v150, v150, v152, s8 bitop3:0xec
	v_lshlrev_b32_e32 v150, 16, v150
	v_or_b32_sdwa v190, v171, v150 dst_sel:DWORD dst_unused:UNUSED_PAD src0_sel:WORD_0 src1_sel:DWORD
	v_add_u32_e32 v150, 0x1088, v154
	ds_read2_b32 v[170:171], v150 offset1:1
	s_waitcnt lgkmcnt(2)
	v_ashrrev_i32_e32 v169, s18, v196
	v_lshlrev_b32_e32 v169, 2, v169
	v_and_b32_e32 v169, 0x4040404, v169
	v_mov_b32_e32 v219, 0
	s_waitcnt lgkmcnt(0)
	v_ashrrev_i32_e32 v150, s20, v170
	v_ashrrev_i32_e32 v170, s18, v192
	v_lshlrev_b32_e32 v170, 2, v170
	v_bfe_u32 v152, v150, 24, 2
	v_and_b32_e32 v150, 0x3030303, v150
	v_and_b32_e32 v170, 0x4040404, v170
	v_sub_u16_e32 v191, v150, v170
	v_sub_u16_sdwa v192, v150, v170 dst_sel:BYTE_1 dst_unused:UNUSED_PAD src0_sel:BYTE_1 src1_sel:BYTE_1
	v_sub_u16_sdwa v150, v150, v170 dst_sel:DWORD dst_unused:UNUSED_PAD src0_sel:WORD_1 src1_sel:WORD_1
	v_sub_u16_sdwa v152, v152, v170 dst_sel:BYTE_1 dst_unused:UNUSED_PAD src0_sel:DWORD src1_sel:BYTE_3
	v_bitop3_b16 v191, v191, v192, s8 bitop3:0xec
	v_bitop3_b16 v150, v150, v152, s8 bitop3:0xec
	v_lshlrev_b32_e32 v150, 16, v150
	v_ashrrev_i32_e32 v170, s18, v193
	v_or_b32_sdwa v191, v191, v150 dst_sel:DWORD dst_unused:UNUSED_PAD src0_sel:WORD_0 src1_sel:DWORD
	v_ashrrev_i32_e32 v150, s20, v171
	v_lshlrev_b32_e32 v170, 2, v170
	v_bfe_u32 v152, v150, 24, 2
	v_and_b32_e32 v150, 0x3030303, v150
	v_and_b32_e32 v170, 0x4040404, v170
	v_sub_u16_e32 v171, v150, v170
	v_sub_u16_sdwa v192, v150, v170 dst_sel:BYTE_1 dst_unused:UNUSED_PAD src0_sel:BYTE_1 src1_sel:BYTE_1
	v_sub_u16_sdwa v150, v150, v170 dst_sel:DWORD dst_unused:UNUSED_PAD src0_sel:WORD_1 src1_sel:WORD_1
	v_sub_u16_sdwa v152, v152, v170 dst_sel:BYTE_1 dst_unused:UNUSED_PAD src0_sel:DWORD src1_sel:BYTE_3
	v_bitop3_b16 v171, v171, v192, s8 bitop3:0xec
	v_bitop3_b16 v150, v150, v152, s8 bitop3:0xec
	v_lshlrev_b32_e32 v150, 16, v150
	v_or_b32_sdwa v192, v171, v150 dst_sel:DWORD dst_unused:UNUSED_PAD src0_sel:WORD_0 src1_sel:DWORD
	v_add_u32_e32 v150, 0x1090, v154
	ds_read2_b32 v[170:171], v150 offset1:1
	v_mov_b32_e32 v230, 0
	v_dot4c_i32_i8_e32 v167, v158, v36
	v_dot4c_i32_i8_e32 v168, v162, v32
	;; [unrolled: 1-line block ×3, first 2 shown]
	s_waitcnt lgkmcnt(0)
	v_ashrrev_i32_e32 v150, s20, v170
	v_ashrrev_i32_e32 v170, s18, v194
	v_lshlrev_b32_e32 v170, 2, v170
	v_bfe_u32 v152, v150, 24, 2
	v_and_b32_e32 v150, 0x3030303, v150
	v_and_b32_e32 v170, 0x4040404, v170
	v_sub_u16_e32 v193, v150, v170
	v_sub_u16_sdwa v194, v150, v170 dst_sel:BYTE_1 dst_unused:UNUSED_PAD src0_sel:BYTE_1 src1_sel:BYTE_1
	v_sub_u16_sdwa v150, v150, v170 dst_sel:DWORD dst_unused:UNUSED_PAD src0_sel:WORD_1 src1_sel:WORD_1
	v_sub_u16_sdwa v152, v152, v170 dst_sel:BYTE_1 dst_unused:UNUSED_PAD src0_sel:DWORD src1_sel:BYTE_3
	v_bitop3_b16 v193, v193, v194, s8 bitop3:0xec
	v_bitop3_b16 v150, v150, v152, s8 bitop3:0xec
	v_lshlrev_b32_e32 v150, 16, v150
	v_ashrrev_i32_e32 v170, s18, v195
	v_or_b32_sdwa v193, v193, v150 dst_sel:DWORD dst_unused:UNUSED_PAD src0_sel:WORD_0 src1_sel:DWORD
	v_ashrrev_i32_e32 v150, s20, v171
	v_lshlrev_b32_e32 v170, 2, v170
	v_bfe_u32 v152, v150, 24, 2
	v_and_b32_e32 v150, 0x3030303, v150
	v_and_b32_e32 v170, 0x4040404, v170
	v_sub_u16_e32 v171, v150, v170
	v_sub_u16_sdwa v194, v150, v170 dst_sel:BYTE_1 dst_unused:UNUSED_PAD src0_sel:BYTE_1 src1_sel:BYTE_1
	v_sub_u16_sdwa v150, v150, v170 dst_sel:DWORD dst_unused:UNUSED_PAD src0_sel:WORD_1 src1_sel:WORD_1
	v_sub_u16_sdwa v152, v152, v170 dst_sel:BYTE_1 dst_unused:UNUSED_PAD src0_sel:DWORD src1_sel:BYTE_3
	v_bitop3_b16 v171, v171, v194, s8 bitop3:0xec
	v_bitop3_b16 v150, v150, v152, s8 bitop3:0xec
	v_lshlrev_b32_e32 v150, 16, v150
	v_or_b32_sdwa v194, v171, v150 dst_sel:DWORD dst_unused:UNUSED_PAD src0_sel:WORD_0 src1_sel:DWORD
	v_add_u32_e32 v150, 0x1098, v154
	ds_read2_b32 v[170:171], v150 offset1:1
	v_dot4c_i32_i8_e32 v168, v163, v33
	v_dot4c_i32_i8_e32 v167, v160, v38
	;; [unrolled: 1-line block ×4, first 2 shown]
	s_waitcnt lgkmcnt(0)
	v_ashrrev_i32_e32 v150, s20, v170
	v_bfe_u32 v152, v150, 24, 2
	v_and_b32_e32 v150, 0x3030303, v150
	v_sub_u16_e32 v170, v150, v169
	v_sub_u16_sdwa v195, v150, v169 dst_sel:BYTE_1 dst_unused:UNUSED_PAD src0_sel:BYTE_1 src1_sel:BYTE_1
	v_sub_u16_sdwa v150, v150, v169 dst_sel:DWORD dst_unused:UNUSED_PAD src0_sel:WORD_1 src1_sel:WORD_1
	v_sub_u16_sdwa v152, v152, v169 dst_sel:BYTE_1 dst_unused:UNUSED_PAD src0_sel:DWORD src1_sel:BYTE_3
	v_bitop3_b16 v170, v170, v195, s8 bitop3:0xec
	v_bitop3_b16 v150, v150, v152, s8 bitop3:0xec
	v_lshlrev_b32_e32 v150, 16, v150
	v_ashrrev_i32_e32 v169, s18, v197
	v_or_b32_sdwa v195, v170, v150 dst_sel:DWORD dst_unused:UNUSED_PAD src0_sel:WORD_0 src1_sel:DWORD
	v_ashrrev_i32_e32 v150, s20, v171
	v_lshlrev_b32_e32 v169, 2, v169
	v_bfe_u32 v152, v150, 24, 2
	v_and_b32_e32 v150, 0x3030303, v150
	v_and_b32_e32 v169, 0x4040404, v169
	v_sub_u16_e32 v170, v150, v169
	v_sub_u16_sdwa v171, v150, v169 dst_sel:BYTE_1 dst_unused:UNUSED_PAD src0_sel:BYTE_1 src1_sel:BYTE_1
	v_sub_u16_sdwa v150, v150, v169 dst_sel:DWORD dst_unused:UNUSED_PAD src0_sel:WORD_1 src1_sel:WORD_1
	v_sub_u16_sdwa v152, v152, v169 dst_sel:BYTE_1 dst_unused:UNUSED_PAD src0_sel:DWORD src1_sel:BYTE_3
	v_bitop3_b16 v170, v170, v171, s8 bitop3:0xec
	v_bitop3_b16 v150, v150, v152, s8 bitop3:0xec
	v_lshlrev_b32_e32 v150, 16, v150
	v_or_b32_sdwa v196, v170, v150 dst_sel:DWORD dst_unused:UNUSED_PAD src0_sel:WORD_0 src1_sel:DWORD
	v_add3_u32 v150, s23, v151, v117
	v_add_u32_e32 v152, 0x2100, v154
	ds_read_b32 v150, v150
	ds_read2_b32 v[198:199], v152 offset1:1
	v_mov_b32_e32 v170, 0
	v_mov_b32_e32 v171, 0
	v_dot4c_i32_i8_e32 v170, v189, v36
	v_dot4c_i32_i8_e32 v171, v193, v32
	s_waitcnt lgkmcnt(0)
	v_ashrrev_i32_e32 v152, s20, v198
	v_ashrrev_i32_e32 v198, s18, v200
	v_lshlrev_b32_e32 v198, 2, v198
	v_bfe_u32 v197, v152, 24, 2
	v_and_b32_e32 v152, 0x3030303, v152
	v_and_b32_e32 v198, 0x4040404, v198
	v_sub_u16_e32 v200, v152, v198
	v_sub_u16_sdwa v202, v152, v198 dst_sel:BYTE_1 dst_unused:UNUSED_PAD src0_sel:BYTE_1 src1_sel:BYTE_1
	v_sub_u16_sdwa v152, v152, v198 dst_sel:DWORD dst_unused:UNUSED_PAD src0_sel:WORD_1 src1_sel:WORD_1
	v_sub_u16_sdwa v197, v197, v198 dst_sel:BYTE_1 dst_unused:UNUSED_PAD src0_sel:DWORD src1_sel:BYTE_3
	v_bitop3_b16 v200, v200, v202, s8 bitop3:0xec
	v_bitop3_b16 v152, v152, v197, s8 bitop3:0xec
	v_lshlrev_b32_e32 v152, 16, v152
	v_or_b32_sdwa v197, v200, v152 dst_sel:DWORD dst_unused:UNUSED_PAD src0_sel:WORD_0 src1_sel:DWORD
	v_ashrrev_i32_e32 v152, s20, v199
	v_ashrrev_i32_e32 v199, s18, v201
	v_lshlrev_b32_e32 v199, 2, v199
	v_bfe_u32 v198, v152, 24, 2
	v_and_b32_e32 v152, 0x3030303, v152
	v_and_b32_e32 v199, 0x4040404, v199
	v_sub_u16_e32 v200, v152, v199
	v_sub_u16_sdwa v201, v152, v199 dst_sel:BYTE_1 dst_unused:UNUSED_PAD src0_sel:BYTE_1 src1_sel:BYTE_1
	v_sub_u16_sdwa v152, v152, v199 dst_sel:DWORD dst_unused:UNUSED_PAD src0_sel:WORD_1 src1_sel:WORD_1
	v_sub_u16_sdwa v198, v198, v199 dst_sel:BYTE_1 dst_unused:UNUSED_PAD src0_sel:DWORD src1_sel:BYTE_3
	v_bitop3_b16 v200, v200, v201, s8 bitop3:0xec
	v_bitop3_b16 v152, v152, v198, s8 bitop3:0xec
	v_lshlrev_b32_e32 v152, 16, v152
	v_or_b32_sdwa v198, v200, v152 dst_sel:DWORD dst_unused:UNUSED_PAD src0_sel:WORD_0 src1_sel:DWORD
	v_add_u32_e32 v152, 0x2108, v154
	ds_read2_b32 v[200:201], v152 offset1:1
	ds_read2_b32 v[202:203], v206 offset0:2 offset1:3
	v_dot4c_i32_i8_e32 v214, v197, v36
	v_dot4c_i32_i8_e32 v170, v190, v37
	v_dot4c_i32_i8_e32 v171, v194, v33
	s_waitcnt lgkmcnt(1)
	v_ashrrev_i32_e32 v152, s20, v200
	s_waitcnt lgkmcnt(0)
	v_ashrrev_i32_e32 v200, s18, v202
	v_lshlrev_b32_e32 v200, 2, v200
	v_bfe_u32 v199, v152, 24, 2
	v_and_b32_e32 v152, 0x3030303, v152
	v_and_b32_e32 v200, 0x4040404, v200
	v_sub_u16_e32 v202, v152, v200
	v_sub_u16_sdwa v204, v152, v200 dst_sel:BYTE_1 dst_unused:UNUSED_PAD src0_sel:BYTE_1 src1_sel:BYTE_1
	v_sub_u16_sdwa v152, v152, v200 dst_sel:DWORD dst_unused:UNUSED_PAD src0_sel:WORD_1 src1_sel:WORD_1
	v_sub_u16_sdwa v199, v199, v200 dst_sel:BYTE_1 dst_unused:UNUSED_PAD src0_sel:DWORD src1_sel:BYTE_3
	v_bitop3_b16 v202, v202, v204, s8 bitop3:0xec
	v_bitop3_b16 v152, v152, v199, s8 bitop3:0xec
	v_lshlrev_b32_e32 v152, 16, v152
	v_or_b32_sdwa v199, v202, v152 dst_sel:DWORD dst_unused:UNUSED_PAD src0_sel:WORD_0 src1_sel:DWORD
	v_ashrrev_i32_e32 v152, s20, v201
	v_ashrrev_i32_e32 v201, s18, v203
	v_lshlrev_b32_e32 v201, 2, v201
	v_bfe_u32 v200, v152, 24, 2
	v_and_b32_e32 v152, 0x3030303, v152
	v_and_b32_e32 v201, 0x4040404, v201
	v_sub_u16_e32 v202, v152, v201
	v_sub_u16_sdwa v203, v152, v201 dst_sel:BYTE_1 dst_unused:UNUSED_PAD src0_sel:BYTE_1 src1_sel:BYTE_1
	v_sub_u16_sdwa v152, v152, v201 dst_sel:DWORD dst_unused:UNUSED_PAD src0_sel:WORD_1 src1_sel:WORD_1
	v_sub_u16_sdwa v200, v200, v201 dst_sel:BYTE_1 dst_unused:UNUSED_PAD src0_sel:DWORD src1_sel:BYTE_3
	v_bitop3_b16 v202, v202, v203, s8 bitop3:0xec
	v_bitop3_b16 v152, v152, v200, s8 bitop3:0xec
	v_lshlrev_b32_e32 v152, 16, v152
	v_or_b32_sdwa v200, v202, v152 dst_sel:DWORD dst_unused:UNUSED_PAD src0_sel:WORD_0 src1_sel:DWORD
	v_add_u32_e32 v152, 0x2110, v154
	ds_read2_b32 v[202:203], v152 offset1:1
	ds_read2_b32 v[204:205], v206 offset0:4 offset1:5
	v_dot4c_i32_i8_e32 v214, v198, v37
	v_dot4c_i32_i8_e32 v170, v191, v38
	v_dot4c_i32_i8_e32 v171, v195, v34
	s_waitcnt lgkmcnt(1)
	v_ashrrev_i32_e32 v152, s20, v202
	s_waitcnt lgkmcnt(0)
	;; [unrolled: 36-line block ×3, first 2 shown]
	v_ashrrev_i32_e32 v204, s18, v206
	v_lshlrev_b32_e32 v204, 2, v204
	v_bfe_u32 v203, v152, 24, 2
	v_and_b32_e32 v152, 0x3030303, v152
	v_and_b32_e32 v204, 0x4040404, v204
	v_sub_u16_e32 v206, v152, v204
	v_sub_u16_sdwa v208, v152, v204 dst_sel:BYTE_1 dst_unused:UNUSED_PAD src0_sel:BYTE_1 src1_sel:BYTE_1
	v_sub_u16_sdwa v152, v152, v204 dst_sel:DWORD dst_unused:UNUSED_PAD src0_sel:WORD_1 src1_sel:WORD_1
	v_sub_u16_sdwa v203, v203, v204 dst_sel:BYTE_1 dst_unused:UNUSED_PAD src0_sel:DWORD src1_sel:BYTE_3
	v_bitop3_b16 v206, v206, v208, s8 bitop3:0xec
	v_bitop3_b16 v152, v152, v203, s8 bitop3:0xec
	v_lshlrev_b32_e32 v152, 16, v152
	v_or_b32_sdwa v203, v206, v152 dst_sel:DWORD dst_unused:UNUSED_PAD src0_sel:WORD_0 src1_sel:DWORD
	v_ashrrev_i32_e32 v152, s20, v205
	v_ashrrev_i32_e32 v205, s18, v207
	v_lshlrev_b32_e32 v205, 2, v205
	v_bfe_u32 v204, v152, 24, 2
	v_and_b32_e32 v152, 0x3030303, v152
	v_and_b32_e32 v205, 0x4040404, v205
	v_sub_u16_e32 v206, v152, v205
	v_sub_u16_sdwa v207, v152, v205 dst_sel:BYTE_1 dst_unused:UNUSED_PAD src0_sel:BYTE_1 src1_sel:BYTE_1
	v_sub_u16_sdwa v152, v152, v205 dst_sel:DWORD dst_unused:UNUSED_PAD src0_sel:WORD_1 src1_sel:WORD_1
	v_sub_u16_sdwa v204, v204, v205 dst_sel:BYTE_1 dst_unused:UNUSED_PAD src0_sel:DWORD src1_sel:BYTE_3
	v_bitop3_b16 v206, v206, v207, s8 bitop3:0xec
	v_bitop3_b16 v152, v152, v204, s8 bitop3:0xec
	v_lshlrev_b32_e32 v152, 16, v152
	v_add_u32_e32 v205, 0x3180, v154
	v_or_b32_sdwa v204, v206, v152 dst_sel:DWORD dst_unused:UNUSED_PAD src0_sel:WORD_0 src1_sel:DWORD
	ds_read2_b32 v[206:207], v205 offset1:1
	ds_read2_b32 v[208:209], v212 offset1:1
	v_add3_u32 v152, s23, v155, v123
	ds_read_b32 v152, v152
	v_dot4c_i32_i8_e32 v219, v203, v34
	s_waitcnt lgkmcnt(2)
	v_ashrrev_i32_e32 v205, s20, v206
	s_waitcnt lgkmcnt(1)
	v_ashrrev_i32_e32 v208, s18, v208
	v_lshlrev_b32_e32 v208, 2, v208
	v_bfe_u32 v206, v205, 24, 2
	v_and_b32_e32 v205, 0x3030303, v205
	v_and_b32_e32 v208, 0x4040404, v208
	v_sub_u16_e32 v210, v205, v208
	v_sub_u16_sdwa v211, v205, v208 dst_sel:BYTE_1 dst_unused:UNUSED_PAD src0_sel:BYTE_1 src1_sel:BYTE_1
	v_sub_u16_sdwa v205, v205, v208 dst_sel:DWORD dst_unused:UNUSED_PAD src0_sel:WORD_1 src1_sel:WORD_1
	v_sub_u16_sdwa v206, v206, v208 dst_sel:BYTE_1 dst_unused:UNUSED_PAD src0_sel:DWORD src1_sel:BYTE_3
	v_ashrrev_i32_e32 v208, s18, v209
	v_bitop3_b16 v205, v205, v206, s8 bitop3:0xec
	v_ashrrev_i32_e32 v206, s20, v207
	v_lshlrev_b32_e32 v208, 2, v208
	v_bitop3_b16 v210, v210, v211, s8 bitop3:0xec
	v_lshlrev_b32_e32 v205, 16, v205
	v_bfe_u32 v207, v206, 24, 2
	v_and_b32_e32 v206, 0x3030303, v206
	v_and_b32_e32 v208, 0x4040404, v208
	v_or_b32_sdwa v205, v210, v205 dst_sel:DWORD dst_unused:UNUSED_PAD src0_sel:WORD_0 src1_sel:DWORD
	v_sub_u16_e32 v209, v206, v208
	v_sub_u16_sdwa v210, v206, v208 dst_sel:BYTE_1 dst_unused:UNUSED_PAD src0_sel:BYTE_1 src1_sel:BYTE_1
	v_sub_u16_sdwa v206, v206, v208 dst_sel:DWORD dst_unused:UNUSED_PAD src0_sel:WORD_1 src1_sel:WORD_1
	v_sub_u16_sdwa v207, v207, v208 dst_sel:BYTE_1 dst_unused:UNUSED_PAD src0_sel:DWORD src1_sel:BYTE_3
	v_bitop3_b16 v209, v209, v210, s8 bitop3:0xec
	v_bitop3_b16 v206, v206, v207, s8 bitop3:0xec
	v_lshlrev_b32_e32 v206, 16, v206
	v_add_u32_e32 v207, 0x3188, v154
	v_or_b32_sdwa v206, v209, v206 dst_sel:DWORD dst_unused:UNUSED_PAD src0_sel:WORD_0 src1_sel:DWORD
	ds_read2_b32 v[208:209], v207 offset1:1
	ds_read2_b32 v[210:211], v212 offset0:2 offset1:3
	v_dot4c_i32_i8_e32 v168, v165, v35
	v_dot4c_i32_i8_e32 v170, v192, v39
	;; [unrolled: 1-line block ×3, first 2 shown]
	s_waitcnt lgkmcnt(1)
	v_ashrrev_i32_e32 v207, s20, v208
	s_waitcnt lgkmcnt(0)
	v_ashrrev_i32_e32 v210, s18, v210
	v_lshlrev_b32_e32 v210, 2, v210
	v_bfe_u32 v208, v207, 24, 2
	v_and_b32_e32 v207, 0x3030303, v207
	v_and_b32_e32 v210, 0x4040404, v210
	v_sub_u16_e32 v215, v207, v210
	v_sub_u16_sdwa v216, v207, v210 dst_sel:BYTE_1 dst_unused:UNUSED_PAD src0_sel:BYTE_1 src1_sel:BYTE_1
	v_sub_u16_sdwa v207, v207, v210 dst_sel:DWORD dst_unused:UNUSED_PAD src0_sel:WORD_1 src1_sel:WORD_1
	v_sub_u16_sdwa v208, v208, v210 dst_sel:BYTE_1 dst_unused:UNUSED_PAD src0_sel:DWORD src1_sel:BYTE_3
	v_ashrrev_i32_e32 v210, s18, v211
	v_bitop3_b16 v207, v207, v208, s8 bitop3:0xec
	v_ashrrev_i32_e32 v208, s20, v209
	v_lshlrev_b32_e32 v210, 2, v210
	v_bitop3_b16 v215, v215, v216, s8 bitop3:0xec
	v_lshlrev_b32_e32 v207, 16, v207
	v_bfe_u32 v209, v208, 24, 2
	v_and_b32_e32 v208, 0x3030303, v208
	v_and_b32_e32 v210, 0x4040404, v210
	v_or_b32_sdwa v207, v215, v207 dst_sel:DWORD dst_unused:UNUSED_PAD src0_sel:WORD_0 src1_sel:DWORD
	v_sub_u16_e32 v211, v208, v210
	v_sub_u16_sdwa v215, v208, v210 dst_sel:BYTE_1 dst_unused:UNUSED_PAD src0_sel:BYTE_1 src1_sel:BYTE_1
	v_sub_u16_sdwa v208, v208, v210 dst_sel:DWORD dst_unused:UNUSED_PAD src0_sel:WORD_1 src1_sel:WORD_1
	v_sub_u16_sdwa v209, v209, v210 dst_sel:BYTE_1 dst_unused:UNUSED_PAD src0_sel:DWORD src1_sel:BYTE_3
	v_bitop3_b16 v211, v211, v215, s8 bitop3:0xec
	v_bitop3_b16 v208, v208, v209, s8 bitop3:0xec
	v_lshlrev_b32_e32 v208, 16, v208
	v_add_u32_e32 v209, 0x3190, v154
	v_or_b32_sdwa v208, v211, v208 dst_sel:DWORD dst_unused:UNUSED_PAD src0_sel:WORD_0 src1_sel:DWORD
	ds_read2_b32 v[210:211], v209 offset1:1
	ds_read2_b32 v[216:217], v212 offset0:4 offset1:5
	v_add_u32_e32 v154, 0x3198, v154
	v_ashrrev_i32_e32 v212, s18, v220
	v_lshlrev_b32_e32 v212, 2, v212
	s_waitcnt lgkmcnt(1)
	v_ashrrev_i32_e32 v209, s20, v210
	s_waitcnt lgkmcnt(0)
	v_ashrrev_i32_e32 v215, s18, v216
	v_lshlrev_b32_e32 v215, 2, v215
	v_bfe_u32 v210, v209, 24, 2
	v_and_b32_e32 v209, 0x3030303, v209
	v_and_b32_e32 v215, 0x4040404, v215
	v_sub_u16_e32 v216, v209, v215
	v_sub_u16_sdwa v218, v209, v215 dst_sel:BYTE_1 dst_unused:UNUSED_PAD src0_sel:BYTE_1 src1_sel:BYTE_1
	v_sub_u16_sdwa v209, v209, v215 dst_sel:DWORD dst_unused:UNUSED_PAD src0_sel:WORD_1 src1_sel:WORD_1
	v_sub_u16_sdwa v210, v210, v215 dst_sel:BYTE_1 dst_unused:UNUSED_PAD src0_sel:DWORD src1_sel:BYTE_3
	v_ashrrev_i32_e32 v215, s18, v217
	v_bitop3_b16 v209, v209, v210, s8 bitop3:0xec
	v_ashrrev_i32_e32 v210, s20, v211
	v_lshlrev_b32_e32 v215, 2, v215
	v_bitop3_b16 v216, v216, v218, s8 bitop3:0xec
	v_lshlrev_b32_e32 v209, 16, v209
	v_bfe_u32 v211, v210, 24, 2
	v_and_b32_e32 v210, 0x3030303, v210
	v_and_b32_e32 v215, 0x4040404, v215
	v_or_b32_sdwa v209, v216, v209 dst_sel:DWORD dst_unused:UNUSED_PAD src0_sel:WORD_0 src1_sel:DWORD
	v_sub_u16_e32 v216, v210, v215
	v_sub_u16_sdwa v217, v210, v215 dst_sel:BYTE_1 dst_unused:UNUSED_PAD src0_sel:BYTE_1 src1_sel:BYTE_1
	v_sub_u16_sdwa v210, v210, v215 dst_sel:DWORD dst_unused:UNUSED_PAD src0_sel:WORD_1 src1_sel:WORD_1
	v_sub_u16_sdwa v211, v211, v215 dst_sel:BYTE_1 dst_unused:UNUSED_PAD src0_sel:DWORD src1_sel:BYTE_3
	v_bitop3_b16 v216, v216, v217, s8 bitop3:0xec
	v_bitop3_b16 v210, v210, v211, s8 bitop3:0xec
	v_lshlrev_b32_e32 v210, 16, v210
	v_or_b32_sdwa v210, v216, v210 dst_sel:DWORD dst_unused:UNUSED_PAD src0_sel:WORD_0 src1_sel:DWORD
	ds_read2_b32 v[216:217], v154 offset1:1
	v_and_b32_e32 v212, 0x4040404, v212
	v_dot4c_i32_i8_e32 v230, v209, v32
	v_dot4c_i32_i8_e32 v230, v210, v33
	;; [unrolled: 1-line block ×3, first 2 shown]
	s_waitcnt lgkmcnt(0)
	v_ashrrev_i32_e32 v154, s20, v216
	v_bfe_u32 v211, v154, 24, 2
	v_and_b32_e32 v154, 0x3030303, v154
	v_sub_u16_e32 v215, v154, v212
	v_sub_u16_sdwa v216, v154, v212 dst_sel:BYTE_1 dst_unused:UNUSED_PAD src0_sel:BYTE_1 src1_sel:BYTE_1
	v_sub_u16_sdwa v154, v154, v212 dst_sel:DWORD dst_unused:UNUSED_PAD src0_sel:WORD_1 src1_sel:WORD_1
	v_sub_u16_sdwa v211, v211, v212 dst_sel:BYTE_1 dst_unused:UNUSED_PAD src0_sel:DWORD src1_sel:BYTE_3
	v_bitop3_b16 v215, v215, v216, s8 bitop3:0xec
	v_bitop3_b16 v154, v154, v211, s8 bitop3:0xec
	v_lshlrev_b32_e32 v154, 16, v154
	v_or_b32_sdwa v211, v215, v154 dst_sel:DWORD dst_unused:UNUSED_PAD src0_sel:WORD_0 src1_sel:DWORD
	v_ashrrev_i32_e32 v215, s18, v221
	v_ashrrev_i32_e32 v154, s20, v217
	v_lshlrev_b32_e32 v215, 2, v215
	v_bfe_u32 v212, v154, 24, 2
	v_and_b32_e32 v154, 0x3030303, v154
	v_and_b32_e32 v215, 0x4040404, v215
	v_sub_u16_e32 v216, v154, v215
	v_sub_u16_sdwa v217, v154, v215 dst_sel:BYTE_1 dst_unused:UNUSED_PAD src0_sel:BYTE_1 src1_sel:BYTE_1
	v_sub_u16_sdwa v154, v154, v215 dst_sel:DWORD dst_unused:UNUSED_PAD src0_sel:WORD_1 src1_sel:WORD_1
	v_sub_u16_sdwa v212, v212, v215 dst_sel:BYTE_1 dst_unused:UNUSED_PAD src0_sel:DWORD src1_sel:BYTE_3
	v_mov_b32_e32 v221, 0
	v_bitop3_b16 v154, v154, v212, s8 bitop3:0xec
	v_dot4c_i32_i8_e32 v221, v205, v36
	v_bitop3_b16 v216, v216, v217, s8 bitop3:0xec
	v_lshlrev_b32_e32 v154, 16, v154
	v_dot4c_i32_i8_e32 v221, v206, v37
	v_or_b32_sdwa v212, v216, v154 dst_sel:DWORD dst_unused:UNUSED_PAD src0_sel:WORD_0 src1_sel:DWORD
	v_add3_u32 v154, s23, v173, v129
	v_dot4c_i32_i8_e32 v221, v207, v38
	v_dot4c_i32_i8_e32 v230, v211, v34
	;; [unrolled: 1-line block ×3, first 2 shown]
	ds_read_b32 v154, v154
	v_dot4c_i32_i8_e32 v221, v208, v39
	v_dot4c_i32_i8_e32 v230, v212, v35
	ds_read_b128 v[32:35], v187 offset:1024
	ds_read_b128 v[36:39], v187 offset:1040
	v_mov_b32_e32 v215, 0
	v_mov_b32_e32 v226, 0
	;; [unrolled: 1-line block ×8, first 2 shown]
	s_waitcnt lgkmcnt(1)
	v_dot4c_i32_i8_e32 v215, v158, v32
	s_waitcnt lgkmcnt(0)
	v_dot4c_i32_i8_e32 v226, v162, v36
	v_dot4c_i32_i8_e32 v236, v189, v32
	;; [unrolled: 1-line block ×31, first 2 shown]
	ds_read2_b32 v[216:217], v188 offset0:64 offset1:96
	ds_read_b128 v[32:35], v187 offset:2048
	ds_read_b128 v[36:39], v187 offset:2064
	v_mov_b32_e32 v223, 0
	v_mov_b32_e32 v222, 0
	;; [unrolled: 1-line block ×8, first 2 shown]
	s_waitcnt lgkmcnt(1)
	v_dot4c_i32_i8_e32 v223, v158, v32
	s_waitcnt lgkmcnt(0)
	v_dot4c_i32_i8_e32 v222, v162, v36
	v_dot4c_i32_i8_e32 v242, v189, v32
	;; [unrolled: 1-line block ×15, first 2 shown]
	v_add_u32_e32 v166, s21, v55
	v_dot4c_i32_i8_e32 v223, v160, v34
	v_dot4c_i32_i8_e32 v222, v164, v38
	;; [unrolled: 1-line block ×16, first 2 shown]
	ds_read_b128 v[32:35], v187 offset:3072
	ds_read_b128 v[36:39], v187 offset:3088
	ds_read_u16 v166, v166 offset:33522
	v_add_u32_e32 v169, s21, v57
	v_add_u32_e32 v213, s21, v59
	;; [unrolled: 1-line block ×3, first 2 shown]
	v_mov_b32_e32 v224, 0
	s_waitcnt lgkmcnt(0)
	v_lshrrev_b16_e32 v218, 8, v166
	v_bfe_i32 v166, v166, 0, 8
	v_bfe_i32 v231, v218, 0, 8
	v_mul_lo_u32 v168, v168, v231
	v_mul_lo_u32 v218, v215, v166
	v_mad_u64_u32 v[226:227], s[20:21], v226, v231, v[218:219]
	v_mad_u64_u32 v[228:229], s[20:21], v167, v166, v[168:169]
	v_dot4c_i32_i8_e32 v224, v158, v32
	v_mov_b32_e32 v225, 0
	v_cvt_f32_i32_e32 v227, v228
	v_cvt_f32_i32_e32 v226, v226
	v_dot4c_i32_i8_e32 v224, v159, v33
	v_dot4c_i32_i8_e32 v225, v162, v36
	;; [unrolled: 1-line block ×4, first 2 shown]
	v_mov_b32_e32 v232, v157
	v_mov_b32_e32 v233, v156
	v_dot4c_i32_i8_e32 v224, v161, v35
	v_dot4c_i32_i8_e32 v225, v164, v38
	v_pk_mul_f32 v[156:157], v[148:149], v[232:233] op_sel_hi:[0,1]
	v_dot4c_i32_i8_e32 v225, v165, v39
	v_mul_lo_u32 v222, v222, v231
	v_mul_lo_u32 v224, v224, v166
	v_pk_fma_f32 v[16:17], v[156:157], v[226:227], v[16:17]
	ds_read_u16 v156, v169 offset:34546
	v_mad_u64_u32 v[224:225], s[20:21], v225, v231, v[224:225]
	v_mad_u64_u32 v[222:223], s[20:21], v223, v166, v[222:223]
	v_cvt_f32_i32_e32 v223, v222
	v_cvt_f32_i32_e32 v222, v224
	v_mov_b32_e32 v157, 0
	v_dot4c_i32_i8_e32 v157, v189, v32
	v_mov_b32_e32 v234, v217
	v_mov_b32_e32 v235, v216
	v_dot4c_i32_i8_e32 v157, v190, v33
	v_pk_mul_f32 v[216:217], v[148:149], v[234:235] op_sel_hi:[0,1]
	v_dot4c_i32_i8_e32 v157, v191, v34
	s_waitcnt lgkmcnt(0)
	v_lshrrev_b16_e32 v168, 8, v156
	v_pk_fma_f32 v[18:19], v[216:217], v[222:223], v[18:19]
	v_dot4c_i32_i8_e32 v157, v192, v35
	v_bfe_i32 v217, v156, 0, 8
	v_bfe_i32 v218, v168, 0, 8
	v_mul_lo_u32 v156, v171, v218
	v_mul_lo_u32 v168, v236, v217
	;; [unrolled: 1-line block ×3, first 2 shown]
                                        ; kill: def $vgpr157 killed $sgpr0 killed $exec
	v_mov_b32_e32 v167, 0
	v_mad_u64_u32 v[168:169], s[20:21], v237, v218, v[168:169]
	v_mad_u64_u32 v[156:157], s[20:21], v170, v217, v[156:157]
	v_dot4c_i32_i8_e32 v167, v193, v36
	v_cvt_f32_i32_e32 v157, v156
	v_cvt_f32_i32_e32 v156, v168
	v_dot4c_i32_i8_e32 v167, v194, v37
	v_dot4c_i32_i8_e32 v167, v195, v38
	;; [unrolled: 1-line block ×3, first 2 shown]
	v_mul_lo_u32 v216, v243, v218
	v_pk_mul_f32 v[170:171], v[150:151], v[232:233] op_sel_hi:[0,1]
	v_mad_u64_u32 v[224:225], s[20:21], v242, v217, v[216:217]
	v_mad_u64_u32 v[222:223], s[20:21], v167, v218, v[222:223]
	v_pk_fma_f32 v[28:29], v[170:171], v[156:157], v[28:29]
	ds_read_u16 v156, v213 offset:35570
	v_cvt_f32_i32_e32 v169, v224
	v_cvt_f32_i32_e32 v168, v222
	v_mov_b32_e32 v157, 0
	v_dot4c_i32_i8_e32 v157, v197, v32
	v_pk_mul_f32 v[226:227], v[150:151], v[234:235] op_sel_hi:[0,1]
	v_dot4c_i32_i8_e32 v157, v198, v33
	v_pk_fma_f32 v[30:31], v[226:227], v[168:169], v[30:31]
	v_dot4c_i32_i8_e32 v157, v199, v34
	s_waitcnt lgkmcnt(0)
	v_lshrrev_b16_e32 v168, 8, v156
	v_dot4c_i32_i8_e32 v157, v200, v35
	v_bfe_i32 v215, v156, 0, 8
	v_bfe_i32 v216, v168, 0, 8
	v_mul_lo_u32 v156, v219, v216
	v_mul_lo_u32 v168, v238, v215
	;; [unrolled: 1-line block ×3, first 2 shown]
                                        ; kill: def $vgpr157 killed $sgpr0 killed $exec
	v_mad_u64_u32 v[168:169], s[20:21], v239, v216, v[168:169]
	v_mad_u64_u32 v[156:157], s[20:21], v214, v215, v[156:157]
	v_cvt_f32_i32_e32 v157, v156
	v_cvt_f32_i32_e32 v156, v168
	v_pk_mul_f32 v[224:225], v[152:153], v[232:233] op_sel_hi:[0,1]
	v_mov_b32_e32 v167, 0
	v_dot4c_i32_i8_e32 v167, v201, v36
	v_pk_fma_f32 v[24:25], v[224:225], v[156:157], v[24:25]
	v_mov_b32_e32 v156, 0
	v_dot4c_i32_i8_e32 v156, v205, v32
	ds_read_u16 v32, v220 offset:36594
	v_dot4c_i32_i8_e32 v156, v206, v33
	v_mov_b32_e32 v33, 0
	v_dot4c_i32_i8_e32 v33, v209, v36
	v_dot4c_i32_i8_e32 v167, v202, v37
	;; [unrolled: 1-line block ×7, first 2 shown]
	s_waitcnt lgkmcnt(0)
	v_lshrrev_b16_e32 v34, 8, v32
	v_bfe_i32 v213, v32, 0, 8
	v_dot4c_i32_i8_e32 v167, v204, v39
	v_mul_lo_u32 v170, v245, v216
	v_dot4c_i32_i8_e32 v33, v212, v39
	v_bfe_i32 v214, v34, 0, 8
	v_mul_lo_u32 v38, v156, v213
	v_mad_u64_u32 v[222:223], s[20:21], v167, v216, v[222:223]
	v_mad_u64_u32 v[170:171], s[20:21], v244, v215, v[170:171]
	v_mul_lo_u32 v32, v230, v214
	v_mul_lo_u32 v34, v240, v213
	;; [unrolled: 1-line block ×3, first 2 shown]
                                        ; kill: def $vgpr35 killed $sgpr0 killed $exec
	v_mad_u64_u32 v[38:39], s[20:21], v33, v214, v[38:39]
                                        ; kill: def $vgpr33 killed $sgpr0 killed $exec
	v_cvt_f32_i32_e32 v169, v170
	v_cvt_f32_i32_e32 v168, v222
	v_mad_u64_u32 v[36:37], s[20:21], v246, v213, v[36:37]
	v_mad_u64_u32 v[34:35], s[20:21], v241, v214, v[34:35]
	;; [unrolled: 1-line block ×3, first 2 shown]
	v_cvt_f32_i32_e32 v33, v32
	v_cvt_f32_i32_e32 v32, v34
	;; [unrolled: 1-line block ×4, first 2 shown]
	v_pk_mul_f32 v[226:227], v[152:153], v[234:235] op_sel_hi:[0,1]
	v_pk_fma_f32 v[26:27], v[226:227], v[168:169], v[26:27]
	v_pk_mul_f32 v[156:157], v[154:155], v[232:233] op_sel_hi:[0,1]
	v_pk_mul_f32 v[168:169], v[154:155], v[234:235] op_sel_hi:[0,1]
	v_pk_fma_f32 v[22:23], v[168:169], v[34:35], v[22:23]
	v_pk_fma_f32 v[20:21], v[156:157], v[32:33], v[20:21]
	ds_read2_b32 v[156:157], v188 offset0:128 offset1:160
	ds_read_b128 v[32:35], v187 offset:4096
	ds_read_b128 v[36:39], v187 offset:4112
	v_mov_b32_e32 v167, 0
	v_mov_b32_e32 v170, 0
	;; [unrolled: 1-line block ×8, first 2 shown]
	s_waitcnt lgkmcnt(1)
	v_dot4c_i32_i8_e32 v167, v158, v32
	s_waitcnt lgkmcnt(0)
	v_dot4c_i32_i8_e32 v170, v162, v36
	v_dot4c_i32_i8_e32 v227, v189, v32
	;; [unrolled: 1-line block ×31, first 2 shown]
	ds_read_b128 v[32:35], v187 offset:5120
	ds_read_b128 v[36:39], v187 offset:5136
	v_mov_b32_e32 v171, 0
	v_mov_b32_e32 v238, 0
	;; [unrolled: 1-line block ×8, first 2 shown]
	s_waitcnt lgkmcnt(1)
	v_dot4c_i32_i8_e32 v171, v158, v32
	s_waitcnt lgkmcnt(0)
	v_dot4c_i32_i8_e32 v238, v162, v36
	v_dot4c_i32_i8_e32 v230, v189, v32
	;; [unrolled: 1-line block ×31, first 2 shown]
	ds_read2_b32 v[168:169], v188 offset0:192 offset1:224
	ds_read_b128 v[32:35], v187 offset:6144
	ds_read_b128 v[36:39], v187 offset:6160
	v_mov_b32_e32 v239, 0
	v_mov_b32_e32 v240, 0
	;; [unrolled: 1-line block ×8, first 2 shown]
	s_waitcnt lgkmcnt(1)
	v_dot4c_i32_i8_e32 v239, v158, v32
	s_waitcnt lgkmcnt(0)
	v_dot4c_i32_i8_e32 v240, v162, v36
	v_dot4c_i32_i8_e32 v236, v189, v32
	;; [unrolled: 1-line block ×31, first 2 shown]
	ds_read_b128 v[36:39], v187 offset:7168
	ds_read_b128 v[32:35], v187 offset:7184
	v_mov_b32_e32 v241, 0
	s_add_i32 s17, s17, 2
	s_add_i32 s18, s18, 1
	s_waitcnt lgkmcnt(1)
	v_dot4c_i32_i8_e32 v241, v158, v36
	v_dot4c_i32_i8_e32 v241, v159, v37
	v_mov_b32_e32 v159, 0
	s_waitcnt lgkmcnt(0)
	v_dot4c_i32_i8_e32 v159, v162, v32
	v_dot4c_i32_i8_e32 v241, v160, v38
	;; [unrolled: 1-line block ×6, first 2 shown]
	v_mul_lo_u32 v160, v240, v231
	v_mul_lo_u32 v158, v241, v166
                                        ; kill: def $vgpr161 killed $sgpr0 killed $exec
	v_mul_lo_u32 v164, v170, v231
	v_mad_u64_u32 v[158:159], s[20:21], v159, v231, v[158:159]
	v_mad_u64_u32 v[160:161], s[20:21], v239, v166, v[160:161]
	v_cvt_f32_i32_e32 v159, v160
	v_cvt_f32_i32_e32 v158, v158
	v_mul_lo_u32 v162, v171, v166
	v_mad_u64_u32 v[164:165], s[20:21], v167, v166, v[164:165]
	v_mov_b32_e32 v166, v157
	v_mov_b32_e32 v167, v156
	;; [unrolled: 1-line block ×4, first 2 shown]
	v_pk_mul_f32 v[168:169], v[148:149], v[156:157] op_sel_hi:[0,1]
	v_mad_u64_u32 v[162:163], s[20:21], v238, v231, v[162:163]
	v_pk_fma_f32 v[14:15], v[168:169], v[158:159], v[14:15]
	v_mov_b32_e32 v159, 0
	v_cvt_f32_i32_e32 v163, v164
	v_cvt_f32_i32_e32 v162, v162
	v_dot4c_i32_i8_e32 v159, v189, v36
	v_dot4c_i32_i8_e32 v159, v190, v37
	v_mov_b32_e32 v161, 0
	v_dot4c_i32_i8_e32 v159, v191, v38
	v_dot4c_i32_i8_e32 v161, v193, v32
	v_pk_mul_f32 v[170:171], v[148:149], v[166:167] op_sel_hi:[0,1]
	v_dot4c_i32_i8_e32 v159, v192, v39
	v_dot4c_i32_i8_e32 v161, v194, v33
	v_pk_fma_f32 v[12:13], v[170:171], v[162:163], v[12:13]
	v_dot4c_i32_i8_e32 v161, v195, v34
	v_mul_lo_u32 v148, v228, v218
	v_mul_lo_u32 v158, v230, v217
	;; [unrolled: 1-line block ×3, first 2 shown]
                                        ; kill: def $vgpr159 killed $sgpr0 killed $exec
	v_dot4c_i32_i8_e32 v161, v196, v35
	v_mul_lo_u32 v160, v237, v218
	v_mad_u64_u32 v[158:159], s[20:21], v229, v218, v[158:159]
	v_mad_u64_u32 v[164:165], s[20:21], v227, v217, v[148:149]
	;; [unrolled: 1-line block ×4, first 2 shown]
	v_cvt_f32_i32_e32 v159, v164
	v_cvt_f32_i32_e32 v158, v158
	;; [unrolled: 1-line block ×4, first 2 shown]
	v_pk_mul_f32 v[168:169], v[150:151], v[166:167] op_sel_hi:[0,1]
	v_mul_lo_u32 v148, v224, v216
	v_pk_mul_f32 v[170:171], v[150:151], v[156:157] op_sel_hi:[0,1]
	v_pk_fma_f32 v[8:9], v[168:169], v[158:159], v[8:9]
	v_mov_b32_e32 v159, 0
	v_mad_u64_u32 v[164:165], s[20:21], v223, v215, v[148:149]
	v_mov_b32_e32 v148, 0
	v_pk_fma_f32 v[10:11], v[170:171], v[160:161], v[10:11]
	v_dot4c_i32_i8_e32 v159, v197, v36
	v_mov_b32_e32 v161, 0
	v_dot4c_i32_i8_e32 v148, v205, v36
	v_dot4c_i32_i8_e32 v159, v198, v37
	;; [unrolled: 1-line block ×4, first 2 shown]
	v_mov_b32_e32 v37, 0
	v_dot4c_i32_i8_e32 v159, v199, v38
	v_dot4c_i32_i8_e32 v161, v202, v33
	;; [unrolled: 1-line block ×8, first 2 shown]
	v_mul_lo_u32 v158, v235, v216
	v_mul_lo_u32 v160, v159, v215
                                        ; kill: def $vgpr159 killed $sgpr0 killed $exec
	v_dot4c_i32_i8_e32 v148, v208, v39
	v_dot4c_i32_i8_e32 v37, v211, v34
	v_mul_lo_u32 v150, v226, v215
	v_mad_u64_u32 v[160:161], s[20:21], v161, v216, v[160:161]
	v_mad_u64_u32 v[158:159], s[20:21], v234, v215, v[158:159]
	v_dot4c_i32_i8_e32 v37, v212, v35
	v_mul_lo_u32 v32, v220, v214
	v_mul_lo_u32 v34, v222, v213
	;; [unrolled: 1-line block ×4, first 2 shown]
                                        ; kill: def $vgpr33 killed $sgpr0 killed $exec
	v_mad_u64_u32 v[162:163], s[20:21], v225, v216, v[150:151]
	v_cvt_f32_i32_e32 v159, v158
	v_cvt_f32_i32_e32 v158, v160
	v_mad_u64_u32 v[38:39], s[20:21], v37, v214, v[38:39]
	v_mad_u64_u32 v[36:37], s[20:21], v232, v213, v[36:37]
	;; [unrolled: 1-line block ×4, first 2 shown]
	v_cvt_f32_i32_e32 v163, v164
	v_cvt_f32_i32_e32 v162, v162
	;; [unrolled: 1-line block ×6, first 2 shown]
	v_pk_mul_f32 v[170:171], v[152:153], v[156:157] op_sel_hi:[0,1]
	v_pk_mul_f32 v[168:169], v[152:153], v[166:167] op_sel_hi:[0,1]
	v_pk_fma_f32 v[6:7], v[170:171], v[158:159], v[6:7]
	v_pk_mul_f32 v[158:159], v[154:155], v[166:167] op_sel_hi:[0,1]
	v_pk_mul_f32 v[156:157], v[154:155], v[156:157] op_sel_hi:[0,1]
	v_pk_fma_f32 v[4:5], v[168:169], v[162:163], v[4:5]
	v_pk_fma_f32 v[2:3], v[156:157], v[34:35], v[2:3]
	;; [unrolled: 1-line block ×3, first 2 shown]
	v_add_u32_e32 v188, 4, v188
	v_add_u32_e32 v187, 32, v187
	s_cmp_lt_u32 s19, 30
	s_mov_b32 s21, s19
	s_cbranch_scc1 .LBB170_14
; %bb.15:                               ;   in Loop: Header=BB170_6 Depth=1
	s_barrier
	s_branch .LBB170_5
.LBB170_16:
	v_mov_b32_e32 v0, 0
	v_mov_b32_e32 v2, v0
	;; [unrolled: 1-line block ×4, first 2 shown]
	v_mov_b64_e32 v[22:23], v[2:3]
	v_mov_b64_e32 v[6:7], v[2:3]
	;; [unrolled: 1-line block ×14, first 2 shown]
	v_cmp_gt_u32_e32 vcc, s10, v47
	s_and_saveexec_b64 s[0:1], vcc
	s_cbranch_execnz .LBB170_19
.LBB170_17:
	s_endpgm
.LBB170_18:
	v_mov_b32_e32 v32, v77
	v_cmp_gt_u32_e32 vcc, s10, v47
	s_and_saveexec_b64 s[0:1], vcc
	s_cbranch_execz .LBB170_17
.LBB170_19:
	v_add_u32_e32 v33, s6, v41
	v_mul_lo_u32 v34, v47, s14
	v_cmp_gt_u32_e64 s[0:1], s14, v33
	s_and_saveexec_b64 s[2:3], s[0:1]
	s_cbranch_execz .LBB170_21
; %bb.20:
	v_bfe_u32 v35, v17, 16, 1
	s_movk_i32 s4, 0x7fff
	v_add3_u32 v35, v17, v35, s4
	v_cmp_o_f32_e32 vcc, v17, v17
	v_mov_b32_e32 v17, 0x7fc0
	v_add_u32_e32 v36, v33, v34
	v_mov_b32_e32 v37, 0
	v_cndmask_b32_sdwa v17, v17, v35, vcc dst_sel:DWORD dst_unused:UNUSED_PAD src0_sel:DWORD src1_sel:WORD_1
	s_waitcnt lgkmcnt(0)
	v_lshl_add_u64 v[36:37], v[36:37], 1, s[12:13]
	global_store_short v[36:37], v17, off
.LBB170_21:
	s_or_b64 exec, exec, s[2:3]
	v_add_u32_e32 v17, 32, v33
	v_cmp_gt_u32_e64 s[2:3], s14, v17
	s_and_saveexec_b64 s[4:5], s[2:3]
	s_cbranch_execz .LBB170_23
; %bb.22:
	v_bfe_u32 v35, v29, 16, 1
	s_movk_i32 s6, 0x7fff
	v_add3_u32 v35, v29, v35, s6
	v_cmp_o_f32_e32 vcc, v29, v29
	v_mov_b32_e32 v29, 0x7fc0
	v_add_u32_e32 v36, v17, v34
	v_mov_b32_e32 v37, 0
	v_cndmask_b32_sdwa v29, v29, v35, vcc dst_sel:DWORD dst_unused:UNUSED_PAD src0_sel:DWORD src1_sel:WORD_1
	s_waitcnt lgkmcnt(0)
	v_lshl_add_u64 v[36:37], v[36:37], 1, s[12:13]
	global_store_short v[36:37], v29, off
.LBB170_23:
	s_or_b64 exec, exec, s[4:5]
	v_add_u32_e32 v29, 64, v33
	v_cmp_gt_u32_e64 s[4:5], s14, v29
	s_and_saveexec_b64 s[6:7], s[4:5]
	s_cbranch_execz .LBB170_25
; %bb.24:
	v_bfe_u32 v35, v25, 16, 1
	s_movk_i32 s8, 0x7fff
	v_add3_u32 v35, v25, v35, s8
	v_cmp_o_f32_e32 vcc, v25, v25
	v_mov_b32_e32 v25, 0x7fc0
	v_add_u32_e32 v36, v29, v34
	v_mov_b32_e32 v37, 0
	v_cndmask_b32_sdwa v25, v25, v35, vcc dst_sel:DWORD dst_unused:UNUSED_PAD src0_sel:DWORD src1_sel:WORD_1
	s_waitcnt lgkmcnt(0)
	v_lshl_add_u64 v[36:37], v[36:37], 1, s[12:13]
	global_store_short v[36:37], v25, off
.LBB170_25:
	s_or_b64 exec, exec, s[6:7]
	v_add_u32_e32 v25, 0x60, v33
	v_cmp_gt_u32_e64 s[6:7], s14, v25
	s_and_saveexec_b64 s[8:9], s[6:7]
	s_cbranch_execz .LBB170_27
; %bb.26:
	v_bfe_u32 v35, v21, 16, 1
	s_movk_i32 s11, 0x7fff
	v_add3_u32 v35, v21, v35, s11
	v_cmp_o_f32_e32 vcc, v21, v21
	v_mov_b32_e32 v21, 0x7fc0
	v_add_u32_e32 v34, v25, v34
	v_cndmask_b32_sdwa v21, v21, v35, vcc dst_sel:DWORD dst_unused:UNUSED_PAD src0_sel:DWORD src1_sel:WORD_1
	v_mov_b32_e32 v35, 0
	s_waitcnt lgkmcnt(0)
	v_lshl_add_u64 v[34:35], v[34:35], 1, s[12:13]
	global_store_short v[34:35], v21, off
.LBB170_27:
	s_or_b64 exec, exec, s[8:9]
	v_add3_u32 v21, v32, s15, 8
	v_cmp_gt_u32_e32 vcc, s10, v21
	s_and_b64 exec, exec, vcc
	s_cbranch_execz .LBB170_17
; %bb.28:
	v_mul_lo_u32 v21, v21, s14
	s_and_saveexec_b64 s[8:9], s[0:1]
	s_cbranch_execnz .LBB170_68
; %bb.29:
	s_or_b64 exec, exec, s[8:9]
	s_and_saveexec_b64 s[8:9], s[2:3]
	s_cbranch_execnz .LBB170_69
.LBB170_30:
	s_or_b64 exec, exec, s[8:9]
	s_and_saveexec_b64 s[8:9], s[4:5]
	s_cbranch_execnz .LBB170_70
.LBB170_31:
	s_or_b64 exec, exec, s[8:9]
	s_and_saveexec_b64 s[8:9], s[6:7]
	s_cbranch_execz .LBB170_33
.LBB170_32:
	v_bfe_u32 v16, v20, 16, 1
	s_movk_i32 s11, 0x7fff
	v_add3_u32 v16, v20, v16, s11
	v_cmp_o_f32_e32 vcc, v20, v20
	v_mov_b32_e32 v20, 0x7fc0
	s_nop 0
	v_cndmask_b32_sdwa v16, v20, v16, vcc dst_sel:DWORD dst_unused:UNUSED_PAD src0_sel:DWORD src1_sel:WORD_1
	v_add_u32_e32 v20, v21, v25
	v_mov_b32_e32 v21, 0
	s_waitcnt lgkmcnt(0)
	v_lshl_add_u64 v[20:21], v[20:21], 1, s[12:13]
	global_store_short v[20:21], v16, off
.LBB170_33:
	s_or_b64 exec, exec, s[8:9]
	v_add3_u32 v16, v32, s15, 16
	v_cmp_gt_u32_e32 vcc, s10, v16
	s_and_b64 exec, exec, vcc
	s_cbranch_execz .LBB170_17
; %bb.34:
	v_mul_lo_u32 v16, v16, s14
	s_and_saveexec_b64 s[8:9], s[0:1]
	s_cbranch_execnz .LBB170_71
; %bb.35:
	s_or_b64 exec, exec, s[8:9]
	s_and_saveexec_b64 s[8:9], s[2:3]
	s_cbranch_execnz .LBB170_72
.LBB170_36:
	s_or_b64 exec, exec, s[8:9]
	s_and_saveexec_b64 s[8:9], s[4:5]
	s_cbranch_execnz .LBB170_73
.LBB170_37:
	s_or_b64 exec, exec, s[8:9]
	s_and_saveexec_b64 s[8:9], s[6:7]
	s_cbranch_execz .LBB170_39
.LBB170_38:
	v_bfe_u32 v19, v23, 16, 1
	s_movk_i32 s11, 0x7fff
	v_add3_u32 v19, v23, v19, s11
	v_cmp_o_f32_e32 vcc, v23, v23
	v_mov_b32_e32 v20, 0x7fc0
	v_mov_b32_e32 v21, 0
	v_cndmask_b32_sdwa v19, v20, v19, vcc dst_sel:DWORD dst_unused:UNUSED_PAD src0_sel:DWORD src1_sel:WORD_1
	v_add_u32_e32 v20, v16, v25
	s_waitcnt lgkmcnt(0)
	v_lshl_add_u64 v[20:21], v[20:21], 1, s[12:13]
	global_store_short v[20:21], v19, off
.LBB170_39:
	s_or_b64 exec, exec, s[8:9]
	v_add3_u32 v16, v32, s15, 24
	v_cmp_gt_u32_e32 vcc, s10, v16
	s_and_b64 exec, exec, vcc
	s_cbranch_execz .LBB170_17
; %bb.40:
	v_mul_lo_u32 v16, v16, s14
	s_and_saveexec_b64 s[8:9], s[0:1]
	s_cbranch_execnz .LBB170_74
; %bb.41:
	s_or_b64 exec, exec, s[8:9]
	s_and_saveexec_b64 s[8:9], s[2:3]
	s_cbranch_execnz .LBB170_75
.LBB170_42:
	s_or_b64 exec, exec, s[8:9]
	s_and_saveexec_b64 s[8:9], s[4:5]
	s_cbranch_execnz .LBB170_76
.LBB170_43:
	s_or_b64 exec, exec, s[8:9]
	s_and_saveexec_b64 s[8:9], s[6:7]
	s_cbranch_execz .LBB170_45
.LBB170_44:
	v_bfe_u32 v18, v22, 16, 1
	s_movk_i32 s11, 0x7fff
	v_add3_u32 v18, v22, v18, s11
	v_cmp_o_f32_e32 vcc, v22, v22
	v_mov_b32_e32 v19, 0x7fc0
	s_nop 0
	v_cndmask_b32_sdwa v20, v19, v18, vcc dst_sel:DWORD dst_unused:UNUSED_PAD src0_sel:DWORD src1_sel:WORD_1
	v_add_u32_e32 v18, v16, v25
	v_mov_b32_e32 v19, 0
	s_waitcnt lgkmcnt(0)
	v_lshl_add_u64 v[18:19], v[18:19], 1, s[12:13]
	global_store_short v[18:19], v20, off
.LBB170_45:
	s_or_b64 exec, exec, s[8:9]
	v_add3_u32 v16, v32, s15, 32
	v_cmp_gt_u32_e32 vcc, s10, v16
	s_and_b64 exec, exec, vcc
	s_cbranch_execz .LBB170_17
; %bb.46:
	v_mul_lo_u32 v16, v16, s14
	s_and_saveexec_b64 s[8:9], s[0:1]
	s_cbranch_execnz .LBB170_77
; %bb.47:
	s_or_b64 exec, exec, s[8:9]
	s_and_saveexec_b64 s[8:9], s[2:3]
	s_cbranch_execnz .LBB170_78
.LBB170_48:
	s_or_b64 exec, exec, s[8:9]
	s_and_saveexec_b64 s[8:9], s[4:5]
	s_cbranch_execnz .LBB170_79
.LBB170_49:
	s_or_b64 exec, exec, s[8:9]
	s_and_saveexec_b64 s[8:9], s[6:7]
	s_cbranch_execz .LBB170_51
.LBB170_50:
	v_bfe_u32 v5, v1, 16, 1
	s_movk_i32 s11, 0x7fff
	v_add3_u32 v5, v1, v5, s11
	v_cmp_o_f32_e32 vcc, v1, v1
	v_mov_b32_e32 v1, 0x7fc0
	v_add_u32_e32 v18, v16, v25
	v_mov_b32_e32 v19, 0
	v_cndmask_b32_sdwa v1, v1, v5, vcc dst_sel:DWORD dst_unused:UNUSED_PAD src0_sel:DWORD src1_sel:WORD_1
	s_waitcnt lgkmcnt(0)
	v_lshl_add_u64 v[18:19], v[18:19], 1, s[12:13]
	global_store_short v[18:19], v1, off
.LBB170_51:
	s_or_b64 exec, exec, s[8:9]
	v_add3_u32 v1, v32, s15, 40
	v_cmp_gt_u32_e32 vcc, s10, v1
	s_and_b64 exec, exec, vcc
	s_cbranch_execz .LBB170_17
; %bb.52:
	v_mul_lo_u32 v1, v1, s14
	s_and_saveexec_b64 s[8:9], s[0:1]
	s_cbranch_execnz .LBB170_80
; %bb.53:
	s_or_b64 exec, exec, s[8:9]
	s_and_saveexec_b64 s[8:9], s[2:3]
	s_cbranch_execnz .LBB170_81
.LBB170_54:
	s_or_b64 exec, exec, s[8:9]
	s_and_saveexec_b64 s[8:9], s[4:5]
	s_cbranch_execnz .LBB170_82
.LBB170_55:
	s_or_b64 exec, exec, s[8:9]
	s_and_saveexec_b64 s[8:9], s[6:7]
	s_cbranch_execz .LBB170_57
.LBB170_56:
	v_bfe_u32 v4, v0, 16, 1
	s_movk_i32 s11, 0x7fff
	v_add3_u32 v4, v0, v4, s11
	v_cmp_o_f32_e32 vcc, v0, v0
	v_mov_b32_e32 v0, 0x7fc0
	s_nop 0
	v_cndmask_b32_sdwa v4, v0, v4, vcc dst_sel:DWORD dst_unused:UNUSED_PAD src0_sel:DWORD src1_sel:WORD_1
	v_add_u32_e32 v0, v1, v25
	v_mov_b32_e32 v1, 0
	s_waitcnt lgkmcnt(0)
	v_lshl_add_u64 v[0:1], v[0:1], 1, s[12:13]
	global_store_short v[0:1], v4, off
.LBB170_57:
	s_or_b64 exec, exec, s[8:9]
	v_add3_u32 v0, v32, s15, 48
	v_cmp_gt_u32_e32 vcc, s10, v0
	s_and_b64 exec, exec, vcc
	s_cbranch_execz .LBB170_17
; %bb.58:
	v_mul_lo_u32 v0, v0, s14
	s_and_saveexec_b64 s[8:9], s[0:1]
	s_cbranch_execnz .LBB170_83
; %bb.59:
	s_or_b64 exec, exec, s[8:9]
	s_and_saveexec_b64 s[8:9], s[2:3]
	s_cbranch_execnz .LBB170_84
.LBB170_60:
	s_or_b64 exec, exec, s[8:9]
	s_and_saveexec_b64 s[8:9], s[4:5]
	s_cbranch_execnz .LBB170_85
.LBB170_61:
	s_or_b64 exec, exec, s[8:9]
	s_and_saveexec_b64 s[8:9], s[6:7]
	s_cbranch_execz .LBB170_63
.LBB170_62:
	v_bfe_u32 v1, v3, 16, 1
	s_movk_i32 s11, 0x7fff
	v_add3_u32 v1, v3, v1, s11
	v_cmp_o_f32_e32 vcc, v3, v3
	v_mov_b32_e32 v3, 0x7fc0
	v_add_u32_e32 v0, v0, v25
	v_cndmask_b32_sdwa v3, v3, v1, vcc dst_sel:DWORD dst_unused:UNUSED_PAD src0_sel:DWORD src1_sel:WORD_1
	v_mov_b32_e32 v1, 0
	s_waitcnt lgkmcnt(0)
	v_lshl_add_u64 v[0:1], v[0:1], 1, s[12:13]
	global_store_short v[0:1], v3, off
.LBB170_63:
	s_or_b64 exec, exec, s[8:9]
	v_add3_u32 v0, v32, s15, 56
	v_cmp_gt_u32_e32 vcc, s10, v0
	s_and_b64 exec, exec, vcc
	s_cbranch_execz .LBB170_17
; %bb.64:
	v_mul_lo_u32 v0, v0, s14
	s_and_saveexec_b64 s[8:9], s[0:1]
	s_cbranch_execnz .LBB170_86
; %bb.65:
	s_or_b64 exec, exec, s[8:9]
	s_and_saveexec_b64 s[0:1], s[2:3]
	s_cbranch_execnz .LBB170_87
.LBB170_66:
	s_or_b64 exec, exec, s[0:1]
	s_and_saveexec_b64 s[0:1], s[4:5]
	s_cbranch_execnz .LBB170_88
.LBB170_67:
	s_or_b64 exec, exec, s[0:1]
	s_and_b64 exec, exec, s[6:7]
	s_cbranch_execz .LBB170_17
	s_branch .LBB170_89
.LBB170_68:
	v_bfe_u32 v34, v16, 16, 1
	s_movk_i32 s11, 0x7fff
	v_add3_u32 v34, v16, v34, s11
	v_cmp_o_f32_e32 vcc, v16, v16
	v_mov_b32_e32 v16, 0x7fc0
	v_mov_b32_e32 v35, 0
	v_cndmask_b32_sdwa v16, v16, v34, vcc dst_sel:DWORD dst_unused:UNUSED_PAD src0_sel:DWORD src1_sel:WORD_1
	v_add_u32_e32 v34, v21, v33
	s_waitcnt lgkmcnt(0)
	v_lshl_add_u64 v[34:35], v[34:35], 1, s[12:13]
	global_store_short v[34:35], v16, off
	s_or_b64 exec, exec, s[8:9]
	s_and_saveexec_b64 s[8:9], s[2:3]
	s_cbranch_execz .LBB170_30
.LBB170_69:
	v_bfe_u32 v16, v28, 16, 1
	s_movk_i32 s11, 0x7fff
	v_add3_u32 v16, v28, v16, s11
	v_cmp_o_f32_e32 vcc, v28, v28
	v_mov_b32_e32 v28, 0x7fc0
	v_add_u32_e32 v34, v21, v17
	v_mov_b32_e32 v35, 0
	v_cndmask_b32_sdwa v16, v28, v16, vcc dst_sel:DWORD dst_unused:UNUSED_PAD src0_sel:DWORD src1_sel:WORD_1
	s_waitcnt lgkmcnt(0)
	v_lshl_add_u64 v[34:35], v[34:35], 1, s[12:13]
	global_store_short v[34:35], v16, off
	s_or_b64 exec, exec, s[8:9]
	s_and_saveexec_b64 s[8:9], s[4:5]
	s_cbranch_execz .LBB170_31
.LBB170_70:
	v_bfe_u32 v16, v24, 16, 1
	s_movk_i32 s11, 0x7fff
	v_add3_u32 v16, v24, v16, s11
	v_cmp_o_f32_e32 vcc, v24, v24
	v_mov_b32_e32 v24, 0x7fc0
	v_add_u32_e32 v34, v21, v29
	v_mov_b32_e32 v35, 0
	v_cndmask_b32_sdwa v16, v24, v16, vcc dst_sel:DWORD dst_unused:UNUSED_PAD src0_sel:DWORD src1_sel:WORD_1
	s_waitcnt lgkmcnt(0)
	v_lshl_add_u64 v[34:35], v[34:35], 1, s[12:13]
	global_store_short v[34:35], v16, off
	s_or_b64 exec, exec, s[8:9]
	s_and_saveexec_b64 s[8:9], s[6:7]
	s_cbranch_execnz .LBB170_32
	s_branch .LBB170_33
.LBB170_71:
	v_bfe_u32 v20, v19, 16, 1
	s_movk_i32 s11, 0x7fff
	v_add3_u32 v20, v19, v20, s11
	v_cmp_o_f32_e32 vcc, v19, v19
	v_mov_b32_e32 v19, 0x7fc0
	v_mov_b32_e32 v21, 0
	v_cndmask_b32_sdwa v19, v19, v20, vcc dst_sel:DWORD dst_unused:UNUSED_PAD src0_sel:DWORD src1_sel:WORD_1
	v_add_u32_e32 v20, v16, v33
	s_waitcnt lgkmcnt(0)
	v_lshl_add_u64 v[20:21], v[20:21], 1, s[12:13]
	global_store_short v[20:21], v19, off
	s_or_b64 exec, exec, s[8:9]
	s_and_saveexec_b64 s[8:9], s[2:3]
	s_cbranch_execz .LBB170_36
.LBB170_72:
	v_bfe_u32 v19, v31, 16, 1
	s_movk_i32 s11, 0x7fff
	v_add3_u32 v19, v31, v19, s11
	v_cmp_o_f32_e32 vcc, v31, v31
	v_mov_b32_e32 v20, 0x7fc0
	v_mov_b32_e32 v21, 0
	v_cndmask_b32_sdwa v19, v20, v19, vcc dst_sel:DWORD dst_unused:UNUSED_PAD src0_sel:DWORD src1_sel:WORD_1
	v_add_u32_e32 v20, v16, v17
	s_waitcnt lgkmcnt(0)
	v_lshl_add_u64 v[20:21], v[20:21], 1, s[12:13]
	global_store_short v[20:21], v19, off
	s_or_b64 exec, exec, s[8:9]
	s_and_saveexec_b64 s[8:9], s[4:5]
	s_cbranch_execz .LBB170_37
.LBB170_73:
	v_bfe_u32 v19, v27, 16, 1
	s_movk_i32 s11, 0x7fff
	v_add3_u32 v19, v27, v19, s11
	v_cmp_o_f32_e32 vcc, v27, v27
	v_mov_b32_e32 v20, 0x7fc0
	v_mov_b32_e32 v21, 0
	v_cndmask_b32_sdwa v19, v20, v19, vcc dst_sel:DWORD dst_unused:UNUSED_PAD src0_sel:DWORD src1_sel:WORD_1
	v_add_u32_e32 v20, v16, v29
	s_waitcnt lgkmcnt(0)
	v_lshl_add_u64 v[20:21], v[20:21], 1, s[12:13]
	global_store_short v[20:21], v19, off
	s_or_b64 exec, exec, s[8:9]
	s_and_saveexec_b64 s[8:9], s[6:7]
	s_cbranch_execnz .LBB170_38
	s_branch .LBB170_39
.LBB170_74:
	v_bfe_u32 v19, v18, 16, 1
	s_movk_i32 s11, 0x7fff
	v_add3_u32 v19, v18, v19, s11
	v_cmp_o_f32_e32 vcc, v18, v18
	v_mov_b32_e32 v18, 0x7fc0
	s_nop 0
	v_cndmask_b32_sdwa v20, v18, v19, vcc dst_sel:DWORD dst_unused:UNUSED_PAD src0_sel:DWORD src1_sel:WORD_1
	v_add_u32_e32 v18, v16, v33
	v_mov_b32_e32 v19, 0
	s_waitcnt lgkmcnt(0)
	v_lshl_add_u64 v[18:19], v[18:19], 1, s[12:13]
	global_store_short v[18:19], v20, off
	s_or_b64 exec, exec, s[8:9]
	s_and_saveexec_b64 s[8:9], s[2:3]
	s_cbranch_execz .LBB170_42
.LBB170_75:
	v_bfe_u32 v18, v30, 16, 1
	s_movk_i32 s11, 0x7fff
	v_add3_u32 v18, v30, v18, s11
	v_cmp_o_f32_e32 vcc, v30, v30
	v_mov_b32_e32 v19, 0x7fc0
	s_nop 0
	v_cndmask_b32_sdwa v20, v19, v18, vcc dst_sel:DWORD dst_unused:UNUSED_PAD src0_sel:DWORD src1_sel:WORD_1
	v_add_u32_e32 v18, v16, v17
	v_mov_b32_e32 v19, 0
	s_waitcnt lgkmcnt(0)
	v_lshl_add_u64 v[18:19], v[18:19], 1, s[12:13]
	global_store_short v[18:19], v20, off
	s_or_b64 exec, exec, s[8:9]
	s_and_saveexec_b64 s[8:9], s[4:5]
	s_cbranch_execz .LBB170_43
.LBB170_76:
	v_bfe_u32 v18, v26, 16, 1
	s_movk_i32 s11, 0x7fff
	v_add3_u32 v18, v26, v18, s11
	v_cmp_o_f32_e32 vcc, v26, v26
	v_mov_b32_e32 v19, 0x7fc0
	s_nop 0
	v_cndmask_b32_sdwa v20, v19, v18, vcc dst_sel:DWORD dst_unused:UNUSED_PAD src0_sel:DWORD src1_sel:WORD_1
	v_add_u32_e32 v18, v16, v29
	v_mov_b32_e32 v19, 0
	s_waitcnt lgkmcnt(0)
	v_lshl_add_u64 v[18:19], v[18:19], 1, s[12:13]
	global_store_short v[18:19], v20, off
	s_or_b64 exec, exec, s[8:9]
	s_and_saveexec_b64 s[8:9], s[6:7]
	s_cbranch_execnz .LBB170_44
	s_branch .LBB170_45
.LBB170_77:
	v_bfe_u32 v18, v13, 16, 1
	s_movk_i32 s11, 0x7fff
	v_add3_u32 v18, v13, v18, s11
	v_cmp_o_f32_e32 vcc, v13, v13
	v_mov_b32_e32 v13, 0x7fc0
	v_mov_b32_e32 v19, 0
	v_cndmask_b32_sdwa v13, v13, v18, vcc dst_sel:DWORD dst_unused:UNUSED_PAD src0_sel:DWORD src1_sel:WORD_1
	v_add_u32_e32 v18, v16, v33
	s_waitcnt lgkmcnt(0)
	v_lshl_add_u64 v[18:19], v[18:19], 1, s[12:13]
	global_store_short v[18:19], v13, off
	s_or_b64 exec, exec, s[8:9]
	s_and_saveexec_b64 s[8:9], s[2:3]
	s_cbranch_execz .LBB170_48
.LBB170_78:
	v_bfe_u32 v13, v9, 16, 1
	s_movk_i32 s11, 0x7fff
	v_add3_u32 v13, v9, v13, s11
	v_cmp_o_f32_e32 vcc, v9, v9
	v_mov_b32_e32 v9, 0x7fc0
	v_add_u32_e32 v18, v16, v17
	v_mov_b32_e32 v19, 0
	v_cndmask_b32_sdwa v9, v9, v13, vcc dst_sel:DWORD dst_unused:UNUSED_PAD src0_sel:DWORD src1_sel:WORD_1
	s_waitcnt lgkmcnt(0)
	v_lshl_add_u64 v[18:19], v[18:19], 1, s[12:13]
	global_store_short v[18:19], v9, off
	s_or_b64 exec, exec, s[8:9]
	s_and_saveexec_b64 s[8:9], s[4:5]
	s_cbranch_execz .LBB170_49
.LBB170_79:
	v_bfe_u32 v9, v5, 16, 1
	s_movk_i32 s11, 0x7fff
	v_add3_u32 v9, v5, v9, s11
	v_cmp_o_f32_e32 vcc, v5, v5
	v_mov_b32_e32 v5, 0x7fc0
	v_add_u32_e32 v18, v16, v29
	v_mov_b32_e32 v19, 0
	v_cndmask_b32_sdwa v5, v5, v9, vcc dst_sel:DWORD dst_unused:UNUSED_PAD src0_sel:DWORD src1_sel:WORD_1
	s_waitcnt lgkmcnt(0)
	v_lshl_add_u64 v[18:19], v[18:19], 1, s[12:13]
	global_store_short v[18:19], v5, off
	s_or_b64 exec, exec, s[8:9]
	s_and_saveexec_b64 s[8:9], s[6:7]
	s_cbranch_execnz .LBB170_50
	s_branch .LBB170_51
.LBB170_80:
	v_bfe_u32 v5, v12, 16, 1
	s_movk_i32 s11, 0x7fff
	v_add3_u32 v5, v12, v5, s11
	v_cmp_o_f32_e32 vcc, v12, v12
	v_mov_b32_e32 v9, 0x7fc0
	v_add_u32_e32 v12, v1, v33
	v_mov_b32_e32 v13, 0
	v_cndmask_b32_sdwa v5, v9, v5, vcc dst_sel:DWORD dst_unused:UNUSED_PAD src0_sel:DWORD src1_sel:WORD_1
	s_waitcnt lgkmcnt(0)
	v_lshl_add_u64 v[12:13], v[12:13], 1, s[12:13]
	global_store_short v[12:13], v5, off
	s_or_b64 exec, exec, s[8:9]
	s_and_saveexec_b64 s[8:9], s[2:3]
	s_cbranch_execz .LBB170_54
.LBB170_81:
	v_bfe_u32 v5, v8, 16, 1
	s_movk_i32 s11, 0x7fff
	v_add3_u32 v5, v8, v5, s11
	v_cmp_o_f32_e32 vcc, v8, v8
	v_mov_b32_e32 v8, 0x7fc0
	v_mov_b32_e32 v9, 0
	v_cndmask_b32_sdwa v5, v8, v5, vcc dst_sel:DWORD dst_unused:UNUSED_PAD src0_sel:DWORD src1_sel:WORD_1
	v_add_u32_e32 v8, v1, v17
	s_waitcnt lgkmcnt(0)
	v_lshl_add_u64 v[8:9], v[8:9], 1, s[12:13]
	global_store_short v[8:9], v5, off
	s_or_b64 exec, exec, s[8:9]
	s_and_saveexec_b64 s[8:9], s[4:5]
	s_cbranch_execz .LBB170_55
.LBB170_82:
	v_bfe_u32 v5, v4, 16, 1
	s_movk_i32 s11, 0x7fff
	v_add3_u32 v5, v4, v5, s11
	v_cmp_o_f32_e32 vcc, v4, v4
	v_mov_b32_e32 v4, 0x7fc0
	s_nop 0
	v_cndmask_b32_sdwa v8, v4, v5, vcc dst_sel:DWORD dst_unused:UNUSED_PAD src0_sel:DWORD src1_sel:WORD_1
	v_add_u32_e32 v4, v1, v29
	v_mov_b32_e32 v5, 0
	s_waitcnt lgkmcnt(0)
	v_lshl_add_u64 v[4:5], v[4:5], 1, s[12:13]
	global_store_short v[4:5], v8, off
	s_or_b64 exec, exec, s[8:9]
	s_and_saveexec_b64 s[8:9], s[6:7]
	s_cbranch_execnz .LBB170_56
	s_branch .LBB170_57
.LBB170_83:
	v_bfe_u32 v1, v15, 16, 1
	s_movk_i32 s11, 0x7fff
	v_add3_u32 v1, v15, v1, s11
	v_cmp_o_f32_e32 vcc, v15, v15
	v_mov_b32_e32 v4, 0x7fc0
	v_mov_b32_e32 v5, 0
	v_cndmask_b32_sdwa v1, v4, v1, vcc dst_sel:DWORD dst_unused:UNUSED_PAD src0_sel:DWORD src1_sel:WORD_1
	v_add_u32_e32 v4, v0, v33
	s_waitcnt lgkmcnt(0)
	v_lshl_add_u64 v[4:5], v[4:5], 1, s[12:13]
	global_store_short v[4:5], v1, off
	s_or_b64 exec, exec, s[8:9]
	s_and_saveexec_b64 s[8:9], s[2:3]
	s_cbranch_execz .LBB170_60
.LBB170_84:
	v_bfe_u32 v1, v11, 16, 1
	s_movk_i32 s11, 0x7fff
	v_add3_u32 v1, v11, v1, s11
	v_cmp_o_f32_e32 vcc, v11, v11
	v_mov_b32_e32 v4, 0x7fc0
	v_mov_b32_e32 v5, 0
	v_cndmask_b32_sdwa v1, v4, v1, vcc dst_sel:DWORD dst_unused:UNUSED_PAD src0_sel:DWORD src1_sel:WORD_1
	v_add_u32_e32 v4, v0, v17
	s_waitcnt lgkmcnt(0)
	v_lshl_add_u64 v[4:5], v[4:5], 1, s[12:13]
	global_store_short v[4:5], v1, off
	s_or_b64 exec, exec, s[8:9]
	s_and_saveexec_b64 s[8:9], s[4:5]
	s_cbranch_execz .LBB170_61
.LBB170_85:
	v_bfe_u32 v1, v7, 16, 1
	s_movk_i32 s11, 0x7fff
	v_add3_u32 v1, v7, v1, s11
	v_cmp_o_f32_e32 vcc, v7, v7
	v_mov_b32_e32 v4, 0x7fc0
	v_mov_b32_e32 v5, 0
	v_cndmask_b32_sdwa v1, v4, v1, vcc dst_sel:DWORD dst_unused:UNUSED_PAD src0_sel:DWORD src1_sel:WORD_1
	v_add_u32_e32 v4, v0, v29
	s_waitcnt lgkmcnt(0)
	v_lshl_add_u64 v[4:5], v[4:5], 1, s[12:13]
	global_store_short v[4:5], v1, off
	s_or_b64 exec, exec, s[8:9]
	s_and_saveexec_b64 s[8:9], s[6:7]
	s_cbranch_execnz .LBB170_62
	s_branch .LBB170_63
.LBB170_86:
	v_bfe_u32 v1, v14, 16, 1
	s_movk_i32 s0, 0x7fff
	v_add3_u32 v1, v14, v1, s0
	v_cmp_o_f32_e32 vcc, v14, v14
	v_mov_b32_e32 v3, 0x7fc0
	v_add_u32_e32 v4, v0, v33
	v_mov_b32_e32 v5, 0
	v_cndmask_b32_sdwa v1, v3, v1, vcc dst_sel:DWORD dst_unused:UNUSED_PAD src0_sel:DWORD src1_sel:WORD_1
	s_waitcnt lgkmcnt(0)
	v_lshl_add_u64 v[4:5], v[4:5], 1, s[12:13]
	global_store_short v[4:5], v1, off
	s_or_b64 exec, exec, s[8:9]
	s_and_saveexec_b64 s[0:1], s[2:3]
	s_cbranch_execz .LBB170_66
.LBB170_87:
	v_bfe_u32 v1, v10, 16, 1
	s_movk_i32 s2, 0x7fff
	v_add3_u32 v1, v10, v1, s2
	v_cmp_o_f32_e32 vcc, v10, v10
	v_mov_b32_e32 v3, 0x7fc0
	v_add_u32_e32 v4, v0, v17
	v_mov_b32_e32 v5, 0
	v_cndmask_b32_sdwa v1, v3, v1, vcc dst_sel:DWORD dst_unused:UNUSED_PAD src0_sel:DWORD src1_sel:WORD_1
	s_waitcnt lgkmcnt(0)
	v_lshl_add_u64 v[4:5], v[4:5], 1, s[12:13]
	global_store_short v[4:5], v1, off
	s_or_b64 exec, exec, s[0:1]
	s_and_saveexec_b64 s[0:1], s[4:5]
	s_cbranch_execz .LBB170_67
.LBB170_88:
	v_bfe_u32 v1, v6, 16, 1
	s_movk_i32 s2, 0x7fff
	v_add3_u32 v1, v6, v1, s2
	v_cmp_o_f32_e32 vcc, v6, v6
	v_mov_b32_e32 v3, 0x7fc0
	v_add_u32_e32 v4, v0, v29
	v_mov_b32_e32 v5, 0
	v_cndmask_b32_sdwa v1, v3, v1, vcc dst_sel:DWORD dst_unused:UNUSED_PAD src0_sel:DWORD src1_sel:WORD_1
	s_waitcnt lgkmcnt(0)
	v_lshl_add_u64 v[4:5], v[4:5], 1, s[12:13]
	global_store_short v[4:5], v1, off
	s_or_b64 exec, exec, s[0:1]
	s_and_b64 exec, exec, s[6:7]
	s_cbranch_execz .LBB170_17
.LBB170_89:
	v_bfe_u32 v1, v2, 16, 1
	s_movk_i32 s0, 0x7fff
	v_add3_u32 v1, v2, v1, s0
	v_cmp_o_f32_e32 vcc, v2, v2
	v_mov_b32_e32 v2, 0x7fc0
	v_add_u32_e32 v0, v0, v25
	v_cndmask_b32_sdwa v2, v2, v1, vcc dst_sel:DWORD dst_unused:UNUSED_PAD src0_sel:DWORD src1_sel:WORD_1
	v_mov_b32_e32 v1, 0
	s_waitcnt lgkmcnt(0)
	v_lshl_add_u64 v[0:1], v[0:1], 1, s[12:13]
	global_store_short v[0:1], v2, off
	s_endpgm
	.section	.rodata,"a",@progbits
	.p2align	6, 0x0
	.amdhsa_kernel _ZL12mul_mat_q3_KIN3c108BFloat16ELb1EEvPKvS3_PT_iiiii
		.amdhsa_group_segment_fixed_size 39840
		.amdhsa_private_segment_fixed_size 0
		.amdhsa_kernarg_size 44
		.amdhsa_user_sgpr_count 2
		.amdhsa_user_sgpr_dispatch_ptr 0
		.amdhsa_user_sgpr_queue_ptr 0
		.amdhsa_user_sgpr_kernarg_segment_ptr 1
		.amdhsa_user_sgpr_dispatch_id 0
		.amdhsa_user_sgpr_kernarg_preload_length 0
		.amdhsa_user_sgpr_kernarg_preload_offset 0
		.amdhsa_user_sgpr_private_segment_size 0
		.amdhsa_uses_dynamic_stack 0
		.amdhsa_enable_private_segment 0
		.amdhsa_system_sgpr_workgroup_id_x 1
		.amdhsa_system_sgpr_workgroup_id_y 1
		.amdhsa_system_sgpr_workgroup_id_z 0
		.amdhsa_system_sgpr_workgroup_info 0
		.amdhsa_system_vgpr_workitem_id 1
		.amdhsa_next_free_vgpr 250
		.amdhsa_next_free_sgpr 96
		.amdhsa_accum_offset 252
		.amdhsa_reserve_vcc 1
		.amdhsa_float_round_mode_32 0
		.amdhsa_float_round_mode_16_64 0
		.amdhsa_float_denorm_mode_32 3
		.amdhsa_float_denorm_mode_16_64 3
		.amdhsa_dx10_clamp 1
		.amdhsa_ieee_mode 1
		.amdhsa_fp16_overflow 0
		.amdhsa_tg_split 0
		.amdhsa_exception_fp_ieee_invalid_op 0
		.amdhsa_exception_fp_denorm_src 0
		.amdhsa_exception_fp_ieee_div_zero 0
		.amdhsa_exception_fp_ieee_overflow 0
		.amdhsa_exception_fp_ieee_underflow 0
		.amdhsa_exception_fp_ieee_inexact 0
		.amdhsa_exception_int_div_zero 0
	.end_amdhsa_kernel
	.section	.text._ZL12mul_mat_q3_KIN3c108BFloat16ELb1EEvPKvS3_PT_iiiii,"axG",@progbits,_ZL12mul_mat_q3_KIN3c108BFloat16ELb1EEvPKvS3_PT_iiiii,comdat
.Lfunc_end170:
	.size	_ZL12mul_mat_q3_KIN3c108BFloat16ELb1EEvPKvS3_PT_iiiii, .Lfunc_end170-_ZL12mul_mat_q3_KIN3c108BFloat16ELb1EEvPKvS3_PT_iiiii
                                        ; -- End function
	.set _ZL12mul_mat_q3_KIN3c108BFloat16ELb1EEvPKvS3_PT_iiiii.num_vgpr, 250
	.set _ZL12mul_mat_q3_KIN3c108BFloat16ELb1EEvPKvS3_PT_iiiii.num_agpr, 0
	.set _ZL12mul_mat_q3_KIN3c108BFloat16ELb1EEvPKvS3_PT_iiiii.numbered_sgpr, 26
	.set _ZL12mul_mat_q3_KIN3c108BFloat16ELb1EEvPKvS3_PT_iiiii.num_named_barrier, 0
	.set _ZL12mul_mat_q3_KIN3c108BFloat16ELb1EEvPKvS3_PT_iiiii.private_seg_size, 0
	.set _ZL12mul_mat_q3_KIN3c108BFloat16ELb1EEvPKvS3_PT_iiiii.uses_vcc, 1
	.set _ZL12mul_mat_q3_KIN3c108BFloat16ELb1EEvPKvS3_PT_iiiii.uses_flat_scratch, 0
	.set _ZL12mul_mat_q3_KIN3c108BFloat16ELb1EEvPKvS3_PT_iiiii.has_dyn_sized_stack, 0
	.set _ZL12mul_mat_q3_KIN3c108BFloat16ELb1EEvPKvS3_PT_iiiii.has_recursion, 0
	.set _ZL12mul_mat_q3_KIN3c108BFloat16ELb1EEvPKvS3_PT_iiiii.has_indirect_call, 0
	.section	.AMDGPU.csdata,"",@progbits
; Kernel info:
; codeLenInByte = 32856
; TotalNumSgprs: 32
; NumVgprs: 250
; NumAgprs: 0
; TotalNumVgprs: 250
; ScratchSize: 0
; MemoryBound: 0
; FloatMode: 240
; IeeeMode: 1
; LDSByteSize: 39840 bytes/workgroup (compile time only)
; SGPRBlocks: 12
; VGPRBlocks: 31
; NumSGPRsForWavesPerEU: 102
; NumVGPRsForWavesPerEU: 250
; AccumOffset: 252
; Occupancy: 2
; WaveLimiterHint : 0
; COMPUTE_PGM_RSRC2:SCRATCH_EN: 0
; COMPUTE_PGM_RSRC2:USER_SGPR: 2
; COMPUTE_PGM_RSRC2:TRAP_HANDLER: 0
; COMPUTE_PGM_RSRC2:TGID_X_EN: 1
; COMPUTE_PGM_RSRC2:TGID_Y_EN: 1
; COMPUTE_PGM_RSRC2:TGID_Z_EN: 0
; COMPUTE_PGM_RSRC2:TIDIG_COMP_CNT: 1
; COMPUTE_PGM_RSRC3_GFX90A:ACCUM_OFFSET: 62
; COMPUTE_PGM_RSRC3_GFX90A:TG_SPLIT: 0
	.section	.text._ZL12mul_mat_q4_KIN3c108BFloat16ELb0EEvPKvS3_PT_iiiii,"axG",@progbits,_ZL12mul_mat_q4_KIN3c108BFloat16ELb0EEvPKvS3_PT_iiiii,comdat
	.globl	_ZL12mul_mat_q4_KIN3c108BFloat16ELb0EEvPKvS3_PT_iiiii ; -- Begin function _ZL12mul_mat_q4_KIN3c108BFloat16ELb0EEvPKvS3_PT_iiiii
	.p2align	8
	.type	_ZL12mul_mat_q4_KIN3c108BFloat16ELb0EEvPKvS3_PT_iiiii,@function
_ZL12mul_mat_q4_KIN3c108BFloat16ELb0EEvPKvS3_PT_iiiii: ; @_ZL12mul_mat_q4_KIN3c108BFloat16ELb0EEvPKvS3_PT_iiiii
; %bb.0:
	s_load_dword s7, s[0:1], 0x18
	s_load_dwordx4 s[8:11], s[0:1], 0x20
	s_waitcnt lgkmcnt(0)
	s_lshl_b32 s11, s3, 6
	v_bfe_u32 v53, v0, 10, 10
	s_cmpk_gt_i32 s7, 0xff
	s_cbranch_scc1 .LBB171_2
; %bb.1:
	v_bfe_u32 v1, v0, 10, 10
	v_and_b32_e32 v45, 0x3ff, v0
	v_add_u32_e32 v55, s11, v1
	s_mov_b64 s[4:5], 0
	s_branch .LBB171_3
.LBB171_2:
	s_mov_b64 s[4:5], -1
                                        ; implicit-def: $vgpr1
                                        ; implicit-def: $vgpr45
                                        ; implicit-def: $vgpr55
.LBB171_3:
	s_load_dwordx2 s[12:13], s[0:1], 0x10
	s_lshl_b32 s6, s2, 7
	v_mov_b32_e32 v17, 0
	s_andn2_b64 vcc, exec, s[4:5]
	v_mov_b32_e32 v16, 0
	v_mov_b32_e32 v25, 0
	;; [unrolled: 1-line block ×31, first 2 shown]
	s_cbranch_vccnz .LBB171_11
; %bb.4:
	s_ashr_i32 s4, s7, 31
	s_load_dwordx4 s[0:3], s[0:1], 0x0
	s_lshr_b32 s4, s4, 24
	s_add_i32 s7, s7, s4
	s_ashr_i32 s5, s9, 31
	s_ashr_i32 s4, s7, 8
	s_lshr_b32 s5, s5, 27
	s_add_i32 s5, s9, s5
	s_mul_i32 s7, s4, s6
	s_ashr_i32 s15, s5, 5
	s_mul_hi_i32 s9, s7, 0x90
	s_mulk_i32 s7, 0x90
	s_waitcnt lgkmcnt(0)
	s_add_u32 s7, s0, s7
	s_addc_u32 s9, s1, s9
	s_lshl_b32 s0, s4, 3
	v_and_b32_e32 v45, 0x3ff, v0
	v_mov_b32_e32 v1, s0
	v_lshlrev_b32_e32 v71, 5, v53
	v_mad_i32_i24 v52, s4, v53, v1
	v_add_u32_e32 v1, v71, v45
	v_and_b32_e32 v2, 0x7f, v1
	v_lshrrev_b32_e32 v1, 3, v1
	v_mul_i32_i24_e32 v54, s4, v2
	v_and_b32_e32 v1, 12, v1
	v_lshlrev_b32_e32 v2, 2, v2
	s_movk_i32 s18, 0x6e40
	v_add3_u32 v73, v2, v1, s18
	v_and_b32_e32 v2, 3, v0
	v_add_u32_e32 v4, 0xfe, v2
	v_lshlrev_b32_e32 v1, 3, v53
	v_bfe_u32 v8, v0, 2, 8
	v_and_b32_e32 v4, 0xff, v4
	v_cmp_gt_u32_e32 vcc, 2, v2
	v_add_u32_e32 v17, v8, v1
	v_add_u16_e32 v1, v8, v1
	v_cndmask_b32_e32 v9, v4, v2, vcc
	v_cmp_ne_u32_e32 vcc, 0, v2
	v_lshlrev_b32_e32 v77, 1, v9
	v_lshlrev_b32_e32 v18, 2, v2
	v_addc_co_u32_e32 v4, vcc, 0, v9, vcc
	v_and_b32_e32 v9, 0x7f, v17
	v_lshrrev_b16_e32 v1, 1, v1
	v_mul_i32_i24_e32 v56, s4, v9
	v_lshl_or_b32 v9, v9, 4, v18
	v_and_b32_e32 v1, 60, v1
	s_movk_i32 s16, 0x6200
	v_add3_u32 v79, v9, v1, s16
	v_mov_b32_e32 v1, 0x7f
	v_bitop3_b32 v1, v17, 64, v1 bitop3:0x6c
	v_mul_i32_i24_e32 v58, s4, v1
	v_lshl_or_b32 v8, v1, 4, v18
	v_lshrrev_b32_e32 v1, 1, v1
	v_and_b32_e32 v1, 60, v1
	v_add3_u32 v81, v8, v1, s16
	v_and_b32_e32 v1, 31, v0
	v_mov_b32_e32 v19, 0x4200
	v_lshl_or_b32 v19, v1, 2, v19
	v_and_b32_e32 v1, 63, v17
	s_add_i32 s16, s8, -1
	v_or_b32_e32 v17, s11, v1
	v_lshlrev_b32_e32 v3, 2, v45
	v_min_i32_e32 v17, s16, v17
	v_add_u32_e32 v55, s11, v53
	v_cvt_f64_i32_e32 v[8:9], s16
	v_mad_u64_u32 v[60:61], s[16:17], v17, s15, v[2:3]
	v_lshl_or_b32 v1, v1, 4, v18
	v_bfe_u32 v44, v0, 5, 5
	v_add_u32_e32 v61, 0x6a40, v1
	v_bfe_u32 v83, v0, 3, 7
	v_cvt_f64_u32_e32 v[0:1], v55
	v_min_f64 v[0:1], v[0:1], v[8:9]
	v_cvt_i32_f64_e32 v0, v[0:1]
	v_mul_lo_u32 v85, s15, v0
	v_add_u32_e32 v0, 8, v55
	v_cvt_f64_u32_e32 v[0:1], v0
	v_min_f64 v[0:1], v[0:1], v[8:9]
	v_cvt_i32_f64_e32 v0, v[0:1]
	v_mul_lo_u32 v87, s15, v0
	v_add_u32_e32 v0, 16, v55
	;; [unrolled: 5-line block ×7, first 2 shown]
	v_add_u32_e32 v70, s0, v52
	v_cvt_f64_u32_e32 v[0:1], v0
	v_add_u32_e32 v72, s0, v70
	v_min_f64 v[0:1], v[0:1], v[8:9]
	v_add_u32_e32 v74, s0, v72
	v_cvt_i32_f64_e32 v0, v[0:1]
	v_lshlrev_b32_e32 v1, 2, v44
	v_add_u32_e32 v76, s0, v74
	v_add3_u32 v117, v1, v3, s18
	v_add_u32_e32 v1, 32, v45
	v_add_u32_e32 v78, s0, v76
	v_lshrrev_b32_e32 v119, 3, v1
	v_add_u32_e32 v80, s0, v78
	v_lshlrev_b32_e32 v8, 2, v1
	v_and_b32_e32 v1, 60, v119
	v_add_u32_e32 v82, s0, v80
	v_add3_u32 v121, v3, v1, s18
	v_add_u32_e32 v1, 64, v45
	v_add_u32_e32 v84, s0, v82
	;; [unrolled: 1-line block ×3, first 2 shown]
	v_lshlrev_b32_e32 v9, 2, v1
	v_lshrrev_b32_e32 v1, 3, v1
	v_add_u32_e32 v86, s0, v84
	s_movk_i32 s1, 0x84
	v_lshlrev_b32_e32 v17, 7, v5
	v_and_b32_e32 v24, 60, v1
	v_lshlrev_b32_e32 v127, 5, v5
	v_mov_b32_e32 v5, 0x1080
	v_add_u32_e32 v88, s0, v86
	v_add3_u32 v123, v3, v24, s18
	v_add_u32_e32 v24, 0x60, v45
	v_mad_u32_u24 v144, v45, s1, v5
	v_mov_b32_e32 v5, 0x2100
	v_add_u32_e32 v90, s0, v88
	v_mov_b32_e32 v47, 0
	v_add_u32_e32 v7, 16, v53
	v_add_u32_e32 v12, 24, v53
	;; [unrolled: 1-line block ×6, first 2 shown]
	v_and_b32_e32 v6, 4, v3
	v_cmp_lt_u32_e32 vcc, 1, v2
	v_lshlrev_b32_e32 v25, 2, v24
	v_lshrrev_b32_e32 v24, 3, v24
	v_mad_u32_u24 v145, v45, s1, v5
	v_mov_b32_e32 v5, 0x3180
	v_add_u32_e32 v92, s0, v90
	v_mad_u32_u24 v57, v53, s1, v3
	v_cndmask_b32_e32 v75, 0, v6, vcc
	v_cndmask_b32_e64 v6, 0, 1, vcc
	v_and_b32_e32 v10, 28, v3
	v_mov_b32_e32 v11, v47
	v_lshlrev_b32_e32 v2, 7, v53
	v_lshlrev_b32_e32 v18, 7, v7
	;; [unrolled: 1-line block ×6, first 2 shown]
	v_mul_lo_u32 v115, s15, v0
	v_lshlrev_b32_e32 v0, 7, v16
	v_and_b32_e32 v26, 60, v24
	v_mad_u32_u24 v146, v45, s1, v5
	v_mov_b32_e32 v5, 0x6a40
	v_mov_b32_e32 v48, v47
	;; [unrolled: 1-line block ×3, first 2 shown]
	v_add_u32_e32 v94, s0, v92
	s_movk_i32 s5, 0x90
	s_mov_b32 s14, 0
	v_and_b32_e32 v46, 0x7c, v3
	v_add_u32_e32 v59, 0x39c0, v57
	v_add_u32_e32 v69, 0x3de0, v57
	v_add3_u32 v125, v3, v26, s18
	v_lshlrev_b32_e32 v129, 5, v7
	v_lshlrev_b32_e32 v138, 5, v12
	;; [unrolled: 1-line block ×6, first 2 shown]
	v_mul_u32_u24_e32 v143, 0x84, v45
	v_lshl_add_u64 v[62:63], s[2:3], 0, v[10:11]
	v_mad_u32_u24 v147, v45, s1, 64
	v_lshl_add_u32 v148, v53, 4, v5
	v_add_u32_e32 v149, 0x4200, v2
	v_lshlrev_b32_e32 v150, 4, v45
	v_lshlrev_b32_e32 v151, 2, v24
	;; [unrolled: 1-line block ×4, first 2 shown]
	v_add_u32_e32 v154, v19, v2
	v_add_u32_e32 v155, v19, v17
	;; [unrolled: 1-line block ×8, first 2 shown]
	v_lshlrev_b32_e32 v64, 2, v4
	v_mov_b32_e32 v65, v47
	v_lshlrev_b32_e32 v66, 2, v6
	v_mov_b32_e32 v67, v47
	s_mov_b32 s15, 0x30303030
	v_lshlrev_b32_e32 v162, 2, v3
	v_lshlrev_b32_e32 v163, 2, v8
	;; [unrolled: 1-line block ×5, first 2 shown]
	v_mul_i32_i24_e32 v68, s4, v53
	v_add_u32_e32 v96, s0, v94
	v_mov_b64_e32 v[38:39], v[48:49]
	v_mov_b64_e32 v[30:31], v[48:49]
	;; [unrolled: 1-line block ×15, first 2 shown]
.LBB171_5:                              ; =>This Loop Header: Depth=1
                                        ;     Child Loop BB171_6 Depth 2
                                        ;     Child Loop BB171_8 Depth 2
	s_mul_i32 s0, s14, 0x90
	s_mul_hi_u32 s1, s14, 0x90
	s_add_u32 s0, s7, s0
	s_addc_u32 s1, s9, s1
	v_mov_b64_e32 v[0:1], s[0:1]
	v_mad_u64_u32 v[2:3], s[0:1], v44, s5, v[0:1]
	v_mad_u64_u32 v[4:5], s[0:1], v68, s5, v[2:3]
	;; [unrolled: 1-line block ×3, first 2 shown]
	v_lshl_add_u64 v[4:5], v[4:5], 0, v[46:47]
	v_mad_u64_u32 v[6:7], s[0:1], v52, s5, v[2:3]
	v_mad_u64_u32 v[8:9], s[0:1], v70, s5, v[2:3]
	;; [unrolled: 1-line block ×6, first 2 shown]
	v_lshl_add_u64 v[100:101], v[100:101], 0, v[46:47]
	v_lshl_add_u64 v[6:7], v[6:7], 0, v[46:47]
	v_lshl_add_u64 v[8:9], v[8:9], 0, v[46:47]
	v_lshl_add_u64 v[10:11], v[10:11], 0, v[46:47]
	v_lshl_add_u64 v[12:13], v[12:13], 0, v[46:47]
	v_lshl_add_u64 v[14:15], v[14:15], 0, v[46:47]
	v_lshl_add_u64 v[98:99], v[98:99], 0, v[46:47]
	global_load_dword v102, v[4:5], off offset:16
	global_load_dword v103, v[6:7], off offset:16
	;; [unrolled: 1-line block ×7, first 2 shown]
	s_nop 0
	global_load_dword v100, v[100:101], off offset:16
	v_mad_u64_u32 v[4:5], s[0:1], v82, s5, v[2:3]
	v_mad_u64_u32 v[98:99], s[0:1], v94, s5, v[2:3]
	v_lshl_add_u64 v[4:5], v[4:5], 0, v[46:47]
	v_mad_u64_u32 v[6:7], s[0:1], v84, s5, v[2:3]
	v_mad_u64_u32 v[8:9], s[0:1], v86, s5, v[2:3]
	;; [unrolled: 1-line block ×5, first 2 shown]
	v_lshl_add_u64 v[98:99], v[98:99], 0, v[46:47]
	v_mad_u64_u32 v[2:3], s[0:1], v96, s5, v[2:3]
	v_lshl_add_u64 v[6:7], v[6:7], 0, v[46:47]
	v_lshl_add_u64 v[8:9], v[8:9], 0, v[46:47]
	;; [unrolled: 1-line block ×6, first 2 shown]
	global_load_dword v101, v[4:5], off offset:16
	global_load_dword v109, v[6:7], off offset:16
	;; [unrolled: 1-line block ×6, first 2 shown]
	s_nop 0
	global_load_dword v98, v[98:99], off offset:16
	s_nop 0
	global_load_dword v99, v[2:3], off offset:16
	v_mad_u64_u32 v[2:3], s[0:1], v54, s5, v[0:1]
	v_mad_u64_u32 v[4:5], s[0:1], v56, s5, v[0:1]
	;; [unrolled: 1-line block ×3, first 2 shown]
	s_lshl_b32 s16, s14, 3
	v_lshl_add_u64 v[6:7], v[4:5], 0, v[64:65]
	v_lshl_add_u64 v[4:5], v[4:5], 0, v[66:67]
	;; [unrolled: 1-line block ×4, first 2 shown]
	global_load_dword v114, v[2:3], off
	global_load_dword v116, v[6:7], off offset:4
	global_load_dword v118, v[4:5], off offset:4
	;; [unrolled: 1-line block ×4, first 2 shown]
	v_add_u32_e32 v14, s16, v83
	v_add_u32_e32 v0, v14, v85
	;; [unrolled: 1-line block ×6, first 2 shown]
	v_mad_i64_i32 v[0:1], s[0:1], v0, 36, v[62:63]
	v_mad_i64_i32 v[2:3], s[0:1], v2, 36, v[62:63]
	;; [unrolled: 1-line block ×5, first 2 shown]
	v_add_u32_e32 v10, v14, v95
	v_add_u32_e32 v12, v14, v97
	;; [unrolled: 1-line block ×3, first 2 shown]
	v_mad_i64_i32 v[10:11], s[0:1], v10, 36, v[62:63]
	v_mad_i64_i32 v[12:13], s[0:1], v12, 36, v[62:63]
	;; [unrolled: 1-line block ×3, first 2 shown]
	global_load_dword v124, v[0:1], off offset:4
	s_nop 0
	global_load_dword v2, v[2:3], off offset:4
	s_nop 0
	;; [unrolled: 2-line block ×3, first 2 shown]
	global_load_dword v4, v[6:7], off offset:4
	global_load_dword v5, v[8:9], off offset:4
	s_nop 0
	global_load_dword v6, v[10:11], off offset:4
	global_load_dword v7, v[12:13], off offset:4
	;; [unrolled: 1-line block ×3, first 2 shown]
	v_add_u32_e32 v167, s16, v60
	v_mad_u64_u32 v[0:1], s[0:1], v167, 36, s[2:3]
	global_load_dword v0, v[0:1], off
	v_add_u32_e32 v1, 0x420, v57
	s_mov_b64 s[0:1], -1
	s_mov_b32 s18, 0
	s_waitcnt vmcnt(29)
	ds_write_b32 v57, v102
	s_waitcnt vmcnt(28)
	ds_write_b32 v1, v103
	v_add_u32_e32 v1, 0x840, v57
	s_waitcnt vmcnt(27)
	ds_write_b32 v1, v104
	v_add_u32_e32 v1, 0xc60, v57
	;; [unrolled: 3-line block ×12, first 2 shown]
	s_waitcnt vmcnt(16)
	ds_write_b32 v1, v113
	s_waitcnt vmcnt(15)
	ds_write_b32 v59, v98
	;; [unrolled: 2-line block ×4, first 2 shown]
	s_waitcnt vmcnt(12)
	v_ashrrev_i32_e32 v1, v75, v116
	v_and_b32_e32 v1, 0xf0f0f0f, v1
	s_waitcnt vmcnt(11)
	v_ashrrev_i32_e32 v9, v77, v118
	v_and_or_b32 v1, v9, s15, v1
	ds_write_b32 v79, v1
	s_waitcnt vmcnt(10)
	v_ashrrev_i32_e32 v1, v75, v120
	v_and_b32_e32 v1, 0xf0f0f0f, v1
	s_waitcnt vmcnt(9)
	v_ashrrev_i32_e32 v9, v77, v122
	v_and_or_b32 v1, v9, s15, v1
	ds_write_b32 v81, v1
	s_waitcnt vmcnt(8)
	ds_write_b32 v154, v124
	s_waitcnt vmcnt(7)
	;; [unrolled: 2-line block ×9, first 2 shown]
	ds_write_b32 v61, v0
	s_waitcnt lgkmcnt(0)
	s_barrier
	ds_read_b32 v0, v117
	ds_read_b32 v1, v121 offset:128
	ds_read_b32 v2, v123 offset:256
	;; [unrolled: 1-line block ×3, first 2 shown]
	s_waitcnt lgkmcnt(3)
	v_cvt_f32_f16_e32 v98, v0
	v_cvt_f32_f16_sdwa v100, v0 dst_sel:DWORD dst_unused:UNUSED_PAD src0_sel:WORD_1
	s_waitcnt lgkmcnt(2)
	v_cvt_f32_f16_e32 v102, v1
	v_cvt_f32_f16_sdwa v104, v1 dst_sel:DWORD dst_unused:UNUSED_PAD src0_sel:WORD_1
	;; [unrolled: 3-line block ×4, first 2 shown]
	v_mov_b32_e32 v99, v98
	v_mov_b32_e32 v101, v100
	;; [unrolled: 1-line block ×8, first 2 shown]
.LBB171_6:                              ;   Parent Loop BB171_5 Depth=1
                                        ; =>  This Inner Loop Header: Depth=2
	s_lshl_b32 s17, s18, 1
	s_lshr_b32 s19, s18, 2
	v_or_b32_e32 v0, s17, v71
	s_lshl_b32 s18, s18, 2
	v_lshlrev_b32_e32 v1, 2, v0
	v_add_u32_e32 v116, s18, v143
	s_addk_i32 s19, 0x6200
	v_lshrrev_b32_e32 v130, 1, v0
	ds_read_b128 v[12:15], v1 offset:16896
	ds_read_b128 v[8:11], v1 offset:16912
	;; [unrolled: 1-line block ×4, first 2 shown]
	ds_read2_b32 v[132:133], v116 offset1:1
	ds_read2_b32 v[134:135], v116 offset0:2 offset1:3
	ds_read2_b32 v[136:137], v116 offset0:4 offset1:5
	ds_read2_b32 v[168:169], v116 offset0:6 offset1:7
	v_add3_u32 v114, s19, v166, v162
	ds_read_u16 v116, v114
	ds_read_u16 v114, v114 offset:8
	s_waitcnt lgkmcnt(5)
	v_lshrrev_b32_e32 v120, 4, v132
	v_and_b32_e32 v190, 0xf0f0f0f, v120
	v_lshrrev_b32_e32 v120, 4, v133
	s_waitcnt lgkmcnt(1)
	v_and_b32_e32 v180, 0xff, v116
	v_lshrrev_b16_e32 v181, 8, v116
	v_add_u32_e32 v116, s18, v144
	v_and_b32_e32 v182, 0xf0f0f0f, v132
	v_and_b32_e32 v183, 0xf0f0f0f, v133
	;; [unrolled: 1-line block ×3, first 2 shown]
	v_lshrrev_b32_e32 v120, 4, v134
	ds_read2_b32 v[132:133], v116 offset1:1
	v_and_b32_e32 v193, 0xf0f0f0f, v120
	v_lshrrev_b32_e32 v120, 4, v135
	v_and_b32_e32 v184, 0xf0f0f0f, v134
	v_and_b32_e32 v185, 0xf0f0f0f, v135
	v_and_b32_e32 v194, 0xf0f0f0f, v120
	v_lshrrev_b32_e32 v120, 4, v136
	ds_read2_b32 v[134:135], v116 offset0:2 offset1:3
	v_and_b32_e32 v195, 0xf0f0f0f, v120
	v_lshrrev_b32_e32 v120, 4, v137
	v_and_b32_e32 v186, 0xf0f0f0f, v136
	v_and_b32_e32 v187, 0xf0f0f0f, v137
	;; [unrolled: 1-line block ×3, first 2 shown]
	v_lshrrev_b32_e32 v120, 4, v168
	ds_read2_b32 v[136:137], v116 offset0:4 offset1:5
	v_and_b32_e32 v188, 0xf0f0f0f, v168
	v_and_b32_e32 v189, 0xf0f0f0f, v169
	v_and_b32_e32 v197, 0xf0f0f0f, v120
	v_lshrrev_b32_e32 v120, 4, v169
	ds_read2_b32 v[168:169], v116 offset0:6 offset1:7
	s_waitcnt lgkmcnt(3)
	v_lshrrev_b32_e32 v124, 4, v132
	v_and_b32_e32 v207, 0xf0f0f0f, v124
	v_lshrrev_b32_e32 v124, 4, v133
	v_cvt_f32_ubyte0_e32 v118, v114
	v_and_b32_e32 v198, 0xf0f0f0f, v120
	v_cvt_f32_ubyte1_e32 v120, v114
	v_add3_u32 v114, s19, v153, v163
	v_and_b32_e32 v208, 0xf0f0f0f, v124
	s_waitcnt lgkmcnt(2)
	v_lshrrev_b32_e32 v124, 4, v134
	ds_read_u16 v116, v114
	ds_read_u16 v114, v114 offset:8
	v_and_b32_e32 v209, 0xf0f0f0f, v124
	v_lshrrev_b32_e32 v124, 4, v135
	v_and_b32_e32 v210, 0xf0f0f0f, v124
	s_waitcnt lgkmcnt(3)
	v_lshrrev_b32_e32 v124, 4, v136
	v_and_b32_e32 v211, 0xf0f0f0f, v124
	v_lshrrev_b32_e32 v124, 4, v137
	v_and_b32_e32 v213, 0xf0f0f0f, v124
	s_waitcnt lgkmcnt(2)
	v_lshrrev_b32_e32 v124, 4, v168
	s_waitcnt lgkmcnt(1)
	v_and_b32_e32 v201, 0xff, v116
	v_and_b32_e32 v214, 0xf0f0f0f, v124
	v_lshrrev_b32_e32 v124, 4, v169
	v_lshrrev_b16_e32 v212, 8, v116
	v_add_u32_e32 v116, s18, v145
	v_and_b32_e32 v178, 0xf0f0f0f, v132
	v_and_b32_e32 v199, 0xf0f0f0f, v133
	s_waitcnt lgkmcnt(0)
	v_cvt_f32_ubyte0_e32 v122, v114
	v_and_b32_e32 v215, 0xf0f0f0f, v124
	v_cvt_f32_ubyte1_e32 v124, v114
	v_add3_u32 v114, s19, v152, v164
	ds_read2_b32 v[132:133], v116 offset1:1
	v_and_b32_e32 v200, 0xf0f0f0f, v134
	v_and_b32_e32 v202, 0xf0f0f0f, v135
	;; [unrolled: 1-line block ×6, first 2 shown]
	ds_read2_b32 v[134:135], v116 offset0:2 offset1:3
	ds_read2_b32 v[136:137], v116 offset0:4 offset1:5
	;; [unrolled: 1-line block ×3, first 2 shown]
	ds_read_u16 v116, v114
	ds_read_u16 v114, v114 offset:8
	s_waitcnt lgkmcnt(5)
	v_lshrrev_b32_e32 v128, 4, v132
	v_and_b32_e32 v179, 0xf0f0f0f, v132
	v_and_b32_e32 v216, 0xf0f0f0f, v133
	s_waitcnt lgkmcnt(1)
	v_and_b32_e32 v218, 0xff, v116
	v_lshrrev_b16_e32 v229, 8, v116
	v_add_u32_e32 v116, s18, v146
	v_and_b32_e32 v224, 0xf0f0f0f, v128
	v_lshrrev_b32_e32 v128, 4, v133
	ds_read2_b32 v[132:133], v116 offset1:1
	v_mov_b32_e32 v240, 0
	v_mov_b32_e32 v242, 0
	;; [unrolled: 1-line block ×4, first 2 shown]
	s_waitcnt lgkmcnt(0)
	v_and_b32_e32 v192, 0xf0f0f0f, v132
	v_dot4c_i32_i8_e32 v240, v182, v12
	v_dot4c_i32_i8_e32 v242, v178, v12
	;; [unrolled: 1-line block ×4, first 2 shown]
	v_and_b32_e32 v236, 0xf0f0f0f, v133
	v_dot4c_i32_i8_e32 v240, v183, v13
	v_dot4c_i32_i8_e32 v242, v199, v13
	;; [unrolled: 1-line block ×4, first 2 shown]
	ds_read2_b32 v[12:13], v116 offset0:2 offset1:3
	v_and_b32_e32 v217, 0xf0f0f0f, v134
	v_dot4c_i32_i8_e32 v240, v184, v14
	v_dot4c_i32_i8_e32 v242, v200, v14
	;; [unrolled: 1-line block ×3, first 2 shown]
	s_waitcnt lgkmcnt(0)
	v_and_b32_e32 v234, 0xf0f0f0f, v12
	v_and_b32_e32 v219, 0xf0f0f0f, v135
	v_dot4c_i32_i8_e32 v246, v234, v14
	v_and_b32_e32 v233, 0xf0f0f0f, v13
	v_dot4c_i32_i8_e32 v240, v185, v15
	v_dot4c_i32_i8_e32 v242, v202, v15
	;; [unrolled: 1-line block ×4, first 2 shown]
	ds_read2_b32 v[14:15], v116 offset0:4 offset1:5
	v_and_b32_e32 v220, 0xf0f0f0f, v136
	v_dot4c_i32_i8_e32 v240, v186, v8
	v_dot4c_i32_i8_e32 v242, v203, v8
	;; [unrolled: 1-line block ×3, first 2 shown]
	s_waitcnt lgkmcnt(0)
	v_and_b32_e32 v235, 0xf0f0f0f, v14
	v_and_b32_e32 v221, 0xf0f0f0f, v137
	v_dot4c_i32_i8_e32 v246, v235, v8
	v_and_b32_e32 v237, 0xf0f0f0f, v15
	v_dot4c_i32_i8_e32 v240, v187, v9
	v_dot4c_i32_i8_e32 v242, v204, v9
	v_dot4c_i32_i8_e32 v244, v221, v9
	v_and_b32_e32 v225, 0xf0f0f0f, v128
	v_lshrrev_b32_e32 v128, 4, v134
	v_dot4c_i32_i8_e32 v246, v237, v9
	ds_read2_b32 v[8:9], v116 offset0:6 offset1:7
	v_and_b32_e32 v226, 0xf0f0f0f, v128
	v_lshrrev_b32_e32 v128, 4, v135
	v_and_b32_e32 v227, 0xf0f0f0f, v128
	v_lshrrev_b32_e32 v128, 4, v136
	;; [unrolled: 2-line block ×4, first 2 shown]
	v_and_b32_e32 v222, 0xf0f0f0f, v168
	v_and_b32_e32 v231, 0xf0f0f0f, v128
	v_lshrrev_b32_e32 v128, 4, v169
	s_waitcnt lgkmcnt(0)
	v_and_b32_e32 v238, 0xf0f0f0f, v8
	v_dot4c_i32_i8_e32 v240, v188, v10
	v_dot4c_i32_i8_e32 v242, v205, v10
	;; [unrolled: 1-line block ×3, first 2 shown]
	v_and_b32_e32 v223, 0xf0f0f0f, v169
	v_cvt_f32_ubyte0_e32 v126, v114
	v_and_b32_e32 v232, 0xf0f0f0f, v128
	v_cvt_f32_ubyte1_e32 v128, v114
	v_add3_u32 v114, s19, v151, v165
	v_dot4c_i32_i8_e32 v246, v238, v10
	v_and_b32_e32 v239, 0xf0f0f0f, v9
	v_dot4c_i32_i8_e32 v240, v189, v11
	v_dot4c_i32_i8_e32 v242, v206, v11
	;; [unrolled: 1-line block ×4, first 2 shown]
	ds_read_u16 v10, v114
	ds_read_u16 v11, v114 offset:8
	v_lshrrev_b32_e32 v114, 4, v132
	v_mov_b32_e32 v241, 0
	v_mov_b32_e32 v243, 0
	;; [unrolled: 1-line block ×3, first 2 shown]
	v_and_b32_e32 v177, 0xf0f0f0f, v114
	v_mov_b32_e32 v247, 0
	v_dot4c_i32_i8_e32 v241, v190, v4
	v_dot4c_i32_i8_e32 v243, v207, v4
	;; [unrolled: 1-line block ×4, first 2 shown]
	v_lshrrev_b32_e32 v4, 4, v133
	v_and_b32_e32 v176, 0xf0f0f0f, v4
	v_lshrrev_b32_e32 v4, 4, v12
	v_dot4c_i32_i8_e32 v241, v191, v5
	v_dot4c_i32_i8_e32 v243, v208, v5
	v_dot4c_i32_i8_e32 v245, v225, v5
	v_dot4c_i32_i8_e32 v247, v176, v5
	v_and_b32_e32 v175, 0xf0f0f0f, v4
	v_lshrrev_b32_e32 v4, 4, v13
	v_dot4c_i32_i8_e32 v241, v193, v6
	v_dot4c_i32_i8_e32 v243, v209, v6
	v_dot4c_i32_i8_e32 v245, v226, v6
	v_dot4c_i32_i8_e32 v247, v175, v6
	v_and_b32_e32 v174, 0xf0f0f0f, v4
	v_lshrrev_b32_e32 v4, 4, v14
	v_dot4c_i32_i8_e32 v241, v194, v7
	v_dot4c_i32_i8_e32 v243, v210, v7
	v_dot4c_i32_i8_e32 v245, v227, v7
	v_dot4c_i32_i8_e32 v247, v174, v7
	v_and_b32_e32 v173, 0xf0f0f0f, v4
	v_dot4c_i32_i8_e32 v241, v195, v0
	v_dot4c_i32_i8_e32 v243, v211, v0
	;; [unrolled: 1-line block ×4, first 2 shown]
	v_lshrrev_b32_e32 v0, 4, v15
	v_and_b32_e32 v172, 0xf0f0f0f, v0
	v_lshrrev_b32_e32 v0, 4, v8
	v_and_b32_e32 v171, 0xf0f0f0f, v0
	v_lshrrev_b32_e32 v0, 4, v9
	v_dot4c_i32_i8_e32 v241, v196, v1
	v_dot4c_i32_i8_e32 v243, v213, v1
	;; [unrolled: 1-line block ×4, first 2 shown]
	v_and_b32_e32 v170, 0xf0f0f0f, v0
	v_or_b32_e32 v0, s17, v127
	v_dot4c_i32_i8_e32 v241, v197, v2
	v_dot4c_i32_i8_e32 v243, v214, v2
	;; [unrolled: 1-line block ×4, first 2 shown]
	v_lshlrev_b32_e32 v1, 2, v0
	v_dot4c_i32_i8_e32 v241, v198, v3
	v_dot4c_i32_i8_e32 v243, v215, v3
	v_dot4c_i32_i8_e32 v245, v232, v3
	s_waitcnt lgkmcnt(1)
	v_and_b32_e32 v169, 0xff, v10
	s_waitcnt lgkmcnt(0)
	v_cvt_f32_ubyte0_e32 v116, v11
	v_dot4c_i32_i8_e32 v247, v170, v3
	v_lshrrev_b16_e32 v168, 8, v10
	v_cvt_f32_ubyte1_e32 v114, v11
	v_lshrrev_b32_e32 v131, 1, v0
	ds_read_b128 v[12:15], v1 offset:16896
	ds_read_b128 v[8:11], v1 offset:16912
	ds_read_b128 v[4:7], v1 offset:16928
	ds_read_b128 v[0:3], v1 offset:16944
	v_mov_b32_e32 v250, 0
	s_waitcnt lgkmcnt(3)
	v_dot4c_i32_i8_e32 v250, v182, v12
	v_mov_b32_e32 v252, 0
	v_dot4c_i32_i8_e32 v250, v183, v13
	s_waitcnt lgkmcnt(1)
	v_dot4c_i32_i8_e32 v252, v190, v4
	v_dot4c_i32_i8_e32 v250, v184, v14
	;; [unrolled: 1-line block ×7, first 2 shown]
	ds_read_b64 v[248:249], v130 offset:27200
	ds_read_b64 v[132:133], v131 offset:27200
	v_dot4c_i32_i8_e32 v250, v187, v9
	s_waitcnt lgkmcnt(2)
	v_dot4c_i32_i8_e32 v252, v195, v0
	v_dot4c_i32_i8_e32 v250, v188, v10
	;; [unrolled: 1-line block ×6, first 2 shown]
	s_waitcnt lgkmcnt(1)
	v_cvt_f32_f16_e32 v134, v248
	v_cvt_f32_f16_sdwa v136, v248 dst_sel:DWORD dst_unused:UNUSED_PAD src0_sel:WORD_1
	v_mul_lo_u32 v240, v240, v180
	v_mul_lo_u32 v248, v250, v180
	s_waitcnt lgkmcnt(0)
	v_cvt_f32_f16_e32 v135, v132
	v_cvt_f32_f16_sdwa v137, v132 dst_sel:DWORD dst_unused:UNUSED_PAD src0_sel:WORD_1
	v_cvt_f32_f16_e32 v130, v249
	v_cvt_f32_f16_sdwa v132, v249 dst_sel:DWORD dst_unused:UNUSED_PAD src0_sel:WORD_1
	v_cvt_f32_i32_e32 v249, v248
	v_cvt_f32_i32_e32 v248, v240
	v_mul_lo_u32 v240, v241, v181
	v_mul_lo_u32 v241, v252, v181
	v_cvt_f32_f16_e32 v131, v133
	v_cvt_f32_f16_sdwa v133, v133 dst_sel:DWORD dst_unused:UNUSED_PAD src0_sel:WORD_1
	v_cvt_f32_i32_e32 v241, v241
	v_cvt_f32_i32_e32 v240, v240
	v_pk_fma_f32 v[248:249], v[134:135], v[248:249], 0 op_sel_hi:[1,1,0]
	v_pk_fma_f32 v[250:251], v[118:119], v[136:137], 0 op_sel_hi:[0,1,0]
	v_mul_lo_u32 v242, v242, v201
	v_pk_fma_f32 v[240:241], v[130:131], v[240:241], v[248:249]
	v_pk_fma_f32 v[248:249], v[120:121], v[132:133], v[250:251] op_sel_hi:[0,1,1]
	v_pk_mul_f32 v[248:249], v[248:249], v[100:101]
	v_mov_b32_e32 v250, 0
	v_pk_fma_f32 v[240:241], v[240:241], v[98:99], v[248:249] neg_lo:[0,0,1] neg_hi:[0,0,1]
	v_dot4c_i32_i8_e32 v250, v207, v4
	v_pk_add_f32 v[48:49], v[48:49], v[240:241]
	v_mov_b32_e32 v240, 0
	v_dot4c_i32_i8_e32 v240, v178, v12
	v_dot4c_i32_i8_e32 v240, v199, v13
	;; [unrolled: 1-line block ×15, first 2 shown]
	v_pk_fma_f32 v[248:249], v[122:123], v[136:137], 0 op_sel_hi:[0,1,0]
	v_mul_lo_u32 v240, v240, v201
	v_cvt_f32_i32_e32 v241, v240
	v_cvt_f32_i32_e32 v240, v242
	v_mul_lo_u32 v242, v243, v212
	v_mul_lo_u32 v243, v250, v212
	v_cvt_f32_i32_e32 v243, v243
	v_cvt_f32_i32_e32 v242, v242
	v_pk_fma_f32 v[240:241], v[134:135], v[240:241], 0 op_sel_hi:[1,1,0]
	v_mov_b32_e32 v250, 0
	v_mov_b32_e32 v251, 0
	v_pk_fma_f32 v[240:241], v[130:131], v[242:243], v[240:241]
	v_pk_fma_f32 v[242:243], v[124:125], v[132:133], v[248:249] op_sel_hi:[0,1,1]
	v_pk_mul_f32 v[242:243], v[242:243], v[104:105]
	v_mov_b32_e32 v248, 0
	v_pk_fma_f32 v[240:241], v[240:241], v[102:103], v[242:243] neg_lo:[0,0,1] neg_hi:[0,0,1]
	v_dot4c_i32_i8_e32 v248, v224, v4
	v_pk_add_f32 v[50:51], v[50:51], v[240:241]
	v_mov_b32_e32 v240, 0
	v_dot4c_i32_i8_e32 v240, v179, v12
	v_dot4c_i32_i8_e32 v240, v216, v13
	;; [unrolled: 1-line block ×15, first 2 shown]
	v_mul_lo_u32 v242, v244, v218
	v_mul_lo_u32 v240, v240, v218
	v_cvt_f32_i32_e32 v241, v240
	v_cvt_f32_i32_e32 v240, v242
	v_mul_lo_u32 v244, v245, v229
	v_mul_lo_u32 v245, v248, v229
	v_cvt_f32_i32_e32 v245, v245
	v_cvt_f32_i32_e32 v244, v244
	v_pk_fma_f32 v[242:243], v[126:127], v[136:137], 0 op_sel_hi:[0,1,0]
	v_pk_fma_f32 v[240:241], v[134:135], v[240:241], 0 op_sel_hi:[1,1,0]
	;; [unrolled: 1-line block ×3, first 2 shown]
	v_pk_fma_f32 v[240:241], v[130:131], v[244:245], v[240:241]
	v_pk_mul_f32 v[242:243], v[242:243], v[108:109]
	v_mov_b32_e32 v248, 0
	v_pk_fma_f32 v[240:241], v[240:241], v[106:107], v[242:243] neg_lo:[0,0,1] neg_hi:[0,0,1]
	v_mov_b32_e32 v244, 0
	v_pk_add_f32 v[42:43], v[42:43], v[240:241]
	v_mov_b32_e32 v240, 0
	v_dot4c_i32_i8_e32 v240, v192, v12
	v_dot4c_i32_i8_e32 v240, v236, v13
	;; [unrolled: 1-line block ×5, first 2 shown]
	v_mov_b32_e32 v8, 0
	v_dot4c_i32_i8_e32 v8, v177, v4
	v_dot4c_i32_i8_e32 v8, v176, v5
	;; [unrolled: 1-line block ×11, first 2 shown]
	v_mul_lo_u32 v0, v246, v169
	v_mul_lo_u32 v1, v240, v169
	v_cvt_f32_i32_e32 v1, v1
	v_cvt_f32_i32_e32 v0, v0
	v_mul_lo_u32 v4, v247, v168
	v_mul_lo_u32 v5, v8, v168
	v_cvt_f32_i32_e32 v5, v5
	v_cvt_f32_i32_e32 v4, v4
	v_pk_fma_f32 v[2:3], v[116:117], v[136:137], 0 op_sel_hi:[0,1,0]
	v_pk_fma_f32 v[0:1], v[134:135], v[0:1], 0 op_sel_hi:[1,1,0]
	;; [unrolled: 1-line block ×3, first 2 shown]
	v_pk_fma_f32 v[0:1], v[130:131], v[4:5], v[0:1]
	v_pk_mul_f32 v[2:3], v[2:3], v[112:113]
	v_mov_b32_e32 v245, 0
	v_pk_fma_f32 v[0:1], v[0:1], v[110:111], v[2:3] neg_lo:[0,0,1] neg_hi:[0,0,1]
	v_mov_b32_e32 v242, 0
	v_pk_add_f32 v[40:41], v[40:41], v[0:1]
	v_or_b32_e32 v0, s17, v129
	v_lshlrev_b32_e32 v1, 2, v0
	v_lshrrev_b32_e32 v130, 1, v0
	ds_read_b128 v[12:15], v1 offset:16896
	ds_read_b128 v[8:11], v1 offset:16912
	;; [unrolled: 1-line block ×4, first 2 shown]
	v_mov_b32_e32 v243, 0
	v_mov_b32_e32 v240, 0
	;; [unrolled: 1-line block ×3, first 2 shown]
	s_waitcnt lgkmcnt(3)
	v_dot4c_i32_i8_e32 v248, v182, v12
	s_waitcnt lgkmcnt(1)
	v_dot4c_i32_i8_e32 v250, v190, v4
	v_dot4c_i32_i8_e32 v244, v178, v12
	;; [unrolled: 1-line block ×32, first 2 shown]
	s_waitcnt lgkmcnt(0)
	v_dot4c_i32_i8_e32 v250, v195, v0
	v_dot4c_i32_i8_e32 v244, v203, v8
	;; [unrolled: 1-line block ×15, first 2 shown]
	v_or_b32_e32 v0, s17, v138
	v_dot4c_i32_i8_e32 v248, v188, v10
	v_dot4c_i32_i8_e32 v250, v197, v2
	;; [unrolled: 1-line block ×8, first 2 shown]
	v_lshlrev_b32_e32 v1, 2, v0
	v_dot4c_i32_i8_e32 v248, v189, v11
	v_dot4c_i32_i8_e32 v250, v198, v3
	;; [unrolled: 1-line block ×8, first 2 shown]
	v_lshrrev_b32_e32 v131, 1, v0
	ds_read_b128 v[12:15], v1 offset:16896
	ds_read_b128 v[8:11], v1 offset:16912
	;; [unrolled: 1-line block ×4, first 2 shown]
	v_mov_b32_e32 v249, 0
	s_waitcnt lgkmcnt(3)
	v_dot4c_i32_i8_e32 v249, v182, v12
	v_dot4c_i32_i8_e32 v249, v183, v13
	s_waitcnt lgkmcnt(1)
	v_dot4c_i32_i8_e32 v251, v190, v4
	v_dot4c_i32_i8_e32 v249, v184, v14
	;; [unrolled: 1-line block ×5, first 2 shown]
	ds_read_b64 v[246:247], v130 offset:27200
	ds_read_b64 v[132:133], v131 offset:27200
	v_dot4c_i32_i8_e32 v249, v186, v8
	v_dot4c_i32_i8_e32 v251, v194, v7
	;; [unrolled: 1-line block ×3, first 2 shown]
	s_waitcnt lgkmcnt(2)
	v_dot4c_i32_i8_e32 v251, v195, v0
	v_dot4c_i32_i8_e32 v249, v188, v10
	v_dot4c_i32_i8_e32 v251, v196, v1
	v_dot4c_i32_i8_e32 v249, v189, v11
	v_dot4c_i32_i8_e32 v251, v197, v2
	v_dot4c_i32_i8_e32 v251, v198, v3
	s_waitcnt lgkmcnt(0)
	v_cvt_f32_f16_e32 v135, v132
	v_cvt_f32_f16_e32 v134, v246
	v_cvt_f32_f16_sdwa v137, v132 dst_sel:DWORD dst_unused:UNUSED_PAD src0_sel:WORD_1
	v_cvt_f32_f16_sdwa v136, v246 dst_sel:DWORD dst_unused:UNUSED_PAD src0_sel:WORD_1
	v_cvt_f32_f16_e32 v130, v247
	v_cvt_f32_f16_sdwa v132, v247 dst_sel:DWORD dst_unused:UNUSED_PAD src0_sel:WORD_1
	v_mul_lo_u32 v246, v248, v180
	v_mul_lo_u32 v247, v249, v180
	v_cvt_f32_f16_e32 v131, v133
	v_cvt_f32_f16_sdwa v133, v133 dst_sel:DWORD dst_unused:UNUSED_PAD src0_sel:WORD_1
	v_cvt_f32_i32_e32 v247, v247
	v_cvt_f32_i32_e32 v246, v246
	v_mul_lo_u32 v250, v250, v181
	v_mul_lo_u32 v251, v251, v181
	v_cvt_f32_i32_e32 v251, v251
	v_cvt_f32_i32_e32 v250, v250
	v_pk_fma_f32 v[248:249], v[118:119], v[136:137], 0 op_sel_hi:[0,1,0]
	v_pk_fma_f32 v[246:247], v[246:247], v[134:135], 0 op_sel_hi:[1,1,0]
	;; [unrolled: 1-line block ×3, first 2 shown]
	v_pk_fma_f32 v[246:247], v[250:251], v[130:131], v[246:247]
	v_pk_mul_f32 v[248:249], v[248:249], v[100:101]
	v_mov_b32_e32 v250, 0
	v_pk_fma_f32 v[246:247], v[246:247], v[98:99], v[248:249] neg_lo:[0,0,1] neg_hi:[0,0,1]
	v_dot4c_i32_i8_e32 v250, v207, v4
	v_pk_add_f32 v[38:39], v[38:39], v[246:247]
	v_mov_b32_e32 v246, 0
	v_dot4c_i32_i8_e32 v246, v178, v12
	v_dot4c_i32_i8_e32 v246, v199, v13
	;; [unrolled: 1-line block ×15, first 2 shown]
	v_mul_lo_u32 v244, v244, v201
	v_mul_lo_u32 v246, v246, v201
	v_cvt_f32_i32_e32 v247, v246
	v_cvt_f32_i32_e32 v246, v244
	v_mul_lo_u32 v244, v245, v212
	v_mul_lo_u32 v245, v250, v212
	v_cvt_f32_i32_e32 v245, v245
	v_cvt_f32_i32_e32 v244, v244
	v_pk_fma_f32 v[246:247], v[246:247], v[134:135], 0 op_sel_hi:[1,1,0]
	v_pk_fma_f32 v[248:249], v[122:123], v[136:137], 0 op_sel_hi:[0,1,0]
	v_mul_lo_u32 v242, v242, v218
	v_pk_fma_f32 v[244:245], v[244:245], v[130:131], v[246:247]
	v_pk_fma_f32 v[246:247], v[124:125], v[132:133], v[248:249] op_sel_hi:[0,1,1]
	v_pk_mul_f32 v[246:247], v[246:247], v[104:105]
	v_mov_b32_e32 v248, 0
	v_pk_fma_f32 v[244:245], v[244:245], v[102:103], v[246:247] neg_lo:[0,0,1] neg_hi:[0,0,1]
	v_dot4c_i32_i8_e32 v248, v224, v4
	v_pk_add_f32 v[36:37], v[36:37], v[244:245]
	v_mov_b32_e32 v244, 0
	v_dot4c_i32_i8_e32 v244, v179, v12
	v_dot4c_i32_i8_e32 v244, v216, v13
	;; [unrolled: 1-line block ×15, first 2 shown]
	v_pk_fma_f32 v[246:247], v[126:127], v[136:137], 0 op_sel_hi:[0,1,0]
	v_mul_lo_u32 v244, v244, v218
	v_cvt_f32_i32_e32 v245, v244
	v_cvt_f32_i32_e32 v244, v242
	v_mul_lo_u32 v242, v243, v229
	v_mul_lo_u32 v243, v248, v229
	v_cvt_f32_i32_e32 v243, v243
	v_cvt_f32_i32_e32 v242, v242
	v_pk_fma_f32 v[244:245], v[244:245], v[134:135], 0 op_sel_hi:[1,1,0]
	v_mov_b32_e32 v250, 0
	v_mov_b32_e32 v252, 0
	v_pk_fma_f32 v[242:243], v[242:243], v[130:131], v[244:245]
	v_pk_fma_f32 v[244:245], v[128:129], v[132:133], v[246:247] op_sel_hi:[0,1,1]
	v_pk_mul_f32 v[244:245], v[244:245], v[108:109]
	v_mov_b32_e32 v246, 0
	v_pk_fma_f32 v[242:243], v[242:243], v[106:107], v[244:245] neg_lo:[0,0,1] neg_hi:[0,0,1]
	v_mov_b32_e32 v245, 0
	v_pk_add_f32 v[34:35], v[34:35], v[242:243]
	v_mov_b32_e32 v242, 0
	v_dot4c_i32_i8_e32 v242, v192, v12
	v_dot4c_i32_i8_e32 v242, v236, v13
	;; [unrolled: 1-line block ×5, first 2 shown]
	v_mov_b32_e32 v8, 0
	v_dot4c_i32_i8_e32 v8, v177, v4
	v_dot4c_i32_i8_e32 v8, v176, v5
	;; [unrolled: 1-line block ×11, first 2 shown]
	v_mul_lo_u32 v0, v240, v169
	v_mul_lo_u32 v1, v242, v169
	v_cvt_f32_i32_e32 v1, v1
	v_cvt_f32_i32_e32 v0, v0
	v_mul_lo_u32 v4, v241, v168
	v_mul_lo_u32 v5, v8, v168
	v_cvt_f32_i32_e32 v5, v5
	v_cvt_f32_i32_e32 v4, v4
	v_pk_fma_f32 v[2:3], v[116:117], v[136:137], 0 op_sel_hi:[0,1,0]
	v_pk_fma_f32 v[0:1], v[0:1], v[134:135], 0 op_sel_hi:[1,1,0]
	;; [unrolled: 1-line block ×3, first 2 shown]
	v_pk_fma_f32 v[0:1], v[4:5], v[130:131], v[0:1]
	v_pk_mul_f32 v[2:3], v[2:3], v[112:113]
	v_mov_b32_e32 v241, 0
	v_pk_fma_f32 v[0:1], v[0:1], v[110:111], v[2:3] neg_lo:[0,0,1] neg_hi:[0,0,1]
	v_mov_b32_e32 v247, 0
	v_pk_add_f32 v[32:33], v[32:33], v[0:1]
	v_or_b32_e32 v0, s17, v139
	v_lshlrev_b32_e32 v1, 2, v0
	v_lshrrev_b32_e32 v130, 1, v0
	ds_read_b128 v[12:15], v1 offset:16896
	ds_read_b128 v[8:11], v1 offset:16912
	;; [unrolled: 1-line block ×4, first 2 shown]
	v_mov_b32_e32 v243, 0
	v_mov_b32_e32 v244, 0
	;; [unrolled: 1-line block ×4, first 2 shown]
	s_waitcnt lgkmcnt(3)
	v_dot4c_i32_i8_e32 v241, v182, v12
	s_waitcnt lgkmcnt(1)
	v_dot4c_i32_i8_e32 v245, v190, v4
	v_dot4c_i32_i8_e32 v246, v178, v12
	;; [unrolled: 1-line block ×32, first 2 shown]
	s_waitcnt lgkmcnt(0)
	v_dot4c_i32_i8_e32 v245, v195, v0
	v_dot4c_i32_i8_e32 v246, v203, v8
	;; [unrolled: 1-line block ×15, first 2 shown]
	v_or_b32_e32 v0, s17, v140
	v_dot4c_i32_i8_e32 v241, v188, v10
	v_dot4c_i32_i8_e32 v245, v197, v2
	;; [unrolled: 1-line block ×8, first 2 shown]
	v_lshlrev_b32_e32 v1, 2, v0
	v_dot4c_i32_i8_e32 v241, v189, v11
	v_dot4c_i32_i8_e32 v245, v198, v3
	;; [unrolled: 1-line block ×8, first 2 shown]
	v_lshrrev_b32_e32 v131, 1, v0
	ds_read_b128 v[12:15], v1 offset:16896
	ds_read_b128 v[8:11], v1 offset:16912
	;; [unrolled: 1-line block ×4, first 2 shown]
	ds_read_b64 v[248:249], v130 offset:27200
	ds_read_b64 v[132:133], v131 offset:27200
	s_waitcnt lgkmcnt(5)
	v_dot4c_i32_i8_e32 v250, v182, v12
	v_dot4c_i32_i8_e32 v250, v183, v13
	v_dot4c_i32_i8_e32 v250, v184, v14
	s_waitcnt lgkmcnt(3)
	v_dot4c_i32_i8_e32 v252, v190, v4
	v_dot4c_i32_i8_e32 v250, v185, v15
	;; [unrolled: 1-line block ×8, first 2 shown]
	s_waitcnt lgkmcnt(2)
	v_dot4c_i32_i8_e32 v252, v195, v0
	v_dot4c_i32_i8_e32 v250, v189, v11
	v_dot4c_i32_i8_e32 v252, v196, v1
	v_dot4c_i32_i8_e32 v252, v197, v2
	s_waitcnt lgkmcnt(1)
	v_cvt_f32_f16_e32 v134, v248
	v_cvt_f32_f16_sdwa v136, v248 dst_sel:DWORD dst_unused:UNUSED_PAD src0_sel:WORD_1
	v_mul_lo_u32 v241, v241, v180
	v_mul_lo_u32 v248, v250, v180
	v_dot4c_i32_i8_e32 v252, v198, v3
	s_waitcnt lgkmcnt(0)
	v_cvt_f32_f16_e32 v135, v132
	v_cvt_f32_f16_sdwa v137, v132 dst_sel:DWORD dst_unused:UNUSED_PAD src0_sel:WORD_1
	v_cvt_f32_f16_e32 v130, v249
	v_cvt_f32_f16_sdwa v132, v249 dst_sel:DWORD dst_unused:UNUSED_PAD src0_sel:WORD_1
	v_cvt_f32_i32_e32 v249, v248
	v_cvt_f32_i32_e32 v248, v241
	v_mul_lo_u32 v241, v245, v181
	v_mul_lo_u32 v245, v252, v181
	v_cvt_f32_i32_e32 v252, v241
	v_mov_b32_e32 v241, 0
	v_dot4c_i32_i8_e32 v241, v178, v12
	v_dot4c_i32_i8_e32 v241, v199, v13
	v_cvt_f32_f16_e32 v131, v133
	v_cvt_f32_f16_sdwa v133, v133 dst_sel:DWORD dst_unused:UNUSED_PAD src0_sel:WORD_1
	v_dot4c_i32_i8_e32 v241, v200, v14
	v_cvt_f32_i32_e32 v253, v245
	v_dot4c_i32_i8_e32 v241, v202, v15
	v_mov_b32_e32 v245, 0
	v_dot4c_i32_i8_e32 v241, v203, v8
	v_dot4c_i32_i8_e32 v245, v207, v4
	v_pk_fma_f32 v[250:251], v[118:119], v[136:137], 0 op_sel_hi:[0,1,0]
	v_dot4c_i32_i8_e32 v241, v204, v9
	v_dot4c_i32_i8_e32 v245, v208, v5
	v_pk_fma_f32 v[248:249], v[248:249], v[134:135], 0 op_sel_hi:[1,1,0]
	v_pk_fma_f32 v[250:251], v[120:121], v[132:133], v[250:251] op_sel_hi:[0,1,1]
	v_dot4c_i32_i8_e32 v241, v205, v10
	v_dot4c_i32_i8_e32 v245, v209, v6
	v_pk_fma_f32 v[248:249], v[252:253], v[130:131], v[248:249]
	v_pk_mul_f32 v[250:251], v[250:251], v[100:101]
	v_dot4c_i32_i8_e32 v241, v206, v11
	v_dot4c_i32_i8_e32 v245, v210, v7
	v_pk_fma_f32 v[248:249], v[248:249], v[98:99], v[250:251] neg_lo:[0,0,1] neg_hi:[0,0,1]
	v_dot4c_i32_i8_e32 v245, v211, v0
	v_mul_lo_u32 v241, v241, v201
	v_pk_add_f32 v[30:31], v[30:31], v[248:249]
	v_dot4c_i32_i8_e32 v245, v213, v1
	v_mul_lo_u32 v246, v246, v201
	v_cvt_f32_i32_e32 v249, v241
	v_mul_lo_u32 v241, v247, v212
	v_dot4c_i32_i8_e32 v245, v214, v2
	v_cvt_f32_i32_e32 v248, v246
	v_cvt_f32_i32_e32 v246, v241
	v_mov_b32_e32 v241, 0
	v_dot4c_i32_i8_e32 v245, v215, v3
	v_dot4c_i32_i8_e32 v241, v179, v12
	;; [unrolled: 1-line block ×4, first 2 shown]
	v_mul_lo_u32 v245, v245, v212
	v_cvt_f32_i32_e32 v247, v245
	v_dot4c_i32_i8_e32 v241, v219, v15
	v_dot4c_i32_i8_e32 v241, v220, v8
	v_pk_fma_f32 v[248:249], v[248:249], v[134:135], 0 op_sel_hi:[1,1,0]
	v_pk_fma_f32 v[250:251], v[122:123], v[136:137], 0 op_sel_hi:[0,1,0]
	v_dot4c_i32_i8_e32 v241, v221, v9
	v_pk_fma_f32 v[246:247], v[246:247], v[130:131], v[248:249]
	v_pk_fma_f32 v[248:249], v[124:125], v[132:133], v[250:251] op_sel_hi:[0,1,1]
	v_dot4c_i32_i8_e32 v241, v222, v10
	v_pk_mul_f32 v[248:249], v[248:249], v[104:105]
	v_dot4c_i32_i8_e32 v241, v223, v11
	v_pk_fma_f32 v[246:247], v[246:247], v[102:103], v[248:249] neg_lo:[0,0,1] neg_hi:[0,0,1]
	v_mov_b32_e32 v245, 0
	v_pk_add_f32 v[28:29], v[28:29], v[246:247]
	v_mul_lo_u32 v241, v241, v218
	v_cvt_f32_i32_e32 v247, v241
	v_mul_lo_u32 v241, v244, v229
	v_cvt_f32_i32_e32 v244, v241
	v_mov_b32_e32 v241, 0
	v_dot4c_i32_i8_e32 v241, v192, v12
	v_dot4c_i32_i8_e32 v241, v236, v13
	;; [unrolled: 1-line block ×5, first 2 shown]
	v_mov_b32_e32 v8, 0
	v_dot4c_i32_i8_e32 v8, v177, v4
	v_dot4c_i32_i8_e32 v8, v176, v5
	;; [unrolled: 1-line block ×17, first 2 shown]
	v_mul_lo_u32 v0, v240, v169
	v_mul_lo_u32 v1, v241, v169
	v_cvt_f32_i32_e32 v1, v1
	v_cvt_f32_i32_e32 v0, v0
	v_mul_lo_u32 v4, v242, v168
	v_mul_lo_u32 v5, v8, v168
	v_cvt_f32_i32_e32 v5, v5
	v_cvt_f32_i32_e32 v4, v4
	v_dot4c_i32_i8_e32 v245, v231, v2
	v_dot4c_i32_i8_e32 v245, v232, v3
	v_mul_lo_u32 v243, v243, v218
	v_pk_fma_f32 v[2:3], v[116:117], v[136:137], 0 op_sel_hi:[0,1,0]
	v_cvt_f32_i32_e32 v246, v243
	v_mul_lo_u32 v243, v245, v229
	v_pk_fma_f32 v[0:1], v[0:1], v[134:135], 0 op_sel_hi:[1,1,0]
	v_pk_fma_f32 v[2:3], v[114:115], v[132:133], v[2:3] op_sel_hi:[0,1,1]
	v_cvt_f32_i32_e32 v245, v243
	v_pk_fma_f32 v[0:1], v[4:5], v[130:131], v[0:1]
	v_pk_mul_f32 v[2:3], v[2:3], v[112:113]
	v_pk_fma_f32 v[246:247], v[246:247], v[134:135], 0 op_sel_hi:[1,1,0]
	v_pk_fma_f32 v[0:1], v[0:1], v[110:111], v[2:3] neg_lo:[0,0,1] neg_hi:[0,0,1]
	v_pk_fma_f32 v[248:249], v[126:127], v[136:137], 0 op_sel_hi:[0,1,0]
	v_pk_add_f32 v[24:25], v[24:25], v[0:1]
	v_or_b32_e32 v0, s17, v141
	v_lshlrev_b32_e32 v1, 2, v0
	v_pk_fma_f32 v[244:245], v[244:245], v[130:131], v[246:247]
	v_pk_fma_f32 v[246:247], v[128:129], v[132:133], v[248:249] op_sel_hi:[0,1,1]
	v_lshrrev_b32_e32 v130, 1, v0
	ds_read_b128 v[12:15], v1 offset:16896
	ds_read_b128 v[8:11], v1 offset:16912
	ds_read_b128 v[4:7], v1 offset:16928
	ds_read_b128 v[0:3], v1 offset:16944
	v_pk_mul_f32 v[246:247], v[246:247], v[108:109]
	v_mov_b32_e32 v242, 0
	v_pk_fma_f32 v[244:245], v[244:245], v[106:107], v[246:247] neg_lo:[0,0,1] neg_hi:[0,0,1]
	v_mov_b32_e32 v246, 0
	v_pk_add_f32 v[26:27], v[26:27], v[244:245]
	v_mov_b32_e32 v247, 0
	v_mov_b32_e32 v244, 0
	;; [unrolled: 1-line block ×6, first 2 shown]
	s_waitcnt lgkmcnt(3)
	v_dot4c_i32_i8_e32 v246, v182, v12
	s_waitcnt lgkmcnt(1)
	v_dot4c_i32_i8_e32 v247, v190, v4
	v_dot4c_i32_i8_e32 v244, v178, v12
	;; [unrolled: 1-line block ×32, first 2 shown]
	s_waitcnt lgkmcnt(0)
	v_dot4c_i32_i8_e32 v247, v195, v0
	v_dot4c_i32_i8_e32 v244, v203, v8
	;; [unrolled: 1-line block ×15, first 2 shown]
	v_or_b32_e32 v0, s17, v142
	v_dot4c_i32_i8_e32 v246, v188, v10
	v_dot4c_i32_i8_e32 v247, v197, v2
	;; [unrolled: 1-line block ×8, first 2 shown]
	v_lshlrev_b32_e32 v1, 2, v0
	v_dot4c_i32_i8_e32 v246, v189, v11
	v_dot4c_i32_i8_e32 v247, v198, v3
	;; [unrolled: 1-line block ×8, first 2 shown]
	v_lshrrev_b32_e32 v131, 1, v0
	ds_read_b128 v[12:15], v1 offset:16896
	ds_read_b128 v[8:11], v1 offset:16912
	;; [unrolled: 1-line block ×4, first 2 shown]
	v_mov_b32_e32 v248, 0
	s_waitcnt lgkmcnt(3)
	v_dot4c_i32_i8_e32 v248, v182, v12
	v_dot4c_i32_i8_e32 v248, v183, v13
	;; [unrolled: 1-line block ×4, first 2 shown]
	s_waitcnt lgkmcnt(2)
	v_dot4c_i32_i8_e32 v248, v186, v8
	v_mov_b32_e32 v186, 0
	ds_read_b64 v[182:183], v130 offset:27200
	ds_read_b64 v[130:131], v131 offset:27200
	s_waitcnt lgkmcnt(3)
	v_dot4c_i32_i8_e32 v186, v190, v4
	v_dot4c_i32_i8_e32 v186, v191, v5
	;; [unrolled: 1-line block ×5, first 2 shown]
	s_waitcnt lgkmcnt(2)
	v_dot4c_i32_i8_e32 v186, v195, v0
	s_waitcnt lgkmcnt(0)
	v_cvt_f32_f16_sdwa v135, v130 dst_sel:DWORD dst_unused:UNUSED_PAD src0_sel:WORD_1
	v_cvt_f32_f16_sdwa v134, v182 dst_sel:DWORD dst_unused:UNUSED_PAD src0_sel:WORD_1
	v_dot4c_i32_i8_e32 v248, v188, v10
	v_dot4c_i32_i8_e32 v186, v196, v1
	v_dot4c_i32_i8_e32 v248, v189, v11
	v_dot4c_i32_i8_e32 v186, v197, v2
	v_dot4c_i32_i8_e32 v186, v198, v3
	v_cvt_f32_f16_e32 v136, v182
	v_mul_lo_u32 v182, v246, v180
	v_mul_lo_u32 v180, v248, v180
	v_cvt_f32_f16_e32 v137, v130
	v_cvt_f32_f16_e32 v132, v183
	v_cvt_f32_f16_sdwa v130, v183 dst_sel:DWORD dst_unused:UNUSED_PAD src0_sel:WORD_1
	v_cvt_f32_i32_e32 v183, v180
	v_pk_fma_f32 v[184:185], v[118:119], v[134:135], 0 op_sel_hi:[0,1,0]
	v_mul_lo_u32 v118, v247, v181
	v_mul_lo_u32 v180, v186, v181
	v_cvt_f32_i32_e32 v181, v180
	v_cvt_f32_i32_e32 v180, v118
	v_mov_b32_e32 v118, 0
	v_dot4c_i32_i8_e32 v118, v178, v12
	v_cvt_f32_i32_e32 v182, v182
	v_dot4c_i32_i8_e32 v118, v199, v13
	v_cvt_f32_f16_e32 v133, v131
	v_cvt_f32_f16_sdwa v131, v131 dst_sel:DWORD dst_unused:UNUSED_PAD src0_sel:WORD_1
	v_dot4c_i32_i8_e32 v118, v200, v14
	v_dot4c_i32_i8_e32 v118, v202, v15
	;; [unrolled: 1-line block ×3, first 2 shown]
	v_pk_fma_f32 v[182:183], v[182:183], v[136:137], 0 op_sel_hi:[1,1,0]
	v_dot4c_i32_i8_e32 v118, v204, v9
	v_pk_fma_f32 v[180:181], v[180:181], v[132:133], v[182:183]
	v_pk_fma_f32 v[182:183], v[120:121], v[130:131], v[184:185] op_sel_hi:[0,1,1]
	v_dot4c_i32_i8_e32 v118, v205, v10
	v_mov_b32_e32 v120, 0
	v_pk_mul_f32 v[182:183], v[182:183], v[100:101]
	v_dot4c_i32_i8_e32 v118, v206, v11
	v_dot4c_i32_i8_e32 v120, v207, v4
	v_pk_fma_f32 v[180:181], v[180:181], v[98:99], v[182:183] neg_lo:[0,0,1] neg_hi:[0,0,1]
	v_dot4c_i32_i8_e32 v120, v208, v5
	v_mul_lo_u32 v118, v118, v201
	v_pk_add_f32 v[22:23], v[22:23], v[180:181]
	v_dot4c_i32_i8_e32 v120, v209, v6
	v_cvt_f32_i32_e32 v181, v118
	v_mul_lo_u32 v118, v245, v212
	v_dot4c_i32_i8_e32 v120, v210, v7
	v_cvt_f32_i32_e32 v184, v118
	v_mov_b32_e32 v118, 0
	v_dot4c_i32_i8_e32 v120, v211, v0
	v_dot4c_i32_i8_e32 v118, v179, v12
	;; [unrolled: 1-line block ×7, first 2 shown]
	v_mul_lo_u32 v178, v244, v201
	v_dot4c_i32_i8_e32 v118, v219, v15
	v_cvt_f32_i32_e32 v180, v178
	v_mul_lo_u32 v120, v120, v212
	v_dot4c_i32_i8_e32 v118, v220, v8
	v_cvt_f32_i32_e32 v185, v120
	v_dot4c_i32_i8_e32 v118, v221, v9
	v_dot4c_i32_i8_e32 v118, v222, v10
	v_pk_fma_f32 v[182:183], v[122:123], v[134:135], 0 op_sel_hi:[0,1,0]
	v_dot4c_i32_i8_e32 v118, v223, v11
	v_pk_fma_f32 v[180:181], v[180:181], v[136:137], 0 op_sel_hi:[1,1,0]
	v_pk_fma_f32 v[182:183], v[124:125], v[130:131], v[182:183] op_sel_hi:[0,1,1]
	v_pk_fma_f32 v[180:181], v[184:185], v[132:133], v[180:181]
	v_mul_lo_u32 v118, v118, v218
	v_pk_mul_f32 v[182:183], v[182:183], v[104:105]
	v_cvt_f32_i32_e32 v179, v118
	v_mul_lo_u32 v118, v243, v229
	v_pk_fma_f32 v[180:181], v[180:181], v[102:103], v[182:183] neg_lo:[0,0,1] neg_hi:[0,0,1]
	v_cvt_f32_i32_e32 v182, v118
	v_mov_b32_e32 v118, 0
	v_dot4c_i32_i8_e32 v118, v192, v12
	v_dot4c_i32_i8_e32 v118, v236, v13
	;; [unrolled: 1-line block ×4, first 2 shown]
	v_mov_b32_e32 v120, 0
	v_dot4c_i32_i8_e32 v118, v235, v8
	v_mov_b32_e32 v8, 0
	v_dot4c_i32_i8_e32 v120, v224, v4
	v_dot4c_i32_i8_e32 v8, v177, v4
	;; [unrolled: 1-line block ×18, first 2 shown]
	v_mul_lo_u32 v122, v242, v218
	v_dot4c_i32_i8_e32 v8, v170, v3
	v_mul_lo_u32 v0, v241, v169
	v_mul_lo_u32 v1, v118, v169
	v_cvt_f32_i32_e32 v178, v122
	v_mul_lo_u32 v120, v120, v229
	v_cvt_f32_i32_e32 v1, v1
	v_cvt_f32_i32_e32 v0, v0
	v_mul_lo_u32 v4, v240, v168
	v_mul_lo_u32 v5, v8, v168
	v_cvt_f32_i32_e32 v183, v120
	v_cvt_f32_i32_e32 v5, v5
	;; [unrolled: 1-line block ×3, first 2 shown]
	v_pk_add_f32 v[20:21], v[20:21], v[180:181]
	v_pk_fma_f32 v[180:181], v[126:127], v[134:135], 0 op_sel_hi:[0,1,0]
	v_pk_fma_f32 v[2:3], v[116:117], v[134:135], 0 op_sel_hi:[0,1,0]
	;; [unrolled: 1-line block ×6, first 2 shown]
	v_pk_fma_f32 v[178:179], v[182:183], v[132:133], v[178:179]
	v_pk_mul_f32 v[180:181], v[180:181], v[108:109]
	v_pk_fma_f32 v[0:1], v[4:5], v[132:133], v[0:1]
	v_pk_mul_f32 v[2:3], v[2:3], v[112:113]
	v_pk_fma_f32 v[178:179], v[178:179], v[106:107], v[180:181] neg_lo:[0,0,1] neg_hi:[0,0,1]
	v_pk_fma_f32 v[0:1], v[0:1], v[110:111], v[2:3] neg_lo:[0,0,1] neg_hi:[0,0,1]
	v_pk_add_f32 v[18:19], v[18:19], v[178:179]
	v_pk_add_f32 v[16:17], v[16:17], v[0:1]
	s_mov_b32 s18, 8
	s_and_b64 vcc, exec, s[0:1]
	s_mov_b64 s[0:1], 0
	s_cbranch_vccnz .LBB171_6
; %bb.7:                                ;   in Loop: Header=BB171_5 Depth=1
	v_add_u32_e32 v14, s16, v119
	v_add_u32_e32 v0, v14, v85
	;; [unrolled: 1-line block ×6, first 2 shown]
	v_mad_i64_i32 v[0:1], s[0:1], v0, 36, v[62:63]
	v_mad_i64_i32 v[2:3], s[0:1], v2, 36, v[62:63]
	;; [unrolled: 1-line block ×4, first 2 shown]
	v_add_u32_e32 v8, v14, v93
	v_add_u32_e32 v10, v14, v95
	;; [unrolled: 1-line block ×4, first 2 shown]
	v_mad_u64_u32 v[98:99], s[0:1], v98, 36, s[2:3]
	s_barrier
	v_mad_i64_i32 v[8:9], s[0:1], v8, 36, v[62:63]
	v_mad_i64_i32 v[10:11], s[0:1], v10, 36, v[62:63]
	v_mad_i64_i32 v[12:13], s[0:1], v12, 36, v[62:63]
	v_mad_i64_i32 v[14:15], s[0:1], v14, 36, v[62:63]
	global_load_dword v98, v[98:99], off
	s_nop 0
	global_load_dword v0, v[0:1], off offset:4
	s_nop 0
	global_load_dword v1, v[2:3], off offset:4
	;; [unrolled: 2-line block ×3, first 2 shown]
	global_load_dword v3, v[6:7], off offset:4
	s_nop 0
	global_load_dword v4, v[8:9], off offset:4
	global_load_dword v5, v[10:11], off offset:4
	;; [unrolled: 1-line block ×4, first 2 shown]
	s_mov_b32 s0, 16
	s_mov_b32 s1, 0
	v_mov_b32_e32 v167, v149
	v_mov_b32_e32 v168, v148
	;; [unrolled: 1-line block ×3, first 2 shown]
	s_mov_b32 s16, 0
	s_waitcnt vmcnt(8)
	ds_write_b32 v61, v98
	s_waitcnt vmcnt(7)
	ds_write_b32 v154, v0
	;; [unrolled: 2-line block ×9, first 2 shown]
	s_waitcnt lgkmcnt(0)
	s_barrier
	ds_read_b32 v0, v117
	ds_read_b32 v1, v121 offset:128
	ds_read_b32 v2, v123 offset:256
	;; [unrolled: 1-line block ×3, first 2 shown]
	s_waitcnt lgkmcnt(2)
	v_cvt_f32_f16_e32 v102, v1
	v_cvt_f32_f16_e32 v98, v0
	v_cvt_f32_f16_sdwa v100, v0 dst_sel:DWORD dst_unused:UNUSED_PAD src0_sel:WORD_1
	v_cvt_f32_f16_sdwa v104, v1 dst_sel:DWORD dst_unused:UNUSED_PAD src0_sel:WORD_1
	s_waitcnt lgkmcnt(1)
	v_cvt_f32_f16_e32 v106, v2
	v_cvt_f32_f16_sdwa v108, v2 dst_sel:DWORD dst_unused:UNUSED_PAD src0_sel:WORD_1
	s_waitcnt lgkmcnt(0)
	v_cvt_f32_f16_e32 v110, v3
	v_cvt_f32_f16_sdwa v112, v3 dst_sel:DWORD dst_unused:UNUSED_PAD src0_sel:WORD_1
	v_mov_b32_e32 v99, v98
	v_mov_b32_e32 v101, v100
	;; [unrolled: 1-line block ×8, first 2 shown]
.LBB171_8:                              ;   Parent Loop BB171_5 Depth=1
                                        ; =>  This Inner Loop Header: Depth=2
	ds_read_b128 v[12:15], v167
	ds_read_b128 v[8:11], v167 offset:16
	ds_read_b128 v[4:7], v167 offset:32
	;; [unrolled: 1-line block ×3, first 2 shown]
	ds_read2_b32 v[130:131], v169 offset1:1
	ds_read2_b32 v[132:133], v169 offset0:2 offset1:3
	ds_read2_b32 v[134:135], v169 offset0:4 offset1:5
	;; [unrolled: 1-line block ×3, first 2 shown]
	s_lshr_b32 s17, s0, 2
	s_and_b32 s17, s17, 0x3ffffffc
	v_add_u32_e32 v114, s1, v150
	v_add3_u32 v116, v166, s17, v114
	s_waitcnt lgkmcnt(3)
	v_lshrrev_b32_e32 v122, 4, v130
	ds_read_u16 v120, v116 offset:25088
	ds_read_u16 v116, v116 offset:25096
	v_and_b32_e32 v202, 0xf0f0f0f, v122
	v_lshrrev_b32_e32 v122, 4, v131
	v_and_b32_e32 v210, 0xf0f0f0f, v122
	s_waitcnt lgkmcnt(4)
	v_lshrrev_b32_e32 v122, 4, v132
	v_and_b32_e32 v211, 0xf0f0f0f, v122
	v_lshrrev_b32_e32 v122, 4, v133
	v_and_b32_e32 v212, 0xf0f0f0f, v122
	s_waitcnt lgkmcnt(3)
	v_lshrrev_b32_e32 v122, 4, v134
	s_waitcnt lgkmcnt(1)
	v_and_b32_e32 v197, 0xff, v120
	v_and_b32_e32 v214, 0xf0f0f0f, v122
	v_lshrrev_b32_e32 v122, 4, v135
	v_lshrrev_b16_e32 v209, 8, v120
	v_add_u32_e32 v120, 0x1080, v169
	v_and_b32_e32 v188, 0xf0f0f0f, v130
	v_and_b32_e32 v186, 0xf0f0f0f, v131
	;; [unrolled: 1-line block ×3, first 2 shown]
	v_lshrrev_b32_e32 v122, 4, v136
	ds_read2_b32 v[130:131], v120 offset1:1
	v_add_u32_e32 v120, 0x1088, v169
	v_and_b32_e32 v190, 0xf0f0f0f, v132
	v_and_b32_e32 v191, 0xf0f0f0f, v133
	;; [unrolled: 1-line block ×3, first 2 shown]
	v_lshrrev_b32_e32 v122, 4, v137
	ds_read2_b32 v[132:133], v120 offset1:1
	v_add_u32_e32 v120, 0x1090, v169
	v_and_b32_e32 v195, 0xf0f0f0f, v134
	v_and_b32_e32 v196, 0xf0f0f0f, v135
	s_waitcnt lgkmcnt(2)
	v_cvt_f32_ubyte0_e32 v118, v116
	v_and_b32_e32 v218, 0xf0f0f0f, v122
	v_cvt_f32_ubyte1_e32 v122, v116
	v_add3_u32 v116, v153, s17, v114
	ds_read2_b32 v[134:135], v120 offset1:1
	v_add_u32_e32 v120, 0x1098, v169
	v_and_b32_e32 v198, 0xf0f0f0f, v136
	v_and_b32_e32 v199, 0xf0f0f0f, v137
	ds_read2_b32 v[136:137], v120 offset1:1
	ds_read_u16 v124, v116 offset:25600
	ds_read_u16 v116, v116 offset:25608
	s_waitcnt lgkmcnt(5)
	v_lshrrev_b32_e32 v126, 4, v130
	v_and_b32_e32 v207, 0xf0f0f0f, v126
	v_lshrrev_b32_e32 v126, 4, v131
	s_waitcnt lgkmcnt(1)
	v_and_b32_e32 v203, 0xff, v124
	v_lshrrev_b16_e32 v228, 8, v124
	v_add_u32_e32 v124, 0x2100, v169
	v_and_b32_e32 v187, 0xf0f0f0f, v130
	v_and_b32_e32 v192, 0xf0f0f0f, v131
	v_and_b32_e32 v220, 0xf0f0f0f, v126
	v_lshrrev_b32_e32 v126, 4, v132
	ds_read2_b32 v[130:131], v124 offset1:1
	v_and_b32_e32 v223, 0xf0f0f0f, v126
	v_lshrrev_b32_e32 v126, 4, v133
	v_add_u32_e32 v124, 0x2108, v169
	v_and_b32_e32 v193, 0xf0f0f0f, v132
	v_and_b32_e32 v194, 0xf0f0f0f, v133
	v_and_b32_e32 v224, 0xf0f0f0f, v126
	v_lshrrev_b32_e32 v126, 4, v134
	ds_read2_b32 v[132:133], v124 offset1:1
	v_and_b32_e32 v227, 0xf0f0f0f, v126
	v_lshrrev_b32_e32 v126, 4, v135
	;; [unrolled: 8-line block ×3, first 2 shown]
	s_waitcnt lgkmcnt(2)
	v_and_b32_e32 v206, 0xf0f0f0f, v130
	v_add_u32_e32 v124, 0x2118, v169
	v_lshrrev_b32_e32 v130, 4, v130
	v_and_b32_e32 v204, 0xf0f0f0f, v136
	v_and_b32_e32 v205, 0xf0f0f0f, v137
	v_cvt_f32_ubyte0_e32 v120, v116
	v_and_b32_e32 v232, 0xf0f0f0f, v126
	v_cvt_f32_ubyte1_e32 v126, v116
	v_add3_u32 v116, v152, s17, v114
	ds_read2_b32 v[136:137], v124 offset1:1
	v_and_b32_e32 v231, 0xf0f0f0f, v130
	v_lshrrev_b32_e32 v130, 4, v131
	ds_read_u16 v128, v116 offset:26112
	ds_read_u16 v116, v116 offset:26120
	v_and_b32_e32 v234, 0xf0f0f0f, v130
	s_waitcnt lgkmcnt(4)
	v_lshrrev_b32_e32 v130, 4, v132
	v_and_b32_e32 v235, 0xf0f0f0f, v130
	v_lshrrev_b32_e32 v130, 4, v133
	v_and_b32_e32 v236, 0xf0f0f0f, v130
	s_waitcnt lgkmcnt(3)
	v_lshrrev_b32_e32 v130, 4, v134
	v_and_b32_e32 v237, 0xf0f0f0f, v130
	v_lshrrev_b32_e32 v130, 4, v135
	v_and_b32_e32 v239, 0xf0f0f0f, v130
	s_waitcnt lgkmcnt(2)
	v_lshrrev_b32_e32 v130, 4, v136
	s_waitcnt lgkmcnt(1)
	v_and_b32_e32 v219, 0xff, v128
	s_waitcnt lgkmcnt(0)
	v_cvt_f32_ubyte0_e32 v124, v116
	v_and_b32_e32 v240, 0xf0f0f0f, v130
	v_lshrrev_b32_e32 v130, 4, v137
	v_lshrrev_b16_e32 v238, 8, v128
	v_cvt_f32_ubyte1_e32 v128, v116
	v_add_u32_e32 v116, 0x3180, v169
	v_and_b32_e32 v208, 0xf0f0f0f, v131
	v_and_b32_e32 v241, 0xf0f0f0f, v130
	ds_read2_b32 v[130:131], v116 offset1:1
	v_mov_b32_e32 v242, 0
	v_mov_b32_e32 v243, 0
	;; [unrolled: 1-line block ×4, first 2 shown]
	s_waitcnt lgkmcnt(0)
	v_and_b32_e32 v233, 0xf0f0f0f, v130
	v_dot4c_i32_i8_e32 v242, v188, v12
	v_dot4c_i32_i8_e32 v243, v187, v12
	;; [unrolled: 1-line block ×4, first 2 shown]
	v_and_b32_e32 v189, 0xf0f0f0f, v131
	v_add_u32_e32 v12, 0x3188, v169
	v_dot4c_i32_i8_e32 v242, v186, v13
	v_dot4c_i32_i8_e32 v243, v192, v13
	;; [unrolled: 1-line block ×4, first 2 shown]
	ds_read2_b32 v[12:13], v12 offset1:1
	v_and_b32_e32 v213, 0xf0f0f0f, v132
	v_dot4c_i32_i8_e32 v242, v190, v14
	v_dot4c_i32_i8_e32 v243, v193, v14
	;; [unrolled: 1-line block ×3, first 2 shown]
	s_waitcnt lgkmcnt(0)
	v_and_b32_e32 v181, 0xf0f0f0f, v12
	v_and_b32_e32 v215, 0xf0f0f0f, v133
	v_dot4c_i32_i8_e32 v247, v181, v14
	v_and_b32_e32 v180, 0xf0f0f0f, v13
	v_add_u32_e32 v14, 0x3190, v169
	v_dot4c_i32_i8_e32 v242, v191, v15
	v_dot4c_i32_i8_e32 v243, v194, v15
	;; [unrolled: 1-line block ×4, first 2 shown]
	ds_read2_b32 v[14:15], v14 offset1:1
	v_and_b32_e32 v221, 0xf0f0f0f, v134
	v_dot4c_i32_i8_e32 v242, v195, v8
	v_dot4c_i32_i8_e32 v243, v200, v8
	;; [unrolled: 1-line block ×3, first 2 shown]
	s_waitcnt lgkmcnt(0)
	v_and_b32_e32 v182, 0xf0f0f0f, v14
	v_and_b32_e32 v222, 0xf0f0f0f, v135
	v_dot4c_i32_i8_e32 v247, v182, v8
	v_and_b32_e32 v183, 0xf0f0f0f, v15
	v_add_u32_e32 v8, 0x3198, v169
	v_dot4c_i32_i8_e32 v242, v196, v9
	v_dot4c_i32_i8_e32 v243, v201, v9
	;; [unrolled: 1-line block ×4, first 2 shown]
	ds_read2_b32 v[8:9], v8 offset1:1
	v_and_b32_e32 v225, 0xf0f0f0f, v136
	v_dot4c_i32_i8_e32 v242, v198, v10
	v_dot4c_i32_i8_e32 v243, v204, v10
	;; [unrolled: 1-line block ×3, first 2 shown]
	s_waitcnt lgkmcnt(0)
	v_and_b32_e32 v184, 0xf0f0f0f, v8
	v_and_b32_e32 v226, 0xf0f0f0f, v137
	v_add3_u32 v114, v151, s17, v114
	v_dot4c_i32_i8_e32 v247, v184, v10
	v_and_b32_e32 v185, 0xf0f0f0f, v9
	v_dot4c_i32_i8_e32 v242, v199, v11
	v_dot4c_i32_i8_e32 v243, v205, v11
	;; [unrolled: 1-line block ×4, first 2 shown]
	ds_read_u16 v10, v114 offset:26624
	ds_read_u16 v11, v114 offset:26632
	v_lshrrev_b32_e32 v114, 4, v130
	v_mov_b32_e32 v244, 0
	v_mov_b32_e32 v246, 0
	v_mov_b32_e32 v248, 0
	v_and_b32_e32 v177, 0xf0f0f0f, v114
	v_mov_b32_e32 v249, 0
	v_dot4c_i32_i8_e32 v244, v202, v4
	v_dot4c_i32_i8_e32 v246, v207, v4
	v_dot4c_i32_i8_e32 v248, v231, v4
	v_dot4c_i32_i8_e32 v249, v177, v4
	v_lshrrev_b32_e32 v4, 4, v131
	v_and_b32_e32 v179, 0xf0f0f0f, v4
	v_lshrrev_b32_e32 v4, 4, v12
	v_dot4c_i32_i8_e32 v244, v210, v5
	v_dot4c_i32_i8_e32 v246, v220, v5
	v_dot4c_i32_i8_e32 v248, v234, v5
	v_dot4c_i32_i8_e32 v249, v179, v5
	v_and_b32_e32 v178, 0xf0f0f0f, v4
	v_lshrrev_b32_e32 v4, 4, v13
	v_dot4c_i32_i8_e32 v244, v211, v6
	v_dot4c_i32_i8_e32 v246, v223, v6
	v_dot4c_i32_i8_e32 v248, v235, v6
	v_dot4c_i32_i8_e32 v249, v178, v6
	;; [unrolled: 6-line block ×3, first 2 shown]
	v_and_b32_e32 v173, 0xf0f0f0f, v4
	v_dot4c_i32_i8_e32 v244, v214, v0
	v_dot4c_i32_i8_e32 v246, v227, v0
	;; [unrolled: 1-line block ×4, first 2 shown]
	v_lshrrev_b32_e32 v0, 4, v15
	v_and_b32_e32 v174, 0xf0f0f0f, v0
	v_lshrrev_b32_e32 v0, 4, v8
	v_dot4c_i32_i8_e32 v244, v216, v1
	v_dot4c_i32_i8_e32 v246, v229, v1
	;; [unrolled: 1-line block ×4, first 2 shown]
	v_and_b32_e32 v175, 0xf0f0f0f, v0
	v_lshrrev_b32_e32 v0, 4, v9
	v_dot4c_i32_i8_e32 v244, v217, v2
	v_dot4c_i32_i8_e32 v246, v230, v2
	;; [unrolled: 1-line block ×4, first 2 shown]
	v_and_b32_e32 v176, 0xf0f0f0f, v0
	v_dot4c_i32_i8_e32 v244, v218, v3
	v_dot4c_i32_i8_e32 v246, v232, v3
	;; [unrolled: 1-line block ×3, first 2 shown]
	s_waitcnt lgkmcnt(1)
	v_and_b32_e32 v171, 0xff, v10
	s_waitcnt lgkmcnt(0)
	v_cvt_f32_ubyte0_e32 v116, v11
	v_dot4c_i32_i8_e32 v249, v176, v3
	v_lshrrev_b16_e32 v170, 8, v10
	v_cvt_f32_ubyte1_e32 v114, v11
	ds_read_b128 v[12:15], v167 offset:1024
	ds_read_b128 v[8:11], v167 offset:1040
	;; [unrolled: 1-line block ×4, first 2 shown]
	v_mov_b32_e32 v254, 0
	s_waitcnt lgkmcnt(3)
	v_dot4c_i32_i8_e32 v254, v188, v12
	v_dot4c_i32_i8_e32 v254, v186, v13
	v_mov_b32_e32 v255, 0
	v_dot4c_i32_i8_e32 v254, v190, v14
	s_waitcnt lgkmcnt(1)
	v_dot4c_i32_i8_e32 v255, v202, v4
	v_dot4c_i32_i8_e32 v254, v191, v15
	;; [unrolled: 1-line block ×3, first 2 shown]
	ds_read2_b64 v[250:253], v168 offset1:16
	v_dot4c_i32_i8_e32 v254, v195, v8
	v_dot4c_i32_i8_e32 v255, v211, v6
	;; [unrolled: 1-line block ×5, first 2 shown]
	s_waitcnt lgkmcnt(1)
	v_dot4c_i32_i8_e32 v255, v214, v0
	v_dot4c_i32_i8_e32 v254, v199, v11
	;; [unrolled: 1-line block ×4, first 2 shown]
	s_waitcnt lgkmcnt(0)
	v_cvt_f32_f16_e32 v134, v250
	v_cvt_f32_f16_sdwa v136, v250 dst_sel:DWORD dst_unused:UNUSED_PAD src0_sel:WORD_1
	v_mul_lo_u32 v242, v242, v197
	v_mul_lo_u32 v250, v254, v197
	v_dot4c_i32_i8_e32 v255, v218, v3
	v_cvt_f32_f16_e32 v130, v251
	v_cvt_f32_f16_sdwa v132, v251 dst_sel:DWORD dst_unused:UNUSED_PAD src0_sel:WORD_1
	v_cvt_f32_i32_e32 v251, v250
	v_cvt_f32_i32_e32 v250, v242
	v_mul_lo_u32 v242, v244, v209
	v_mul_lo_u32 v244, v255, v209
	v_cvt_f32_i32_e32 v254, v242
	v_mov_b32_e32 v242, 0
	v_cvt_f32_f16_sdwa v137, v252 dst_sel:DWORD dst_unused:UNUSED_PAD src0_sel:WORD_1
	v_cvt_f32_i32_e32 v255, v244
	v_dot4c_i32_i8_e32 v242, v187, v12
	v_mov_b32_e32 v244, 0
	v_cvt_f32_f16_e32 v135, v252
	v_cvt_f32_f16_sdwa v133, v253 dst_sel:DWORD dst_unused:UNUSED_PAD src0_sel:WORD_1
	v_dot4c_i32_i8_e32 v242, v192, v13
	v_dot4c_i32_i8_e32 v244, v207, v4
	v_cvt_f32_f16_e32 v131, v253
	v_dot4c_i32_i8_e32 v242, v193, v14
	v_dot4c_i32_i8_e32 v244, v220, v5
	;; [unrolled: 1-line block ×4, first 2 shown]
	v_pk_fma_f32 v[252:253], v[118:119], v[136:137], 0 op_sel_hi:[0,1,0]
	v_dot4c_i32_i8_e32 v242, v200, v8
	v_dot4c_i32_i8_e32 v244, v224, v7
	v_pk_fma_f32 v[250:251], v[134:135], v[250:251], 0 op_sel_hi:[1,1,0]
	v_pk_fma_f32 v[252:253], v[122:123], v[132:133], v[252:253] op_sel_hi:[0,1,1]
	v_dot4c_i32_i8_e32 v242, v201, v9
	v_dot4c_i32_i8_e32 v244, v227, v0
	v_pk_fma_f32 v[250:251], v[130:131], v[254:255], v[250:251]
	v_pk_mul_f32 v[252:253], v[252:253], v[100:101]
	v_dot4c_i32_i8_e32 v242, v204, v10
	v_dot4c_i32_i8_e32 v244, v229, v1
	v_pk_fma_f32 v[250:251], v[250:251], v[98:99], v[252:253] neg_lo:[0,0,1] neg_hi:[0,0,1]
	v_dot4c_i32_i8_e32 v242, v205, v11
	v_dot4c_i32_i8_e32 v244, v230, v2
	v_pk_add_f32 v[48:49], v[48:49], v[250:251]
	v_dot4c_i32_i8_e32 v244, v232, v3
	v_mul_lo_u32 v250, v243, v203
	v_mul_lo_u32 v242, v242, v203
	v_cvt_f32_i32_e32 v243, v242
	v_cvt_f32_i32_e32 v242, v250
	v_mul_lo_u32 v246, v246, v228
	v_mul_lo_u32 v244, v244, v228
	v_cvt_f32_i32_e32 v253, v244
	v_cvt_f32_i32_e32 v252, v246
	v_pk_fma_f32 v[250:251], v[120:121], v[136:137], 0 op_sel_hi:[0,1,0]
	v_pk_fma_f32 v[242:243], v[134:135], v[242:243], 0 op_sel_hi:[1,1,0]
	;; [unrolled: 1-line block ×3, first 2 shown]
	v_pk_fma_f32 v[242:243], v[130:131], v[252:253], v[242:243]
	v_pk_mul_f32 v[250:251], v[250:251], v[104:105]
	v_mov_b32_e32 v246, 0
	v_pk_fma_f32 v[242:243], v[242:243], v[102:103], v[250:251] neg_lo:[0,0,1] neg_hi:[0,0,1]
	v_dot4c_i32_i8_e32 v246, v231, v4
	v_pk_add_f32 v[50:51], v[50:51], v[242:243]
	v_mov_b32_e32 v242, 0
	v_dot4c_i32_i8_e32 v242, v206, v12
	v_dot4c_i32_i8_e32 v242, v208, v13
	;; [unrolled: 1-line block ×15, first 2 shown]
	v_mul_lo_u32 v244, v245, v219
	v_mul_lo_u32 v242, v242, v219
	v_cvt_f32_i32_e32 v243, v242
	v_cvt_f32_i32_e32 v242, v244
	v_mul_lo_u32 v248, v248, v238
	v_mul_lo_u32 v246, v246, v238
	v_cvt_f32_i32_e32 v251, v246
	v_cvt_f32_i32_e32 v250, v248
	v_pk_fma_f32 v[244:245], v[124:125], v[136:137], 0 op_sel_hi:[0,1,0]
	v_pk_fma_f32 v[242:243], v[134:135], v[242:243], 0 op_sel_hi:[1,1,0]
	;; [unrolled: 1-line block ×3, first 2 shown]
	v_pk_fma_f32 v[242:243], v[130:131], v[250:251], v[242:243]
	v_pk_mul_f32 v[244:245], v[244:245], v[108:109]
	v_mov_b32_e32 v252, 0
	v_pk_fma_f32 v[242:243], v[242:243], v[106:107], v[244:245] neg_lo:[0,0,1] neg_hi:[0,0,1]
	v_mov_b32_e32 v246, 0
	v_pk_add_f32 v[42:43], v[42:43], v[242:243]
	v_mov_b32_e32 v242, 0
	v_dot4c_i32_i8_e32 v242, v233, v12
	v_dot4c_i32_i8_e32 v242, v189, v13
	v_dot4c_i32_i8_e32 v242, v181, v14
	v_dot4c_i32_i8_e32 v242, v180, v15
	v_dot4c_i32_i8_e32 v242, v182, v8
	v_mov_b32_e32 v8, 0
	v_dot4c_i32_i8_e32 v8, v177, v4
	v_dot4c_i32_i8_e32 v8, v179, v5
	;; [unrolled: 1-line block ×11, first 2 shown]
	v_mul_lo_u32 v0, v247, v171
	v_mul_lo_u32 v1, v242, v171
	v_cvt_f32_i32_e32 v1, v1
	v_cvt_f32_i32_e32 v0, v0
	v_mul_lo_u32 v4, v249, v170
	v_mul_lo_u32 v5, v8, v170
	v_cvt_f32_i32_e32 v5, v5
	v_cvt_f32_i32_e32 v4, v4
	v_pk_fma_f32 v[2:3], v[116:117], v[136:137], 0 op_sel_hi:[0,1,0]
	v_pk_fma_f32 v[0:1], v[134:135], v[0:1], 0 op_sel_hi:[1,1,0]
	;; [unrolled: 1-line block ×3, first 2 shown]
	v_pk_fma_f32 v[0:1], v[130:131], v[4:5], v[0:1]
	v_pk_mul_f32 v[2:3], v[2:3], v[112:113]
	v_mov_b32_e32 v247, 0
	v_pk_fma_f32 v[0:1], v[0:1], v[110:111], v[2:3] neg_lo:[0,0,1] neg_hi:[0,0,1]
	v_mov_b32_e32 v254, 0
	v_pk_add_f32 v[40:41], v[40:41], v[0:1]
	ds_read_b128 v[12:15], v167 offset:2048
	ds_read_b128 v[8:11], v167 offset:2064
	;; [unrolled: 1-line block ×4, first 2 shown]
	v_mov_b32_e32 v244, 0
	v_mov_b32_e32 v245, 0
	;; [unrolled: 1-line block ×4, first 2 shown]
	s_waitcnt lgkmcnt(3)
	v_dot4c_i32_i8_e32 v247, v188, v12
	s_waitcnt lgkmcnt(1)
	v_dot4c_i32_i8_e32 v252, v202, v4
	v_dot4c_i32_i8_e32 v246, v187, v12
	;; [unrolled: 1-line block ×32, first 2 shown]
	s_waitcnt lgkmcnt(0)
	v_dot4c_i32_i8_e32 v252, v214, v0
	v_dot4c_i32_i8_e32 v246, v200, v8
	;; [unrolled: 1-line block ×31, first 2 shown]
	ds_read_b128 v[12:15], v167 offset:3072
	ds_read_b128 v[8:11], v167 offset:3088
	;; [unrolled: 1-line block ×4, first 2 shown]
	v_mov_b32_e32 v253, 0
	s_waitcnt lgkmcnt(3)
	v_dot4c_i32_i8_e32 v253, v188, v12
	v_mov_b32_e32 v255, 0
	v_dot4c_i32_i8_e32 v253, v186, v13
	s_waitcnt lgkmcnt(1)
	v_dot4c_i32_i8_e32 v255, v202, v4
	v_dot4c_i32_i8_e32 v253, v190, v14
	;; [unrolled: 1-line block ×5, first 2 shown]
	ds_read2_b64 v[248:251], v168 offset0:32 offset1:48
	v_dot4c_i32_i8_e32 v253, v195, v8
	v_dot4c_i32_i8_e32 v255, v212, v7
	;; [unrolled: 1-line block ×3, first 2 shown]
	s_waitcnt lgkmcnt(1)
	v_dot4c_i32_i8_e32 v255, v214, v0
	v_dot4c_i32_i8_e32 v253, v198, v10
	;; [unrolled: 1-line block ×6, first 2 shown]
	s_waitcnt lgkmcnt(0)
	v_cvt_f32_f16_e32 v134, v248
	v_cvt_f32_f16_sdwa v137, v250 dst_sel:DWORD dst_unused:UNUSED_PAD src0_sel:WORD_1
	v_cvt_f32_f16_sdwa v136, v248 dst_sel:DWORD dst_unused:UNUSED_PAD src0_sel:WORD_1
	v_mul_lo_u32 v247, v247, v197
	v_mul_lo_u32 v248, v253, v197
	v_cvt_f32_f16_e32 v135, v250
	v_cvt_f32_f16_e32 v130, v249
	v_cvt_f32_f16_sdwa v133, v251 dst_sel:DWORD dst_unused:UNUSED_PAD src0_sel:WORD_1
	v_cvt_f32_f16_sdwa v132, v249 dst_sel:DWORD dst_unused:UNUSED_PAD src0_sel:WORD_1
	v_cvt_f32_i32_e32 v249, v248
	v_cvt_f32_i32_e32 v248, v247
	v_mul_lo_u32 v247, v252, v209
	v_mul_lo_u32 v252, v255, v209
	v_cvt_f32_f16_e32 v131, v251
	v_cvt_f32_i32_e32 v253, v252
	v_cvt_f32_i32_e32 v252, v247
	v_pk_fma_f32 v[250:251], v[118:119], v[136:137], 0 op_sel_hi:[0,1,0]
	v_pk_fma_f32 v[248:249], v[248:249], v[134:135], 0 op_sel_hi:[1,1,0]
	;; [unrolled: 1-line block ×3, first 2 shown]
	v_pk_fma_f32 v[248:249], v[252:253], v[130:131], v[248:249]
	v_pk_mul_f32 v[250:251], v[250:251], v[100:101]
	v_mov_b32_e32 v247, 0
	v_pk_fma_f32 v[248:249], v[248:249], v[98:99], v[250:251] neg_lo:[0,0,1] neg_hi:[0,0,1]
	v_dot4c_i32_i8_e32 v247, v187, v12
	v_mov_b32_e32 v250, 0
	v_dot4c_i32_i8_e32 v247, v192, v13
	v_dot4c_i32_i8_e32 v250, v207, v4
	;; [unrolled: 1-line block ×15, first 2 shown]
	v_mul_lo_u32 v246, v246, v203
	v_mul_lo_u32 v247, v247, v203
	v_cvt_f32_i32_e32 v247, v247
	v_cvt_f32_i32_e32 v246, v246
	v_mul_lo_u32 v252, v254, v228
	v_mul_lo_u32 v250, v250, v228
	v_cvt_f32_i32_e32 v251, v250
	v_cvt_f32_i32_e32 v250, v252
	v_pk_add_f32 v[38:39], v[38:39], v[248:249]
	v_pk_fma_f32 v[248:249], v[120:121], v[136:137], 0 op_sel_hi:[0,1,0]
	v_pk_fma_f32 v[246:247], v[246:247], v[134:135], 0 op_sel_hi:[1,1,0]
	;; [unrolled: 1-line block ×3, first 2 shown]
	v_pk_fma_f32 v[246:247], v[250:251], v[130:131], v[246:247]
	v_pk_mul_f32 v[248:249], v[248:249], v[104:105]
	v_mov_b32_e32 v250, 0
	v_pk_fma_f32 v[246:247], v[246:247], v[102:103], v[248:249] neg_lo:[0,0,1] neg_hi:[0,0,1]
	v_dot4c_i32_i8_e32 v250, v231, v4
	v_pk_add_f32 v[36:37], v[36:37], v[246:247]
	v_mov_b32_e32 v246, 0
	v_dot4c_i32_i8_e32 v246, v206, v12
	v_dot4c_i32_i8_e32 v246, v208, v13
	;; [unrolled: 1-line block ×15, first 2 shown]
	v_mul_lo_u32 v244, v244, v219
	v_mul_lo_u32 v246, v246, v219
	v_cvt_f32_i32_e32 v247, v246
	v_cvt_f32_i32_e32 v246, v244
	v_mul_lo_u32 v244, v245, v238
	v_mul_lo_u32 v245, v250, v238
	v_cvt_f32_i32_e32 v245, v245
	v_cvt_f32_i32_e32 v244, v244
	v_pk_fma_f32 v[246:247], v[246:247], v[134:135], 0 op_sel_hi:[1,1,0]
	v_pk_fma_f32 v[248:249], v[124:125], v[136:137], 0 op_sel_hi:[0,1,0]
	v_mov_b32_e32 v254, 0
	v_pk_fma_f32 v[244:245], v[244:245], v[130:131], v[246:247]
	v_pk_fma_f32 v[246:247], v[128:129], v[132:133], v[248:249] op_sel_hi:[0,1,1]
	v_pk_mul_f32 v[246:247], v[246:247], v[108:109]
	v_mov_b32_e32 v248, 0
	v_pk_fma_f32 v[244:245], v[244:245], v[106:107], v[246:247] neg_lo:[0,0,1] neg_hi:[0,0,1]
	v_mov_b32_e32 v249, 0
	v_pk_add_f32 v[34:35], v[34:35], v[244:245]
	v_mov_b32_e32 v244, 0
	v_dot4c_i32_i8_e32 v244, v233, v12
	v_dot4c_i32_i8_e32 v244, v189, v13
	;; [unrolled: 1-line block ×5, first 2 shown]
	v_mov_b32_e32 v8, 0
	v_dot4c_i32_i8_e32 v8, v177, v4
	v_dot4c_i32_i8_e32 v8, v179, v5
	;; [unrolled: 1-line block ×11, first 2 shown]
	v_mul_lo_u32 v0, v242, v171
	v_mul_lo_u32 v1, v244, v171
	v_cvt_f32_i32_e32 v1, v1
	v_cvt_f32_i32_e32 v0, v0
	v_mul_lo_u32 v4, v243, v170
	v_mul_lo_u32 v5, v8, v170
	v_cvt_f32_i32_e32 v5, v5
	v_cvt_f32_i32_e32 v4, v4
	v_pk_fma_f32 v[2:3], v[116:117], v[136:137], 0 op_sel_hi:[0,1,0]
	v_pk_fma_f32 v[0:1], v[0:1], v[134:135], 0 op_sel_hi:[1,1,0]
	;; [unrolled: 1-line block ×3, first 2 shown]
	v_pk_fma_f32 v[0:1], v[4:5], v[130:131], v[0:1]
	v_pk_mul_f32 v[2:3], v[2:3], v[112:113]
	v_mov_b32_e32 v246, 0
	v_pk_fma_f32 v[0:1], v[0:1], v[110:111], v[2:3] neg_lo:[0,0,1] neg_hi:[0,0,1]
	v_mov_b32_e32 v247, 0
	v_pk_add_f32 v[32:33], v[32:33], v[0:1]
	ds_read_b128 v[12:15], v167 offset:4096
	ds_read_b128 v[8:11], v167 offset:4112
	;; [unrolled: 1-line block ×4, first 2 shown]
	v_mov_b32_e32 v244, 0
	v_mov_b32_e32 v245, 0
	;; [unrolled: 1-line block ×4, first 2 shown]
	s_waitcnt lgkmcnt(3)
	v_dot4c_i32_i8_e32 v248, v188, v12
	s_waitcnt lgkmcnt(1)
	v_dot4c_i32_i8_e32 v249, v202, v4
	v_dot4c_i32_i8_e32 v246, v187, v12
	v_dot4c_i32_i8_e32 v247, v207, v4
	v_dot4c_i32_i8_e32 v244, v206, v12
	v_dot4c_i32_i8_e32 v245, v231, v4
	v_dot4c_i32_i8_e32 v242, v233, v12
	v_dot4c_i32_i8_e32 v243, v177, v4
	v_dot4c_i32_i8_e32 v248, v186, v13
	v_dot4c_i32_i8_e32 v249, v210, v5
	v_dot4c_i32_i8_e32 v246, v192, v13
	v_dot4c_i32_i8_e32 v247, v220, v5
	v_dot4c_i32_i8_e32 v244, v208, v13
	v_dot4c_i32_i8_e32 v245, v234, v5
	v_dot4c_i32_i8_e32 v242, v189, v13
	v_dot4c_i32_i8_e32 v243, v179, v5
	v_dot4c_i32_i8_e32 v248, v190, v14
	v_dot4c_i32_i8_e32 v249, v211, v6
	v_dot4c_i32_i8_e32 v246, v193, v14
	v_dot4c_i32_i8_e32 v247, v223, v6
	v_dot4c_i32_i8_e32 v244, v213, v14
	v_dot4c_i32_i8_e32 v245, v235, v6
	v_dot4c_i32_i8_e32 v242, v181, v14
	v_dot4c_i32_i8_e32 v243, v178, v6
	v_dot4c_i32_i8_e32 v248, v191, v15
	v_dot4c_i32_i8_e32 v249, v212, v7
	v_dot4c_i32_i8_e32 v246, v194, v15
	v_dot4c_i32_i8_e32 v247, v224, v7
	v_dot4c_i32_i8_e32 v244, v215, v15
	v_dot4c_i32_i8_e32 v245, v236, v7
	v_dot4c_i32_i8_e32 v242, v180, v15
	v_dot4c_i32_i8_e32 v243, v172, v7
	v_dot4c_i32_i8_e32 v248, v195, v8
	s_waitcnt lgkmcnt(0)
	v_dot4c_i32_i8_e32 v249, v214, v0
	v_dot4c_i32_i8_e32 v246, v200, v8
	;; [unrolled: 1-line block ×31, first 2 shown]
	ds_read_b128 v[12:15], v167 offset:5120
	ds_read_b128 v[8:11], v167 offset:5136
	;; [unrolled: 1-line block ×4, first 2 shown]
	v_mov_b32_e32 v255, 0
	s_waitcnt lgkmcnt(3)
	v_dot4c_i32_i8_e32 v254, v188, v12
	v_dot4c_i32_i8_e32 v254, v186, v13
	s_waitcnt lgkmcnt(1)
	v_dot4c_i32_i8_e32 v255, v202, v4
	v_dot4c_i32_i8_e32 v254, v190, v14
	;; [unrolled: 1-line block ×5, first 2 shown]
	ds_read2_b64 v[250:253], v168 offset0:64 offset1:80
	v_dot4c_i32_i8_e32 v254, v195, v8
	v_dot4c_i32_i8_e32 v255, v212, v7
	;; [unrolled: 1-line block ×3, first 2 shown]
	s_waitcnt lgkmcnt(1)
	v_dot4c_i32_i8_e32 v255, v214, v0
	v_dot4c_i32_i8_e32 v254, v198, v10
	;; [unrolled: 1-line block ×6, first 2 shown]
	s_waitcnt lgkmcnt(0)
	v_cvt_f32_f16_e32 v134, v250
	v_cvt_f32_f16_sdwa v136, v250 dst_sel:DWORD dst_unused:UNUSED_PAD src0_sel:WORD_1
	v_mul_lo_u32 v248, v248, v197
	v_mul_lo_u32 v250, v254, v197
	v_cvt_f32_f16_e32 v135, v252
	v_cvt_f32_f16_sdwa v137, v252 dst_sel:DWORD dst_unused:UNUSED_PAD src0_sel:WORD_1
	v_cvt_f32_f16_e32 v130, v251
	v_cvt_f32_f16_sdwa v132, v251 dst_sel:DWORD dst_unused:UNUSED_PAD src0_sel:WORD_1
	v_cvt_f32_i32_e32 v251, v250
	v_cvt_f32_i32_e32 v250, v248
	v_mul_lo_u32 v248, v249, v209
	v_mul_lo_u32 v249, v255, v209
	v_cvt_f32_f16_e32 v131, v253
	v_cvt_f32_f16_sdwa v133, v253 dst_sel:DWORD dst_unused:UNUSED_PAD src0_sel:WORD_1
	v_cvt_f32_i32_e32 v249, v249
	v_cvt_f32_i32_e32 v248, v248
	v_pk_fma_f32 v[250:251], v[250:251], v[134:135], 0 op_sel_hi:[1,1,0]
	v_pk_fma_f32 v[252:253], v[118:119], v[136:137], 0 op_sel_hi:[0,1,0]
	v_mul_lo_u32 v246, v246, v203
	v_pk_fma_f32 v[248:249], v[248:249], v[130:131], v[250:251]
	v_pk_fma_f32 v[250:251], v[122:123], v[132:133], v[252:253] op_sel_hi:[0,1,1]
	v_pk_mul_f32 v[250:251], v[250:251], v[100:101]
	v_mov_b32_e32 v252, 0
	v_pk_fma_f32 v[248:249], v[248:249], v[98:99], v[250:251] neg_lo:[0,0,1] neg_hi:[0,0,1]
	v_dot4c_i32_i8_e32 v252, v207, v4
	v_pk_add_f32 v[30:31], v[30:31], v[248:249]
	v_mov_b32_e32 v248, 0
	v_dot4c_i32_i8_e32 v248, v187, v12
	v_dot4c_i32_i8_e32 v248, v192, v13
	;; [unrolled: 1-line block ×15, first 2 shown]
	v_pk_fma_f32 v[250:251], v[120:121], v[136:137], 0 op_sel_hi:[0,1,0]
	v_mul_lo_u32 v248, v248, v203
	v_cvt_f32_i32_e32 v249, v248
	v_cvt_f32_i32_e32 v248, v246
	v_mul_lo_u32 v246, v247, v228
	v_mul_lo_u32 v247, v252, v228
	v_cvt_f32_i32_e32 v247, v247
	v_cvt_f32_i32_e32 v246, v246
	v_pk_fma_f32 v[248:249], v[248:249], v[134:135], 0 op_sel_hi:[1,1,0]
	v_mul_lo_u32 v244, v244, v219
	v_mov_b32_e32 v254, 0
	v_pk_fma_f32 v[246:247], v[246:247], v[130:131], v[248:249]
	v_pk_fma_f32 v[248:249], v[126:127], v[132:133], v[250:251] op_sel_hi:[0,1,1]
	v_pk_mul_f32 v[248:249], v[248:249], v[104:105]
	v_mov_b32_e32 v250, 0
	v_pk_fma_f32 v[246:247], v[246:247], v[102:103], v[248:249] neg_lo:[0,0,1] neg_hi:[0,0,1]
	v_dot4c_i32_i8_e32 v250, v231, v4
	v_pk_add_f32 v[28:29], v[28:29], v[246:247]
	v_mov_b32_e32 v246, 0
	v_dot4c_i32_i8_e32 v246, v206, v12
	v_dot4c_i32_i8_e32 v246, v208, v13
	;; [unrolled: 1-line block ×15, first 2 shown]
	v_pk_fma_f32 v[248:249], v[124:125], v[136:137], 0 op_sel_hi:[0,1,0]
	v_mul_lo_u32 v246, v246, v219
	v_cvt_f32_i32_e32 v247, v246
	v_cvt_f32_i32_e32 v246, v244
	v_mul_lo_u32 v244, v245, v238
	v_mul_lo_u32 v245, v250, v238
	v_cvt_f32_i32_e32 v245, v245
	v_cvt_f32_i32_e32 v244, v244
	v_pk_fma_f32 v[246:247], v[246:247], v[134:135], 0 op_sel_hi:[1,1,0]
	s_add_i32 s0, s0, 8
	s_add_i32 s17, s16, 8
	v_pk_fma_f32 v[244:245], v[244:245], v[130:131], v[246:247]
	v_pk_fma_f32 v[246:247], v[128:129], v[132:133], v[248:249] op_sel_hi:[0,1,1]
	v_pk_mul_f32 v[246:247], v[246:247], v[108:109]
	v_mov_b32_e32 v248, 0
	v_pk_fma_f32 v[244:245], v[244:245], v[106:107], v[246:247] neg_lo:[0,0,1] neg_hi:[0,0,1]
	v_mov_b32_e32 v249, 0
	v_pk_add_f32 v[26:27], v[26:27], v[244:245]
	v_mov_b32_e32 v244, 0
	v_dot4c_i32_i8_e32 v244, v233, v12
	v_dot4c_i32_i8_e32 v244, v189, v13
	v_dot4c_i32_i8_e32 v244, v181, v14
	v_dot4c_i32_i8_e32 v244, v180, v15
	v_dot4c_i32_i8_e32 v244, v182, v8
	v_mov_b32_e32 v8, 0
	v_dot4c_i32_i8_e32 v8, v177, v4
	v_dot4c_i32_i8_e32 v8, v179, v5
	;; [unrolled: 1-line block ×11, first 2 shown]
	v_mul_lo_u32 v0, v242, v171
	v_mul_lo_u32 v1, v244, v171
	v_cvt_f32_i32_e32 v1, v1
	v_cvt_f32_i32_e32 v0, v0
	v_mul_lo_u32 v4, v243, v170
	v_mul_lo_u32 v5, v8, v170
	v_cvt_f32_i32_e32 v5, v5
	v_cvt_f32_i32_e32 v4, v4
	v_pk_fma_f32 v[2:3], v[116:117], v[136:137], 0 op_sel_hi:[0,1,0]
	v_pk_fma_f32 v[0:1], v[0:1], v[134:135], 0 op_sel_hi:[1,1,0]
	;; [unrolled: 1-line block ×3, first 2 shown]
	v_pk_fma_f32 v[0:1], v[4:5], v[130:131], v[0:1]
	v_pk_mul_f32 v[2:3], v[2:3], v[112:113]
	v_mov_b32_e32 v246, 0
	v_pk_fma_f32 v[0:1], v[0:1], v[110:111], v[2:3] neg_lo:[0,0,1] neg_hi:[0,0,1]
	v_mov_b32_e32 v247, 0
	v_pk_add_f32 v[24:25], v[24:25], v[0:1]
	ds_read_b128 v[8:11], v167 offset:6144
	ds_read_b128 v[12:15], v167 offset:6160
	ds_read_b128 v[4:7], v167 offset:6176
	ds_read_b128 v[0:3], v167 offset:6192
	v_mov_b32_e32 v244, 0
	v_mov_b32_e32 v245, 0
	;; [unrolled: 1-line block ×4, first 2 shown]
	s_waitcnt lgkmcnt(3)
	v_dot4c_i32_i8_e32 v248, v188, v8
	s_waitcnt lgkmcnt(1)
	v_dot4c_i32_i8_e32 v249, v202, v4
	v_dot4c_i32_i8_e32 v246, v187, v8
	;; [unrolled: 1-line block ×32, first 2 shown]
	s_waitcnt lgkmcnt(0)
	v_dot4c_i32_i8_e32 v249, v214, v0
	v_dot4c_i32_i8_e32 v246, v200, v12
	;; [unrolled: 1-line block ×31, first 2 shown]
	ds_read_b128 v[8:11], v167 offset:7168
	ds_read_b128 v[12:15], v167 offset:7184
	;; [unrolled: 1-line block ×4, first 2 shown]
	ds_read2_b64 v[250:253], v168 offset0:96 offset1:112
	s_waitcnt lgkmcnt(4)
	v_dot4c_i32_i8_e32 v254, v188, v8
	v_dot4c_i32_i8_e32 v254, v186, v9
	;; [unrolled: 1-line block ×4, first 2 shown]
	s_waitcnt lgkmcnt(3)
	v_dot4c_i32_i8_e32 v254, v195, v12
	s_waitcnt lgkmcnt(0)
	v_cvt_f32_f16_sdwa v135, v252 dst_sel:DWORD dst_unused:UNUSED_PAD src0_sel:WORD_1
	v_cvt_f32_f16_sdwa v134, v250 dst_sel:DWORD dst_unused:UNUSED_PAD src0_sel:WORD_1
	v_dot4c_i32_i8_e32 v254, v196, v13
	v_dot4c_i32_i8_e32 v254, v198, v14
	;; [unrolled: 1-line block ×3, first 2 shown]
	v_mov_b32_e32 v186, 0
	v_dot4c_i32_i8_e32 v186, v202, v4
	v_mul_lo_u32 v188, v248, v197
	v_mul_lo_u32 v190, v254, v197
	v_pk_fma_f32 v[196:197], v[118:119], v[134:135], 0 op_sel_hi:[0,1,0]
	v_mul_lo_u32 v118, v249, v209
	v_dot4c_i32_i8_e32 v186, v210, v5
	v_cvt_f32_i32_e32 v198, v118
	v_mov_b32_e32 v118, 0
	v_dot4c_i32_i8_e32 v186, v211, v6
	v_cvt_f32_f16_sdwa v131, v253 dst_sel:DWORD dst_unused:UNUSED_PAD src0_sel:WORD_1
	v_cvt_f32_f16_sdwa v130, v251 dst_sel:DWORD dst_unused:UNUSED_PAD src0_sel:WORD_1
	v_dot4c_i32_i8_e32 v118, v187, v8
	v_dot4c_i32_i8_e32 v186, v212, v7
	;; [unrolled: 1-line block ×8, first 2 shown]
	v_pk_fma_f32 v[196:197], v[122:123], v[130:131], v[196:197] op_sel_hi:[0,1,1]
	v_dot4c_i32_i8_e32 v118, v200, v12
	v_mov_b32_e32 v122, 0
	v_dot4c_i32_i8_e32 v186, v218, v3
	v_dot4c_i32_i8_e32 v118, v201, v13
	;; [unrolled: 1-line block ×3, first 2 shown]
	v_cvt_f32_f16_e32 v137, v252
	v_cvt_f32_f16_e32 v136, v250
	v_cvt_f32_i32_e32 v191, v190
	v_cvt_f32_i32_e32 v190, v188
	v_mul_lo_u32 v186, v186, v209
	v_dot4c_i32_i8_e32 v118, v204, v14
	v_dot4c_i32_i8_e32 v122, v220, v5
	v_cvt_f32_f16_e32 v133, v253
	v_cvt_f32_f16_e32 v132, v251
	v_cvt_f32_i32_e32 v199, v186
	v_dot4c_i32_i8_e32 v118, v205, v15
	v_dot4c_i32_i8_e32 v122, v223, v6
	;; [unrolled: 1-line block ×4, first 2 shown]
	v_mul_lo_u32 v118, v118, v203
	v_cvt_f32_i32_e32 v187, v118
	v_mul_lo_u32 v118, v247, v228
	v_pk_fma_f32 v[190:191], v[190:191], v[136:137], 0 op_sel_hi:[1,1,0]
	v_dot4c_i32_i8_e32 v122, v229, v1
	v_cvt_f32_i32_e32 v192, v118
	v_mov_b32_e32 v118, 0
	v_pk_fma_f32 v[190:191], v[198:199], v[132:133], v[190:191]
	v_pk_mul_f32 v[196:197], v[196:197], v[100:101]
	v_dot4c_i32_i8_e32 v122, v230, v2
	v_dot4c_i32_i8_e32 v118, v206, v8
	v_pk_fma_f32 v[190:191], v[190:191], v[98:99], v[196:197] neg_lo:[0,0,1] neg_hi:[0,0,1]
	v_dot4c_i32_i8_e32 v122, v232, v3
	v_mul_lo_u32 v186, v246, v203
	v_dot4c_i32_i8_e32 v118, v208, v9
	v_pk_add_f32 v[22:23], v[22:23], v[190:191]
	v_cvt_f32_i32_e32 v186, v186
	v_pk_fma_f32 v[190:191], v[120:121], v[134:135], 0 op_sel_hi:[0,1,0]
	v_mul_lo_u32 v120, v122, v228
	v_dot4c_i32_i8_e32 v118, v213, v10
	v_cvt_f32_i32_e32 v193, v120
	v_dot4c_i32_i8_e32 v118, v215, v11
	v_dot4c_i32_i8_e32 v118, v221, v12
	;; [unrolled: 1-line block ×3, first 2 shown]
	v_pk_fma_f32 v[186:187], v[186:187], v[136:137], 0 op_sel_hi:[1,1,0]
	v_pk_fma_f32 v[190:191], v[126:127], v[130:131], v[190:191] op_sel_hi:[0,1,1]
	v_dot4c_i32_i8_e32 v118, v225, v14
	v_pk_fma_f32 v[186:187], v[192:193], v[132:133], v[186:187]
	v_pk_mul_f32 v[190:191], v[190:191], v[104:105]
	v_dot4c_i32_i8_e32 v118, v226, v15
	v_pk_fma_f32 v[186:187], v[186:187], v[102:103], v[190:191] neg_lo:[0,0,1] neg_hi:[0,0,1]
	v_mov_b32_e32 v120, 0
	v_pk_add_f32 v[20:21], v[20:21], v[186:187]
	v_mul_lo_u32 v118, v118, v219
	v_cvt_f32_i32_e32 v187, v118
	v_mul_lo_u32 v118, v245, v238
	v_cvt_f32_i32_e32 v192, v118
	v_mov_b32_e32 v118, 0
	v_dot4c_i32_i8_e32 v118, v233, v8
	v_mov_b32_e32 v8, 0
	v_dot4c_i32_i8_e32 v120, v231, v4
	v_dot4c_i32_i8_e32 v118, v189, v9
	;; [unrolled: 1-line block ×22, first 2 shown]
	v_mul_lo_u32 v122, v244, v219
	v_dot4c_i32_i8_e32 v8, v176, v3
	v_mul_lo_u32 v0, v243, v171
	v_mul_lo_u32 v1, v118, v171
	v_cvt_f32_i32_e32 v186, v122
	v_mul_lo_u32 v120, v120, v238
	v_cvt_f32_i32_e32 v1, v1
	v_cvt_f32_i32_e32 v0, v0
	v_mul_lo_u32 v4, v242, v170
	v_mul_lo_u32 v5, v8, v170
	v_cvt_f32_i32_e32 v193, v120
	v_cvt_f32_i32_e32 v5, v5
	;; [unrolled: 1-line block ×3, first 2 shown]
	v_pk_fma_f32 v[190:191], v[124:125], v[134:135], 0 op_sel_hi:[0,1,0]
	v_pk_fma_f32 v[2:3], v[116:117], v[134:135], 0 op_sel_hi:[0,1,0]
	;; [unrolled: 1-line block ×6, first 2 shown]
	v_pk_fma_f32 v[186:187], v[192:193], v[132:133], v[186:187]
	v_pk_mul_f32 v[190:191], v[190:191], v[108:109]
	v_pk_fma_f32 v[0:1], v[4:5], v[132:133], v[0:1]
	v_pk_mul_f32 v[2:3], v[2:3], v[112:113]
	v_pk_fma_f32 v[186:187], v[186:187], v[106:107], v[190:191] neg_lo:[0,0,1] neg_hi:[0,0,1]
	v_pk_fma_f32 v[0:1], v[0:1], v[110:111], v[2:3] neg_lo:[0,0,1] neg_hi:[0,0,1]
	s_add_i32 s16, s16, 16
	s_add_i32 s1, s1, 2
	v_pk_add_f32 v[18:19], v[18:19], v[186:187]
	v_pk_add_f32 v[16:17], v[16:17], v[0:1]
	v_add_u32_e32 v169, 32, v169
	v_add_u32_e32 v168, 8, v168
	;; [unrolled: 1-line block ×3, first 2 shown]
	s_cmp_lt_u32 s16, 24
	s_mov_b32 s16, s17
	s_cbranch_scc1 .LBB171_8
; %bb.9:                                ;   in Loop: Header=BB171_5 Depth=1
	s_add_i32 s14, s14, 1
	s_cmp_eq_u32 s14, s4
	s_barrier
	s_cbranch_scc0 .LBB171_5
; %bb.10:
	v_mov_b32_e32 v1, v53
.LBB171_11:
	v_cmp_gt_u32_e32 vcc, s8, v55
	s_and_saveexec_b64 s[0:1], vcc
	s_cbranch_execz .LBB171_62
; %bb.12:
	v_add_u32_e32 v0, s6, v45
	v_mul_lo_u32 v5, v55, s10
	v_cmp_gt_u32_e64 s[0:1], s10, v0
	s_and_saveexec_b64 s[2:3], s[0:1]
	s_cbranch_execz .LBB171_14
; %bb.13:
	v_bfe_u32 v2, v48, 16, 1
	s_movk_i32 s4, 0x7fff
	v_add3_u32 v2, v48, v2, s4
	v_cmp_o_f32_e32 vcc, v48, v48
	v_mov_b32_e32 v3, 0x7fc0
	s_nop 0
	v_cndmask_b32_sdwa v4, v3, v2, vcc dst_sel:DWORD dst_unused:UNUSED_PAD src0_sel:DWORD src1_sel:WORD_1
	v_add_u32_e32 v2, v0, v5
	v_mov_b32_e32 v3, 0
	s_waitcnt lgkmcnt(0)
	v_lshl_add_u64 v[2:3], v[2:3], 1, s[12:13]
	global_store_short v[2:3], v4, off
.LBB171_14:
	s_or_b64 exec, exec, s[2:3]
	v_add_u32_e32 v2, 32, v0
	v_cmp_gt_u32_e64 s[2:3], s10, v2
	s_and_saveexec_b64 s[4:5], s[2:3]
	s_cbranch_execz .LBB171_16
; %bb.15:
	v_bfe_u32 v3, v50, 16, 1
	s_movk_i32 s6, 0x7fff
	v_add3_u32 v3, v50, v3, s6
	v_cmp_o_f32_e32 vcc, v50, v50
	v_mov_b32_e32 v4, 0x7fc0
	v_add_u32_e32 v6, v2, v5
	v_mov_b32_e32 v7, 0
	v_cndmask_b32_sdwa v3, v4, v3, vcc dst_sel:DWORD dst_unused:UNUSED_PAD src0_sel:DWORD src1_sel:WORD_1
	s_waitcnt lgkmcnt(0)
	v_lshl_add_u64 v[6:7], v[6:7], 1, s[12:13]
	global_store_short v[6:7], v3, off
.LBB171_16:
	s_or_b64 exec, exec, s[4:5]
	v_add_u32_e32 v3, 64, v0
	v_cmp_gt_u32_e64 s[4:5], s10, v3
	s_and_saveexec_b64 s[6:7], s[4:5]
	s_cbranch_execz .LBB171_18
; %bb.17:
	v_bfe_u32 v4, v42, 16, 1
	s_movk_i32 s9, 0x7fff
	v_add3_u32 v4, v42, v4, s9
	v_cmp_o_f32_e32 vcc, v42, v42
	v_mov_b32_e32 v6, 0x7fc0
	v_mov_b32_e32 v7, 0
	v_cndmask_b32_sdwa v4, v6, v4, vcc dst_sel:DWORD dst_unused:UNUSED_PAD src0_sel:DWORD src1_sel:WORD_1
	v_add_u32_e32 v6, v3, v5
	s_waitcnt lgkmcnt(0)
	v_lshl_add_u64 v[6:7], v[6:7], 1, s[12:13]
	global_store_short v[6:7], v4, off
.LBB171_18:
	s_or_b64 exec, exec, s[6:7]
	v_add_u32_e32 v4, 0x60, v0
	v_cmp_gt_u32_e64 s[6:7], s10, v4
	s_and_saveexec_b64 s[14:15], s[6:7]
	s_cbranch_execz .LBB171_20
; %bb.19:
	v_bfe_u32 v6, v40, 16, 1
	s_movk_i32 s9, 0x7fff
	v_add3_u32 v6, v40, v6, s9
	v_cmp_o_f32_e32 vcc, v40, v40
	v_mov_b32_e32 v7, 0x7fc0
	s_nop 0
	v_cndmask_b32_sdwa v8, v7, v6, vcc dst_sel:DWORD dst_unused:UNUSED_PAD src0_sel:DWORD src1_sel:WORD_1
	v_add_u32_e32 v6, v4, v5
	v_mov_b32_e32 v7, 0
	s_waitcnt lgkmcnt(0)
	v_lshl_add_u64 v[6:7], v[6:7], 1, s[12:13]
	global_store_short v[6:7], v8, off
.LBB171_20:
	s_or_b64 exec, exec, s[14:15]
	v_add3_u32 v5, v1, s11, 8
	v_cmp_gt_u32_e32 vcc, s8, v5
	s_and_b64 exec, exec, vcc
	s_cbranch_execz .LBB171_62
; %bb.21:
	v_mul_lo_u32 v5, v5, s10
	s_and_saveexec_b64 s[14:15], s[0:1]
	s_cbranch_execnz .LBB171_63
; %bb.22:
	s_or_b64 exec, exec, s[14:15]
	s_and_saveexec_b64 s[14:15], s[2:3]
	s_cbranch_execnz .LBB171_64
.LBB171_23:
	s_or_b64 exec, exec, s[14:15]
	s_and_saveexec_b64 s[14:15], s[4:5]
	s_cbranch_execnz .LBB171_65
.LBB171_24:
	s_or_b64 exec, exec, s[14:15]
	s_and_saveexec_b64 s[14:15], s[6:7]
	s_cbranch_execz .LBB171_26
.LBB171_25:
	v_bfe_u32 v6, v41, 16, 1
	s_movk_i32 s9, 0x7fff
	v_add3_u32 v6, v41, v6, s9
	v_cmp_o_f32_e32 vcc, v41, v41
	v_mov_b32_e32 v7, 0x7fc0
	s_nop 0
	v_cndmask_b32_sdwa v8, v7, v6, vcc dst_sel:DWORD dst_unused:UNUSED_PAD src0_sel:DWORD src1_sel:WORD_1
	v_add_u32_e32 v6, v5, v4
	v_mov_b32_e32 v7, 0
	s_waitcnt lgkmcnt(0)
	v_lshl_add_u64 v[6:7], v[6:7], 1, s[12:13]
	global_store_short v[6:7], v8, off
.LBB171_26:
	s_or_b64 exec, exec, s[14:15]
	v_add3_u32 v5, v1, s11, 16
	v_cmp_gt_u32_e32 vcc, s8, v5
	s_and_b64 exec, exec, vcc
	s_cbranch_execz .LBB171_62
; %bb.27:
	v_mul_lo_u32 v5, v5, s10
	s_and_saveexec_b64 s[14:15], s[0:1]
	s_cbranch_execnz .LBB171_66
; %bb.28:
	s_or_b64 exec, exec, s[14:15]
	s_and_saveexec_b64 s[14:15], s[2:3]
	s_cbranch_execnz .LBB171_67
.LBB171_29:
	s_or_b64 exec, exec, s[14:15]
	s_and_saveexec_b64 s[14:15], s[4:5]
	s_cbranch_execnz .LBB171_68
.LBB171_30:
	s_or_b64 exec, exec, s[14:15]
	s_and_saveexec_b64 s[14:15], s[6:7]
	s_cbranch_execz .LBB171_32
.LBB171_31:
	v_bfe_u32 v6, v32, 16, 1
	s_movk_i32 s9, 0x7fff
	v_add3_u32 v6, v32, v6, s9
	v_cmp_o_f32_e32 vcc, v32, v32
	v_mov_b32_e32 v7, 0x7fc0
	s_nop 0
	v_cndmask_b32_sdwa v8, v7, v6, vcc dst_sel:DWORD dst_unused:UNUSED_PAD src0_sel:DWORD src1_sel:WORD_1
	v_add_u32_e32 v6, v5, v4
	v_mov_b32_e32 v7, 0
	s_waitcnt lgkmcnt(0)
	v_lshl_add_u64 v[6:7], v[6:7], 1, s[12:13]
	global_store_short v[6:7], v8, off
.LBB171_32:
	s_or_b64 exec, exec, s[14:15]
	v_add3_u32 v5, v1, s11, 24
	v_cmp_gt_u32_e32 vcc, s8, v5
	s_and_b64 exec, exec, vcc
	s_cbranch_execz .LBB171_62
; %bb.33:
	v_mul_lo_u32 v5, v5, s10
	s_and_saveexec_b64 s[14:15], s[0:1]
	s_cbranch_execnz .LBB171_69
; %bb.34:
	s_or_b64 exec, exec, s[14:15]
	s_and_saveexec_b64 s[14:15], s[2:3]
	s_cbranch_execnz .LBB171_70
.LBB171_35:
	s_or_b64 exec, exec, s[14:15]
	s_and_saveexec_b64 s[14:15], s[4:5]
	s_cbranch_execnz .LBB171_71
.LBB171_36:
	s_or_b64 exec, exec, s[14:15]
	s_and_saveexec_b64 s[14:15], s[6:7]
	s_cbranch_execz .LBB171_38
.LBB171_37:
	v_bfe_u32 v6, v33, 16, 1
	s_movk_i32 s9, 0x7fff
	v_add3_u32 v6, v33, v6, s9
	v_cmp_o_f32_e32 vcc, v33, v33
	v_mov_b32_e32 v7, 0x7fc0
	s_nop 0
	v_cndmask_b32_sdwa v8, v7, v6, vcc dst_sel:DWORD dst_unused:UNUSED_PAD src0_sel:DWORD src1_sel:WORD_1
	v_add_u32_e32 v6, v5, v4
	v_mov_b32_e32 v7, 0
	s_waitcnt lgkmcnt(0)
	v_lshl_add_u64 v[6:7], v[6:7], 1, s[12:13]
	global_store_short v[6:7], v8, off
.LBB171_38:
	s_or_b64 exec, exec, s[14:15]
	v_add3_u32 v5, v1, s11, 32
	v_cmp_gt_u32_e32 vcc, s8, v5
	s_and_b64 exec, exec, vcc
	s_cbranch_execz .LBB171_62
; %bb.39:
	v_mul_lo_u32 v5, v5, s10
	s_and_saveexec_b64 s[14:15], s[0:1]
	s_cbranch_execnz .LBB171_72
; %bb.40:
	s_or_b64 exec, exec, s[14:15]
	s_and_saveexec_b64 s[14:15], s[2:3]
	s_cbranch_execnz .LBB171_73
.LBB171_41:
	s_or_b64 exec, exec, s[14:15]
	s_and_saveexec_b64 s[14:15], s[4:5]
	s_cbranch_execnz .LBB171_74
.LBB171_42:
	s_or_b64 exec, exec, s[14:15]
	s_and_saveexec_b64 s[14:15], s[6:7]
	s_cbranch_execz .LBB171_44
.LBB171_43:
	v_bfe_u32 v6, v24, 16, 1
	s_movk_i32 s9, 0x7fff
	v_add3_u32 v6, v24, v6, s9
	v_cmp_o_f32_e32 vcc, v24, v24
	v_mov_b32_e32 v7, 0x7fc0
	s_nop 0
	v_cndmask_b32_sdwa v8, v7, v6, vcc dst_sel:DWORD dst_unused:UNUSED_PAD src0_sel:DWORD src1_sel:WORD_1
	v_add_u32_e32 v6, v5, v4
	v_mov_b32_e32 v7, 0
	s_waitcnt lgkmcnt(0)
	v_lshl_add_u64 v[6:7], v[6:7], 1, s[12:13]
	global_store_short v[6:7], v8, off
.LBB171_44:
	s_or_b64 exec, exec, s[14:15]
	v_add3_u32 v5, v1, s11, 40
	v_cmp_gt_u32_e32 vcc, s8, v5
	s_and_b64 exec, exec, vcc
	s_cbranch_execz .LBB171_62
; %bb.45:
	v_mul_lo_u32 v5, v5, s10
	s_and_saveexec_b64 s[14:15], s[0:1]
	s_cbranch_execnz .LBB171_75
; %bb.46:
	s_or_b64 exec, exec, s[14:15]
	s_and_saveexec_b64 s[14:15], s[2:3]
	s_cbranch_execnz .LBB171_76
.LBB171_47:
	s_or_b64 exec, exec, s[14:15]
	s_and_saveexec_b64 s[14:15], s[4:5]
	s_cbranch_execnz .LBB171_77
.LBB171_48:
	s_or_b64 exec, exec, s[14:15]
	s_and_saveexec_b64 s[14:15], s[6:7]
	s_cbranch_execz .LBB171_50
.LBB171_49:
	v_bfe_u32 v6, v25, 16, 1
	s_movk_i32 s9, 0x7fff
	v_add3_u32 v6, v25, v6, s9
	v_cmp_o_f32_e32 vcc, v25, v25
	v_mov_b32_e32 v7, 0x7fc0
	s_nop 0
	v_cndmask_b32_sdwa v8, v7, v6, vcc dst_sel:DWORD dst_unused:UNUSED_PAD src0_sel:DWORD src1_sel:WORD_1
	v_add_u32_e32 v6, v5, v4
	v_mov_b32_e32 v7, 0
	s_waitcnt lgkmcnt(0)
	v_lshl_add_u64 v[6:7], v[6:7], 1, s[12:13]
	global_store_short v[6:7], v8, off
.LBB171_50:
	s_or_b64 exec, exec, s[14:15]
	v_add3_u32 v5, v1, s11, 48
	v_cmp_gt_u32_e32 vcc, s8, v5
	s_and_b64 exec, exec, vcc
	s_cbranch_execz .LBB171_62
; %bb.51:
	v_mul_lo_u32 v5, v5, s10
	s_and_saveexec_b64 s[14:15], s[0:1]
	s_cbranch_execnz .LBB171_78
; %bb.52:
	s_or_b64 exec, exec, s[14:15]
	s_and_saveexec_b64 s[14:15], s[2:3]
	s_cbranch_execnz .LBB171_79
.LBB171_53:
	s_or_b64 exec, exec, s[14:15]
	s_and_saveexec_b64 s[14:15], s[4:5]
	s_cbranch_execnz .LBB171_80
.LBB171_54:
	s_or_b64 exec, exec, s[14:15]
	s_and_saveexec_b64 s[14:15], s[6:7]
	s_cbranch_execz .LBB171_56
.LBB171_55:
	v_bfe_u32 v6, v16, 16, 1
	s_movk_i32 s9, 0x7fff
	v_add3_u32 v6, v16, v6, s9
	v_cmp_o_f32_e32 vcc, v16, v16
	v_mov_b32_e32 v7, 0x7fc0
	s_nop 0
	v_cndmask_b32_sdwa v8, v7, v6, vcc dst_sel:DWORD dst_unused:UNUSED_PAD src0_sel:DWORD src1_sel:WORD_1
	v_add_u32_e32 v6, v5, v4
	v_mov_b32_e32 v7, 0
	s_waitcnt lgkmcnt(0)
	v_lshl_add_u64 v[6:7], v[6:7], 1, s[12:13]
	global_store_short v[6:7], v8, off
.LBB171_56:
	s_or_b64 exec, exec, s[14:15]
	v_add3_u32 v1, v1, s11, 56
	v_cmp_gt_u32_e32 vcc, s8, v1
	s_and_b64 exec, exec, vcc
	s_cbranch_execz .LBB171_62
; %bb.57:
	v_mul_lo_u32 v1, v1, s10
	s_and_saveexec_b64 s[8:9], s[0:1]
	s_cbranch_execnz .LBB171_81
; %bb.58:
	s_or_b64 exec, exec, s[8:9]
	s_and_saveexec_b64 s[0:1], s[2:3]
	s_cbranch_execnz .LBB171_82
.LBB171_59:
	s_or_b64 exec, exec, s[0:1]
	s_and_saveexec_b64 s[0:1], s[4:5]
	s_cbranch_execnz .LBB171_83
.LBB171_60:
	s_or_b64 exec, exec, s[0:1]
	s_and_b64 exec, exec, s[6:7]
	s_cbranch_execz .LBB171_62
.LBB171_61:
	v_bfe_u32 v0, v17, 16, 1
	s_movk_i32 s0, 0x7fff
	v_add3_u32 v0, v17, v0, s0
	v_cmp_o_f32_e32 vcc, v17, v17
	v_mov_b32_e32 v2, 0x7fc0
	s_nop 0
	v_cndmask_b32_sdwa v2, v2, v0, vcc dst_sel:DWORD dst_unused:UNUSED_PAD src0_sel:DWORD src1_sel:WORD_1
	v_add_u32_e32 v0, v1, v4
	v_mov_b32_e32 v1, 0
	s_waitcnt lgkmcnt(0)
	v_lshl_add_u64 v[0:1], v[0:1], 1, s[12:13]
	global_store_short v[0:1], v2, off
.LBB171_62:
	s_endpgm
.LBB171_63:
	v_bfe_u32 v6, v49, 16, 1
	s_movk_i32 s9, 0x7fff
	v_add3_u32 v6, v49, v6, s9
	v_cmp_o_f32_e32 vcc, v49, v49
	v_mov_b32_e32 v7, 0x7fc0
	s_nop 0
	v_cndmask_b32_sdwa v8, v7, v6, vcc dst_sel:DWORD dst_unused:UNUSED_PAD src0_sel:DWORD src1_sel:WORD_1
	v_add_u32_e32 v6, v5, v0
	v_mov_b32_e32 v7, 0
	s_waitcnt lgkmcnt(0)
	v_lshl_add_u64 v[6:7], v[6:7], 1, s[12:13]
	global_store_short v[6:7], v8, off
	s_or_b64 exec, exec, s[14:15]
	s_and_saveexec_b64 s[14:15], s[2:3]
	s_cbranch_execz .LBB171_23
.LBB171_64:
	v_bfe_u32 v6, v51, 16, 1
	s_movk_i32 s9, 0x7fff
	v_add3_u32 v6, v51, v6, s9
	v_cmp_o_f32_e32 vcc, v51, v51
	v_mov_b32_e32 v7, 0x7fc0
	s_nop 0
	v_cndmask_b32_sdwa v8, v7, v6, vcc dst_sel:DWORD dst_unused:UNUSED_PAD src0_sel:DWORD src1_sel:WORD_1
	v_add_u32_e32 v6, v5, v2
	v_mov_b32_e32 v7, 0
	s_waitcnt lgkmcnt(0)
	v_lshl_add_u64 v[6:7], v[6:7], 1, s[12:13]
	global_store_short v[6:7], v8, off
	s_or_b64 exec, exec, s[14:15]
	s_and_saveexec_b64 s[14:15], s[4:5]
	s_cbranch_execz .LBB171_24
.LBB171_65:
	v_bfe_u32 v6, v43, 16, 1
	s_movk_i32 s9, 0x7fff
	v_add3_u32 v6, v43, v6, s9
	v_cmp_o_f32_e32 vcc, v43, v43
	v_mov_b32_e32 v7, 0x7fc0
	s_nop 0
	v_cndmask_b32_sdwa v8, v7, v6, vcc dst_sel:DWORD dst_unused:UNUSED_PAD src0_sel:DWORD src1_sel:WORD_1
	v_add_u32_e32 v6, v5, v3
	v_mov_b32_e32 v7, 0
	s_waitcnt lgkmcnt(0)
	v_lshl_add_u64 v[6:7], v[6:7], 1, s[12:13]
	global_store_short v[6:7], v8, off
	s_or_b64 exec, exec, s[14:15]
	s_and_saveexec_b64 s[14:15], s[6:7]
	s_cbranch_execnz .LBB171_25
	s_branch .LBB171_26
.LBB171_66:
	v_bfe_u32 v6, v38, 16, 1
	s_movk_i32 s9, 0x7fff
	v_add3_u32 v6, v38, v6, s9
	v_cmp_o_f32_e32 vcc, v38, v38
	v_mov_b32_e32 v7, 0x7fc0
	s_nop 0
	v_cndmask_b32_sdwa v8, v7, v6, vcc dst_sel:DWORD dst_unused:UNUSED_PAD src0_sel:DWORD src1_sel:WORD_1
	v_add_u32_e32 v6, v5, v0
	v_mov_b32_e32 v7, 0
	s_waitcnt lgkmcnt(0)
	v_lshl_add_u64 v[6:7], v[6:7], 1, s[12:13]
	global_store_short v[6:7], v8, off
	s_or_b64 exec, exec, s[14:15]
	s_and_saveexec_b64 s[14:15], s[2:3]
	s_cbranch_execz .LBB171_29
.LBB171_67:
	v_bfe_u32 v6, v36, 16, 1
	s_movk_i32 s9, 0x7fff
	v_add3_u32 v6, v36, v6, s9
	v_cmp_o_f32_e32 vcc, v36, v36
	v_mov_b32_e32 v7, 0x7fc0
	s_nop 0
	v_cndmask_b32_sdwa v8, v7, v6, vcc dst_sel:DWORD dst_unused:UNUSED_PAD src0_sel:DWORD src1_sel:WORD_1
	v_add_u32_e32 v6, v5, v2
	v_mov_b32_e32 v7, 0
	s_waitcnt lgkmcnt(0)
	v_lshl_add_u64 v[6:7], v[6:7], 1, s[12:13]
	global_store_short v[6:7], v8, off
	s_or_b64 exec, exec, s[14:15]
	s_and_saveexec_b64 s[14:15], s[4:5]
	s_cbranch_execz .LBB171_30
.LBB171_68:
	v_bfe_u32 v6, v34, 16, 1
	s_movk_i32 s9, 0x7fff
	v_add3_u32 v6, v34, v6, s9
	v_cmp_o_f32_e32 vcc, v34, v34
	v_mov_b32_e32 v7, 0x7fc0
	s_nop 0
	v_cndmask_b32_sdwa v8, v7, v6, vcc dst_sel:DWORD dst_unused:UNUSED_PAD src0_sel:DWORD src1_sel:WORD_1
	v_add_u32_e32 v6, v5, v3
	v_mov_b32_e32 v7, 0
	s_waitcnt lgkmcnt(0)
	v_lshl_add_u64 v[6:7], v[6:7], 1, s[12:13]
	global_store_short v[6:7], v8, off
	s_or_b64 exec, exec, s[14:15]
	s_and_saveexec_b64 s[14:15], s[6:7]
	s_cbranch_execnz .LBB171_31
	s_branch .LBB171_32
.LBB171_69:
	v_bfe_u32 v6, v39, 16, 1
	s_movk_i32 s9, 0x7fff
	v_add3_u32 v6, v39, v6, s9
	v_cmp_o_f32_e32 vcc, v39, v39
	v_mov_b32_e32 v7, 0x7fc0
	s_nop 0
	v_cndmask_b32_sdwa v8, v7, v6, vcc dst_sel:DWORD dst_unused:UNUSED_PAD src0_sel:DWORD src1_sel:WORD_1
	v_add_u32_e32 v6, v5, v0
	v_mov_b32_e32 v7, 0
	s_waitcnt lgkmcnt(0)
	v_lshl_add_u64 v[6:7], v[6:7], 1, s[12:13]
	global_store_short v[6:7], v8, off
	s_or_b64 exec, exec, s[14:15]
	s_and_saveexec_b64 s[14:15], s[2:3]
	s_cbranch_execz .LBB171_35
.LBB171_70:
	v_bfe_u32 v6, v37, 16, 1
	s_movk_i32 s9, 0x7fff
	v_add3_u32 v6, v37, v6, s9
	v_cmp_o_f32_e32 vcc, v37, v37
	v_mov_b32_e32 v7, 0x7fc0
	s_nop 0
	v_cndmask_b32_sdwa v8, v7, v6, vcc dst_sel:DWORD dst_unused:UNUSED_PAD src0_sel:DWORD src1_sel:WORD_1
	v_add_u32_e32 v6, v5, v2
	v_mov_b32_e32 v7, 0
	s_waitcnt lgkmcnt(0)
	v_lshl_add_u64 v[6:7], v[6:7], 1, s[12:13]
	global_store_short v[6:7], v8, off
	s_or_b64 exec, exec, s[14:15]
	s_and_saveexec_b64 s[14:15], s[4:5]
	s_cbranch_execz .LBB171_36
.LBB171_71:
	v_bfe_u32 v6, v35, 16, 1
	s_movk_i32 s9, 0x7fff
	v_add3_u32 v6, v35, v6, s9
	v_cmp_o_f32_e32 vcc, v35, v35
	v_mov_b32_e32 v7, 0x7fc0
	s_nop 0
	v_cndmask_b32_sdwa v8, v7, v6, vcc dst_sel:DWORD dst_unused:UNUSED_PAD src0_sel:DWORD src1_sel:WORD_1
	v_add_u32_e32 v6, v5, v3
	v_mov_b32_e32 v7, 0
	s_waitcnt lgkmcnt(0)
	v_lshl_add_u64 v[6:7], v[6:7], 1, s[12:13]
	global_store_short v[6:7], v8, off
	s_or_b64 exec, exec, s[14:15]
	s_and_saveexec_b64 s[14:15], s[6:7]
	s_cbranch_execnz .LBB171_37
	s_branch .LBB171_38
.LBB171_72:
	v_bfe_u32 v6, v30, 16, 1
	s_movk_i32 s9, 0x7fff
	v_add3_u32 v6, v30, v6, s9
	v_cmp_o_f32_e32 vcc, v30, v30
	v_mov_b32_e32 v7, 0x7fc0
	s_nop 0
	v_cndmask_b32_sdwa v8, v7, v6, vcc dst_sel:DWORD dst_unused:UNUSED_PAD src0_sel:DWORD src1_sel:WORD_1
	v_add_u32_e32 v6, v5, v0
	v_mov_b32_e32 v7, 0
	s_waitcnt lgkmcnt(0)
	v_lshl_add_u64 v[6:7], v[6:7], 1, s[12:13]
	global_store_short v[6:7], v8, off
	s_or_b64 exec, exec, s[14:15]
	s_and_saveexec_b64 s[14:15], s[2:3]
	s_cbranch_execz .LBB171_41
.LBB171_73:
	v_bfe_u32 v6, v28, 16, 1
	s_movk_i32 s9, 0x7fff
	v_add3_u32 v6, v28, v6, s9
	v_cmp_o_f32_e32 vcc, v28, v28
	v_mov_b32_e32 v7, 0x7fc0
	s_nop 0
	v_cndmask_b32_sdwa v8, v7, v6, vcc dst_sel:DWORD dst_unused:UNUSED_PAD src0_sel:DWORD src1_sel:WORD_1
	v_add_u32_e32 v6, v5, v2
	v_mov_b32_e32 v7, 0
	s_waitcnt lgkmcnt(0)
	v_lshl_add_u64 v[6:7], v[6:7], 1, s[12:13]
	global_store_short v[6:7], v8, off
	s_or_b64 exec, exec, s[14:15]
	s_and_saveexec_b64 s[14:15], s[4:5]
	s_cbranch_execz .LBB171_42
.LBB171_74:
	v_bfe_u32 v6, v26, 16, 1
	s_movk_i32 s9, 0x7fff
	v_add3_u32 v6, v26, v6, s9
	v_cmp_o_f32_e32 vcc, v26, v26
	v_mov_b32_e32 v7, 0x7fc0
	s_nop 0
	v_cndmask_b32_sdwa v8, v7, v6, vcc dst_sel:DWORD dst_unused:UNUSED_PAD src0_sel:DWORD src1_sel:WORD_1
	v_add_u32_e32 v6, v5, v3
	v_mov_b32_e32 v7, 0
	s_waitcnt lgkmcnt(0)
	v_lshl_add_u64 v[6:7], v[6:7], 1, s[12:13]
	global_store_short v[6:7], v8, off
	s_or_b64 exec, exec, s[14:15]
	s_and_saveexec_b64 s[14:15], s[6:7]
	s_cbranch_execnz .LBB171_43
	s_branch .LBB171_44
.LBB171_75:
	v_bfe_u32 v6, v31, 16, 1
	s_movk_i32 s9, 0x7fff
	v_add3_u32 v6, v31, v6, s9
	v_cmp_o_f32_e32 vcc, v31, v31
	v_mov_b32_e32 v7, 0x7fc0
	s_nop 0
	v_cndmask_b32_sdwa v8, v7, v6, vcc dst_sel:DWORD dst_unused:UNUSED_PAD src0_sel:DWORD src1_sel:WORD_1
	v_add_u32_e32 v6, v5, v0
	v_mov_b32_e32 v7, 0
	s_waitcnt lgkmcnt(0)
	v_lshl_add_u64 v[6:7], v[6:7], 1, s[12:13]
	global_store_short v[6:7], v8, off
	s_or_b64 exec, exec, s[14:15]
	s_and_saveexec_b64 s[14:15], s[2:3]
	s_cbranch_execz .LBB171_47
.LBB171_76:
	v_bfe_u32 v6, v29, 16, 1
	s_movk_i32 s9, 0x7fff
	v_add3_u32 v6, v29, v6, s9
	v_cmp_o_f32_e32 vcc, v29, v29
	v_mov_b32_e32 v7, 0x7fc0
	s_nop 0
	v_cndmask_b32_sdwa v8, v7, v6, vcc dst_sel:DWORD dst_unused:UNUSED_PAD src0_sel:DWORD src1_sel:WORD_1
	v_add_u32_e32 v6, v5, v2
	v_mov_b32_e32 v7, 0
	s_waitcnt lgkmcnt(0)
	v_lshl_add_u64 v[6:7], v[6:7], 1, s[12:13]
	global_store_short v[6:7], v8, off
	s_or_b64 exec, exec, s[14:15]
	s_and_saveexec_b64 s[14:15], s[4:5]
	s_cbranch_execz .LBB171_48
.LBB171_77:
	v_bfe_u32 v6, v27, 16, 1
	s_movk_i32 s9, 0x7fff
	v_add3_u32 v6, v27, v6, s9
	v_cmp_o_f32_e32 vcc, v27, v27
	v_mov_b32_e32 v7, 0x7fc0
	s_nop 0
	v_cndmask_b32_sdwa v8, v7, v6, vcc dst_sel:DWORD dst_unused:UNUSED_PAD src0_sel:DWORD src1_sel:WORD_1
	v_add_u32_e32 v6, v5, v3
	v_mov_b32_e32 v7, 0
	s_waitcnt lgkmcnt(0)
	v_lshl_add_u64 v[6:7], v[6:7], 1, s[12:13]
	global_store_short v[6:7], v8, off
	s_or_b64 exec, exec, s[14:15]
	s_and_saveexec_b64 s[14:15], s[6:7]
	s_cbranch_execnz .LBB171_49
	s_branch .LBB171_50
.LBB171_78:
	v_bfe_u32 v6, v22, 16, 1
	s_movk_i32 s9, 0x7fff
	v_add3_u32 v6, v22, v6, s9
	v_cmp_o_f32_e32 vcc, v22, v22
	v_mov_b32_e32 v7, 0x7fc0
	s_nop 0
	v_cndmask_b32_sdwa v8, v7, v6, vcc dst_sel:DWORD dst_unused:UNUSED_PAD src0_sel:DWORD src1_sel:WORD_1
	v_add_u32_e32 v6, v5, v0
	v_mov_b32_e32 v7, 0
	s_waitcnt lgkmcnt(0)
	v_lshl_add_u64 v[6:7], v[6:7], 1, s[12:13]
	global_store_short v[6:7], v8, off
	s_or_b64 exec, exec, s[14:15]
	s_and_saveexec_b64 s[14:15], s[2:3]
	s_cbranch_execz .LBB171_53
.LBB171_79:
	v_bfe_u32 v6, v20, 16, 1
	s_movk_i32 s9, 0x7fff
	v_add3_u32 v6, v20, v6, s9
	v_cmp_o_f32_e32 vcc, v20, v20
	v_mov_b32_e32 v7, 0x7fc0
	s_nop 0
	v_cndmask_b32_sdwa v8, v7, v6, vcc dst_sel:DWORD dst_unused:UNUSED_PAD src0_sel:DWORD src1_sel:WORD_1
	v_add_u32_e32 v6, v5, v2
	v_mov_b32_e32 v7, 0
	s_waitcnt lgkmcnt(0)
	v_lshl_add_u64 v[6:7], v[6:7], 1, s[12:13]
	global_store_short v[6:7], v8, off
	s_or_b64 exec, exec, s[14:15]
	s_and_saveexec_b64 s[14:15], s[4:5]
	s_cbranch_execz .LBB171_54
.LBB171_80:
	v_bfe_u32 v6, v18, 16, 1
	s_movk_i32 s9, 0x7fff
	v_add3_u32 v6, v18, v6, s9
	v_cmp_o_f32_e32 vcc, v18, v18
	v_mov_b32_e32 v7, 0x7fc0
	s_nop 0
	v_cndmask_b32_sdwa v8, v7, v6, vcc dst_sel:DWORD dst_unused:UNUSED_PAD src0_sel:DWORD src1_sel:WORD_1
	v_add_u32_e32 v6, v5, v3
	v_mov_b32_e32 v7, 0
	s_waitcnt lgkmcnt(0)
	v_lshl_add_u64 v[6:7], v[6:7], 1, s[12:13]
	global_store_short v[6:7], v8, off
	s_or_b64 exec, exec, s[14:15]
	s_and_saveexec_b64 s[14:15], s[6:7]
	s_cbranch_execnz .LBB171_55
	s_branch .LBB171_56
.LBB171_81:
	v_bfe_u32 v5, v23, 16, 1
	s_movk_i32 s0, 0x7fff
	v_add3_u32 v5, v23, v5, s0
	v_cmp_o_f32_e32 vcc, v23, v23
	v_mov_b32_e32 v6, 0x7fc0
	v_mov_b32_e32 v7, 0
	v_cndmask_b32_sdwa v5, v6, v5, vcc dst_sel:DWORD dst_unused:UNUSED_PAD src0_sel:DWORD src1_sel:WORD_1
	v_add_u32_e32 v6, v1, v0
	s_waitcnt lgkmcnt(0)
	v_lshl_add_u64 v[6:7], v[6:7], 1, s[12:13]
	global_store_short v[6:7], v5, off
	s_or_b64 exec, exec, s[8:9]
	s_and_saveexec_b64 s[0:1], s[2:3]
	s_cbranch_execz .LBB171_59
.LBB171_82:
	v_bfe_u32 v0, v21, 16, 1
	s_movk_i32 s2, 0x7fff
	v_add3_u32 v0, v21, v0, s2
	v_cmp_o_f32_e32 vcc, v21, v21
	v_mov_b32_e32 v5, 0x7fc0
	v_add_u32_e32 v6, v1, v2
	v_mov_b32_e32 v7, 0
	v_cndmask_b32_sdwa v0, v5, v0, vcc dst_sel:DWORD dst_unused:UNUSED_PAD src0_sel:DWORD src1_sel:WORD_1
	s_waitcnt lgkmcnt(0)
	v_lshl_add_u64 v[6:7], v[6:7], 1, s[12:13]
	global_store_short v[6:7], v0, off
	s_or_b64 exec, exec, s[0:1]
	s_and_saveexec_b64 s[0:1], s[4:5]
	s_cbranch_execz .LBB171_60
.LBB171_83:
	v_bfe_u32 v0, v19, 16, 1
	s_movk_i32 s2, 0x7fff
	v_add3_u32 v0, v19, v0, s2
	v_cmp_o_f32_e32 vcc, v19, v19
	v_mov_b32_e32 v2, 0x7fc0
	s_nop 0
	v_cndmask_b32_sdwa v0, v2, v0, vcc dst_sel:DWORD dst_unused:UNUSED_PAD src0_sel:DWORD src1_sel:WORD_1
	v_add_u32_e32 v2, v1, v3
	v_mov_b32_e32 v3, 0
	s_waitcnt lgkmcnt(0)
	v_lshl_add_u64 v[2:3], v[2:3], 1, s[12:13]
	global_store_short v[2:3], v0, off
	s_or_b64 exec, exec, s[0:1]
	s_and_b64 exec, exec, s[6:7]
	s_cbranch_execnz .LBB171_61
	s_branch .LBB171_62
	.section	.rodata,"a",@progbits
	.p2align	6, 0x0
	.amdhsa_kernel _ZL12mul_mat_q4_KIN3c108BFloat16ELb0EEvPKvS3_PT_iiiii
		.amdhsa_group_segment_fixed_size 28752
		.amdhsa_private_segment_fixed_size 0
		.amdhsa_kernarg_size 44
		.amdhsa_user_sgpr_count 2
		.amdhsa_user_sgpr_dispatch_ptr 0
		.amdhsa_user_sgpr_queue_ptr 0
		.amdhsa_user_sgpr_kernarg_segment_ptr 1
		.amdhsa_user_sgpr_dispatch_id 0
		.amdhsa_user_sgpr_kernarg_preload_length 0
		.amdhsa_user_sgpr_kernarg_preload_offset 0
		.amdhsa_user_sgpr_private_segment_size 0
		.amdhsa_uses_dynamic_stack 0
		.amdhsa_enable_private_segment 0
		.amdhsa_system_sgpr_workgroup_id_x 1
		.amdhsa_system_sgpr_workgroup_id_y 1
		.amdhsa_system_sgpr_workgroup_id_z 0
		.amdhsa_system_sgpr_workgroup_info 0
		.amdhsa_system_vgpr_workitem_id 1
		.amdhsa_next_free_vgpr 256
		.amdhsa_next_free_sgpr 96
		.amdhsa_accum_offset 256
		.amdhsa_reserve_vcc 1
		.amdhsa_float_round_mode_32 0
		.amdhsa_float_round_mode_16_64 0
		.amdhsa_float_denorm_mode_32 3
		.amdhsa_float_denorm_mode_16_64 3
		.amdhsa_dx10_clamp 1
		.amdhsa_ieee_mode 1
		.amdhsa_fp16_overflow 0
		.amdhsa_tg_split 0
		.amdhsa_exception_fp_ieee_invalid_op 0
		.amdhsa_exception_fp_denorm_src 0
		.amdhsa_exception_fp_ieee_div_zero 0
		.amdhsa_exception_fp_ieee_overflow 0
		.amdhsa_exception_fp_ieee_underflow 0
		.amdhsa_exception_fp_ieee_inexact 0
		.amdhsa_exception_int_div_zero 0
	.end_amdhsa_kernel
	.section	.text._ZL12mul_mat_q4_KIN3c108BFloat16ELb0EEvPKvS3_PT_iiiii,"axG",@progbits,_ZL12mul_mat_q4_KIN3c108BFloat16ELb0EEvPKvS3_PT_iiiii,comdat
.Lfunc_end171:
	.size	_ZL12mul_mat_q4_KIN3c108BFloat16ELb0EEvPKvS3_PT_iiiii, .Lfunc_end171-_ZL12mul_mat_q4_KIN3c108BFloat16ELb0EEvPKvS3_PT_iiiii
                                        ; -- End function
	.set _ZL12mul_mat_q4_KIN3c108BFloat16ELb0EEvPKvS3_PT_iiiii.num_vgpr, 256
	.set _ZL12mul_mat_q4_KIN3c108BFloat16ELb0EEvPKvS3_PT_iiiii.num_agpr, 0
	.set _ZL12mul_mat_q4_KIN3c108BFloat16ELb0EEvPKvS3_PT_iiiii.numbered_sgpr, 20
	.set _ZL12mul_mat_q4_KIN3c108BFloat16ELb0EEvPKvS3_PT_iiiii.num_named_barrier, 0
	.set _ZL12mul_mat_q4_KIN3c108BFloat16ELb0EEvPKvS3_PT_iiiii.private_seg_size, 0
	.set _ZL12mul_mat_q4_KIN3c108BFloat16ELb0EEvPKvS3_PT_iiiii.uses_vcc, 1
	.set _ZL12mul_mat_q4_KIN3c108BFloat16ELb0EEvPKvS3_PT_iiiii.uses_flat_scratch, 0
	.set _ZL12mul_mat_q4_KIN3c108BFloat16ELb0EEvPKvS3_PT_iiiii.has_dyn_sized_stack, 0
	.set _ZL12mul_mat_q4_KIN3c108BFloat16ELb0EEvPKvS3_PT_iiiii.has_recursion, 0
	.set _ZL12mul_mat_q4_KIN3c108BFloat16ELb0EEvPKvS3_PT_iiiii.has_indirect_call, 0
	.section	.AMDGPU.csdata,"",@progbits
; Kernel info:
; codeLenInByte = 17920
; TotalNumSgprs: 26
; NumVgprs: 256
; NumAgprs: 0
; TotalNumVgprs: 256
; ScratchSize: 0
; MemoryBound: 0
; FloatMode: 240
; IeeeMode: 1
; LDSByteSize: 28752 bytes/workgroup (compile time only)
; SGPRBlocks: 12
; VGPRBlocks: 31
; NumSGPRsForWavesPerEU: 102
; NumVGPRsForWavesPerEU: 256
; AccumOffset: 256
; Occupancy: 2
; WaveLimiterHint : 0
; COMPUTE_PGM_RSRC2:SCRATCH_EN: 0
; COMPUTE_PGM_RSRC2:USER_SGPR: 2
; COMPUTE_PGM_RSRC2:TRAP_HANDLER: 0
; COMPUTE_PGM_RSRC2:TGID_X_EN: 1
; COMPUTE_PGM_RSRC2:TGID_Y_EN: 1
; COMPUTE_PGM_RSRC2:TGID_Z_EN: 0
; COMPUTE_PGM_RSRC2:TIDIG_COMP_CNT: 1
; COMPUTE_PGM_RSRC3_GFX90A:ACCUM_OFFSET: 63
; COMPUTE_PGM_RSRC3_GFX90A:TG_SPLIT: 0
	.section	.text._ZL12mul_mat_q4_KIN3c108BFloat16ELb1EEvPKvS3_PT_iiiii,"axG",@progbits,_ZL12mul_mat_q4_KIN3c108BFloat16ELb1EEvPKvS3_PT_iiiii,comdat
	.globl	_ZL12mul_mat_q4_KIN3c108BFloat16ELb1EEvPKvS3_PT_iiiii ; -- Begin function _ZL12mul_mat_q4_KIN3c108BFloat16ELb1EEvPKvS3_PT_iiiii
	.p2align	8
	.type	_ZL12mul_mat_q4_KIN3c108BFloat16ELb1EEvPKvS3_PT_iiiii,@function
_ZL12mul_mat_q4_KIN3c108BFloat16ELb1EEvPKvS3_PT_iiiii: ; @_ZL12mul_mat_q4_KIN3c108BFloat16ELb1EEvPKvS3_PT_iiiii
; %bb.0:
	s_load_dwordx4 s[8:11], s[0:1], 0x18
	s_load_dword s14, s[0:1], 0x28
	s_lshl_b32 s15, s3, 6
	v_bfe_u32 v63, v0, 10, 10
	s_waitcnt lgkmcnt(0)
	s_cmpk_gt_i32 s8, 0xff
	s_cbranch_scc1 .LBB172_2
; %bb.1:
	v_bfe_u32 v1, v0, 10, 10
	v_and_b32_e32 v41, 0x3ff, v0
	v_add_u32_e32 v2, s15, v1
	s_mov_b64 s[4:5], 0
	s_branch .LBB172_3
.LBB172_2:
	s_mov_b64 s[4:5], -1
                                        ; implicit-def: $vgpr1
                                        ; implicit-def: $vgpr41
                                        ; implicit-def: $vgpr2
.LBB172_3:
	s_load_dwordx2 s[12:13], s[0:1], 0x10
	s_lshl_b32 s6, s2, 7
	v_mov_b32_e32 v17, 0
	s_andn2_b64 vcc, exec, s[4:5]
	v_mov_b32_e32 v16, 0
	v_mov_b32_e32 v25, 0
	;; [unrolled: 1-line block ×31, first 2 shown]
	s_cbranch_vccnz .LBB172_11
; %bb.4:
	s_ashr_i32 s4, s8, 31
	s_load_dwordx4 s[0:3], s[0:1], 0x0
	s_lshr_b32 s4, s4, 24
	s_add_i32 s4, s8, s4
	s_ashr_i32 s5, s11, 31
	s_ashr_i32 s4, s4, 8
	s_lshr_b32 s5, s5, 27
	s_add_i32 s5, s11, s5
	s_mul_i32 s7, s4, s6
	s_ashr_i32 s11, s5, 5
	s_mul_hi_i32 s8, s7, 0x90
	s_mulk_i32 s7, 0x90
	s_waitcnt lgkmcnt(0)
	s_add_u32 s7, s0, s7
	s_addc_u32 s8, s1, s8
	s_not_b32 s0, s6
	s_add_i32 s17, s9, s0
	v_and_b32_e32 v41, 0x3ff, v0
	v_lshlrev_b32_e32 v2, 2, v41
	v_min_i32_e32 v1, s17, v63
	s_movk_i32 s16, 0x84
                                        ; kill: def $vgpr3 killed $sgpr0 killed $exec
	v_mad_u64_u32 v[4:5], s[0:1], v1, s16, v[2:3]
	scratch_store_dwordx2 off, v[4:5], off  ; 8-byte Folded Spill
	v_add_u32_e32 v5, 8, v63
	v_min_i32_e32 v10, s17, v5
	v_add_u32_e32 v11, 16, v63
	v_mad_u64_u32 v[6:7], s[0:1], v10, s16, v[2:3]
	v_min_i32_e32 v12, s17, v11
	v_add_u32_e32 v13, 24, v63
	scratch_store_dwordx2 off, v[6:7], off offset:8 ; 8-byte Folded Spill
	v_mad_u64_u32 v[6:7], s[0:1], v12, s16, v[2:3]
	v_min_i32_e32 v14, s17, v13
	v_add_u32_e32 v15, 32, v63
	scratch_store_dwordx2 off, v[6:7], off offset:16 ; 8-byte Folded Spill
	;; [unrolled: 4-line block ×3, first 2 shown]
	v_mad_u64_u32 v[6:7], s[0:1], v16, s16, v[2:3]
	v_min_i32_e32 v18, s17, v17
	v_add_u32_e32 v19, 48, v63
	v_add_u32_e32 v21, 56, v63
	scratch_store_dwordx2 off, v[6:7], off offset:32 ; 8-byte Folded Spill
	v_mad_u64_u32 v[6:7], s[0:1], v18, s16, v[2:3]
	v_min_i32_e32 v20, s17, v19
	v_min_i32_e32 v22, s17, v21
	scratch_store_dwordx2 off, v[6:7], off offset:40 ; 8-byte Folded Spill
	v_mad_u64_u32 v[6:7], s[0:1], v20, s16, v[2:3]
	v_mad_u64_u32 v[58:59], s[0:1], v22, s16, v[2:3]
	v_add_u32_e32 v3, 64, v63
	v_min_i32_e32 v23, s17, v3
	scratch_store_dwordx2 off, v[6:7], off offset:48 ; 8-byte Folded Spill
	v_mad_u64_u32 v[6:7], s[0:1], v23, s16, v[2:3]
	v_add_u32_e32 v3, 0x48, v63
	v_min_i32_e32 v24, s17, v3
	scratch_store_dwordx2 off, v[6:7], off offset:56 ; 8-byte Folded Spill
	v_mad_u64_u32 v[6:7], s[0:1], v24, s16, v[2:3]
	v_add_u32_e32 v3, 0x50, v63
	v_min_i32_e32 v25, s17, v3
	v_mad_u64_u32 v[66:67], s[0:1], v25, s16, v[2:3]
	v_add_u32_e32 v3, 0x58, v63
	v_min_i32_e32 v26, s17, v3
	;; [unrolled: 3-line block ×5, first 2 shown]
	v_add_u32_e32 v3, 0x78, v63
	v_lshlrev_b32_e32 v47, 5, v63
	v_min_i32_e32 v30, s17, v3
	v_add_u32_e32 v3, v47, v41
	v_and_b32_e32 v3, 0x7f, v3
	v_min_i32_e32 v31, s17, v3
	v_ashrrev_i32_e32 v3, 31, v31
	v_lshrrev_b32_e32 v3, 27, v3
	v_add_u32_e32 v3, v31, v3
	v_ashrrev_i32_e32 v3, 5, v3
	v_lshlrev_b32_e32 v3, 2, v3
	v_lshlrev_b32_e32 v4, 2, v31
	s_movk_i32 s18, 0x6e40
	v_add3_u32 v54, v3, v4, s18
	v_and_b32_e32 v4, 3, v0
	scratch_store_dwordx2 off, v[6:7], off offset:64 ; 8-byte Folded Spill
	v_add_u32_e32 v6, 0xfe, v4
	v_bfe_u32 v3, v0, 2, 8
	v_and_b32_e32 v6, 0xff, v6
	v_cmp_gt_u32_e32 vcc, 2, v4
	v_lshl_add_u32 v3, v63, 3, v3
	v_lshlrev_b32_e32 v8, 2, v4
	v_cndmask_b32_e32 v32, v6, v4, vcc
	v_and_b32_e32 v6, 4, v2
	v_cmp_lt_u32_e32 vcc, 1, v4
	s_movk_i32 s0, 0x6200
	v_and_b32_e32 v9, 31, v0
	v_cndmask_b32_e32 v51, 0, v6, vcc
	v_and_b32_e32 v6, 0x7f, v3
	v_min_i32_e32 v33, s17, v6
	v_ashrrev_i32_e32 v6, 31, v33
	v_lshrrev_b32_e32 v6, 29, v6
	v_add_u32_e32 v6, v33, v6
	v_ashrrev_i32_e32 v6, 3, v6
	v_lshlrev_b32_e32 v6, 2, v6
	v_add3_u32 v34, v6, v8, s0
	v_mov_b32_e32 v6, 0x7f
	v_bitop3_b32 v6, v3, 64, v6 bitop3:0x6c
	v_min_i32_e32 v36, s17, v6
	v_ashrrev_i32_e32 v6, 31, v36
	v_lshrrev_b32_e32 v6, 29, v6
	v_add_u32_e32 v6, v36, v6
	v_ashrrev_i32_e32 v6, 3, v6
	v_lshlrev_b32_e32 v6, 2, v6
	v_mov_b32_e32 v39, 0x4200
	v_and_b32_e32 v3, 63, v3
	v_add3_u32 v37, v6, v8, s0
	s_add_i32 s0, s10, -1
	v_lshl_or_b32 v39, v9, 2, v39
	v_or_b32_e32 v9, s15, v3
	v_add_u32_e32 v50, s15, v63
	v_min_i32_e32 v9, s0, v9
	v_cvt_f64_i32_e32 v[6:7], s0
	v_mad_u64_u32 v[80:81], s[0:1], v9, s11, v[4:5]
	v_lshl_or_b32 v44, v3, 4, v8
	v_cvt_f64_u32_e32 v[8:9], v50
	v_min_f64 v[8:9], v[8:9], v[6:7]
	v_add_u32_e32 v3, 8, v50
	v_cvt_i32_f64_e32 v45, v[8:9]
	v_cvt_f64_u32_e32 v[8:9], v3
	v_min_f64 v[8:9], v[8:9], v[6:7]
	v_add_u32_e32 v3, 16, v50
	v_cvt_i32_f64_e32 v46, v[8:9]
	;; [unrolled: 4-line block ×7, first 2 shown]
	v_cvt_f64_u32_e32 v[8:9], v3
	v_min_f64 v[6:7], v[8:9], v[6:7]
	v_bfe_u32 v40, v0, 5, 5
	v_cvt_i32_f64_e32 v6, v[6:7]
	v_add_u32_e32 v7, 32, v41
	v_lshlrev_b32_e32 v3, 2, v40
	v_lshrrev_b32_e32 v55, 3, v7
	v_add_u32_e32 v8, 64, v41
	v_lshlrev_b32_e32 v35, 4, v33
	v_add3_u32 v53, v3, v2, s18
	v_and_b32_e32 v3, 60, v55
	v_lshrrev_b32_e32 v9, 3, v8
	v_add_u32_e32 v62, 0x60, v41
	scratch_store_dword off, v50, off offset:84 ; 4-byte Folded Spill
	v_add3_u32 v57, v2, v3, s18
	v_and_b32_e32 v3, 60, v9
	v_add_u32_e32 v50, v34, v35
	v_lshrrev_b32_e32 v34, 3, v62
	v_add3_u32 v59, v2, v3, s18
	v_and_b32_e32 v3, 60, v34
	v_mad_u64_u32 v[82:83], s[0:1], v29, s16, v[2:3]
	v_mad_u64_u32 v[84:85], s[0:1], v30, s16, v[2:3]
	v_bfe_u32 v73, v0, 3, 7
	v_lshlrev_b32_e32 v0, 7, v5
	v_mov_b32_e32 v43, 0
	v_lshlrev_b32_e32 v105, 5, v5
	v_lshlrev_b32_e32 v5, 7, v11
	;; [unrolled: 1-line block ×13, first 2 shown]
	v_mov_b32_e32 v21, 0x1080
	v_add_u32_e32 v127, v39, v0
	v_lshlrev_b32_e32 v0, 7, v63
	v_cmp_ne_u32_e64 s[0:1], 0, v4
	v_and_b32_e32 v42, 0x7c, v2
	v_add3_u32 v67, v2, v3, s18
	v_lshlrev_b32_e32 v69, 2, v2
	v_and_b32_e32 v2, 28, v2
	v_mov_b32_e32 v3, v43
	v_mad_u32_u24 v119, v41, s16, v21
	v_mov_b32_e32 v21, 0x2100
	v_add_u32_e32 v157, v39, v0
	v_add_u32_e32 v159, 0x4200, v0
	v_addc_co_u32_e64 v0, s[0:1], 0, v32, s[0:1]
	v_lshlrev_b32_e32 v38, 4, v36
	v_mul_lo_u32 v103, s11, v6
	v_lshlrev_b32_e32 v6, 2, v7
	v_lshlrev_b32_e32 v7, 2, v8
	;; [unrolled: 1-line block ×3, first 2 shown]
	v_mad_u32_u24 v121, v41, s16, v21
	v_mov_b32_e32 v21, 0x3180
	v_lshl_add_u64 v[86:87], s[2:3], 0, v[2:3]
	v_mov_b32_e32 v2, 0x6a40
	v_mov_b32_e32 v76, v43
	;; [unrolled: 1-line block ×3, first 2 shown]
	v_lshlrev_b32_e32 v88, 2, v0
	v_cndmask_b32_e64 v0, 0, 1, vcc
	s_movk_i32 s5, 0x90
	s_mov_b32 s9, 0
	v_add_u32_e32 v52, v37, v38
	v_add_u32_e32 v71, 0x6a40, v44
	v_mul_lo_u32 v81, s11, v45
	v_mul_lo_u32 v83, s11, v46
	;; [unrolled: 1-line block ×7, first 2 shown]
	v_mad_u32_u24 v123, v41, s16, v21
	v_lshl_add_u32 v56, v63, 4, v2
	v_add_u32_e32 v129, v39, v5
	v_add_u32_e32 v147, v39, v11
	;; [unrolled: 1-line block ×6, first 2 shown]
	v_lshlrev_b32_e32 v161, 2, v34
	v_lshlrev_b32_e32 v170, 2, v9
	;; [unrolled: 1-line block ×3, first 2 shown]
	v_mov_b32_e32 v89, v43
	v_lshlrev_b32_e32 v90, 2, v0
	v_mov_b32_e32 v91, v43
	s_mov_b32 s11, 0x30303030
	v_lshlrev_b32_e32 v172, 2, v6
	v_lshlrev_b32_e32 v173, 2, v7
	;; [unrolled: 1-line block ×3, first 2 shown]
	v_mul_lo_u32 v92, v1, s4
	v_mul_lo_u32 v94, v10, s4
	;; [unrolled: 1-line block ×19, first 2 shown]
	v_mad_u32_u24 v175, v41, s16, 64
	v_lshlrev_b32_e32 v176, 2, v55
	v_lshlrev_b32_e32 v177, 2, v73
	v_mov_b64_e32 v[38:39], v[76:77]
	v_mov_b64_e32 v[30:31], v[76:77]
	;; [unrolled: 1-line block ×15, first 2 shown]
	scratch_store_dword off, v63, off offset:80 ; 4-byte Folded Spill
	scratch_store_dwordx2 off, v[0:1], off offset:72 ; 8-byte Folded Spill
.LBB172_5:                              ; =>This Loop Header: Depth=1
                                        ;     Child Loop BB172_6 Depth 2
                                        ;     Child Loop BB172_8 Depth 2
	s_mul_i32 s0, s9, 0x90
	s_mul_hi_u32 s1, s9, 0x90
	s_add_u32 s0, s7, s0
	s_addc_u32 s1, s8, s1
	v_mov_b64_e32 v[0:1], s[0:1]
	v_mad_u64_u32 v[2:3], s[0:1], v40, s5, v[0:1]
	v_mad_i64_i32 v[4:5], s[0:1], v92, s5, v[2:3]
	v_mad_i64_i32 v[6:7], s[0:1], v94, s5, v[2:3]
	;; [unrolled: 1-line block ×8, first 2 shown]
	v_lshl_add_u64 v[4:5], v[4:5], 0, v[42:43]
	v_lshl_add_u64 v[6:7], v[6:7], 0, v[42:43]
	;; [unrolled: 1-line block ×8, first 2 shown]
	global_load_dword v46, v[4:5], off offset:16
	global_load_dword v48, v[6:7], off offset:16
	;; [unrolled: 1-line block ×7, first 2 shown]
	s_nop 0
	global_load_dword v60, v[60:61], off offset:16
	v_mad_i64_i32 v[4:5], s[0:1], v108, s5, v[2:3]
	v_mad_i64_i32 v[6:7], s[0:1], v110, s5, v[2:3]
	v_mad_i64_i32 v[8:9], s[0:1], v112, s5, v[2:3]
	v_mad_i64_i32 v[10:11], s[0:1], v114, s5, v[2:3]
	v_mad_i64_i32 v[12:13], s[0:1], v116, s5, v[2:3]
	v_mad_i64_i32 v[14:15], s[0:1], v118, s5, v[2:3]
	v_mad_i64_i32 v[44:45], s[0:1], v120, s5, v[2:3]
	v_mad_i64_i32 v[2:3], s[0:1], v122, s5, v[2:3]
	v_lshl_add_u64 v[4:5], v[4:5], 0, v[42:43]
	v_lshl_add_u64 v[44:45], v[44:45], 0, v[42:43]
	;; [unrolled: 1-line block ×8, first 2 shown]
	global_load_dword v61, v[4:5], off offset:16
	global_load_dword v125, v[6:7], off offset:16
	;; [unrolled: 1-line block ×6, first 2 shown]
	s_nop 0
	global_load_dword v44, v[44:45], off offset:16
	s_nop 0
	global_load_dword v45, v[2:3], off offset:16
	s_nop 0
	scratch_load_dwordx2 v[2:3], off, off offset:72 ; 8-byte Folded Reload
	v_mad_i64_i32 v[4:5], s[0:1], v126, s5, v[0:1]
	s_lshl_b32 s16, s9, 3
	v_lshl_add_u64 v[6:7], v[4:5], 0, v[88:89]
	v_lshl_add_u64 v[4:5], v[4:5], 0, v[90:91]
	v_add_u32_e32 v14, s16, v73
	v_add_u32_e32 v178, s16, v80
	v_add_u32_e32 v10, v14, v99
	v_add_u32_e32 v12, v14, v101
	v_mad_i64_i32 v[10:11], s[0:1], v10, 36, v[86:87]
	v_mad_i64_i32 v[12:13], s[0:1], v12, 36, v[86:87]
	s_mov_b32 s18, 0
	s_waitcnt vmcnt(0)
	v_mad_i64_i32 v[2:3], s[0:1], v2, s5, v[0:1]
	v_mad_i64_i32 v[0:1], s[0:1], v128, s5, v[0:1]
	v_lshl_add_u64 v[8:9], v[0:1], 0, v[88:89]
	v_lshl_add_u64 v[0:1], v[0:1], 0, v[90:91]
	global_load_dword v134, v[2:3], off
	global_load_dword v135, v[6:7], off offset:4
	global_load_dword v136, v[4:5], off offset:4
	;; [unrolled: 1-line block ×4, first 2 shown]
	v_add_u32_e32 v0, v14, v81
	v_add_u32_e32 v2, v14, v83
	v_add_u32_e32 v4, v14, v85
	v_add_u32_e32 v6, v14, v95
	v_add_u32_e32 v8, v14, v97
	v_mad_i64_i32 v[0:1], s[0:1], v0, 36, v[86:87]
	v_mad_i64_i32 v[2:3], s[0:1], v2, 36, v[86:87]
	;; [unrolled: 1-line block ×5, first 2 shown]
	v_add_u32_e32 v14, v14, v103
	v_mad_i64_i32 v[14:15], s[0:1], v14, 36, v[86:87]
	global_load_dword v139, v[0:1], off offset:4
	s_nop 0
	global_load_dword v2, v[2:3], off offset:4
	s_nop 0
	;; [unrolled: 2-line block ×3, first 2 shown]
	global_load_dword v4, v[6:7], off offset:4
	global_load_dword v5, v[8:9], off offset:4
	s_nop 0
	global_load_dword v6, v[10:11], off offset:4
	global_load_dword v7, v[12:13], off offset:4
	;; [unrolled: 1-line block ×3, first 2 shown]
	v_mad_u64_u32 v[0:1], s[0:1], v178, 36, s[2:3]
	global_load_dword v0, v[0:1], off
	s_nop 0
	scratch_load_dwordx2 v[10:11], off, off ; 8-byte Folded Reload
	s_mov_b64 s[0:1], -1
	s_waitcnt vmcnt(13)
	v_ashrrev_i32_e32 v1, v51, v135
	v_and_b32_e32 v1, 0xf0f0f0f, v1
	s_waitcnt vmcnt(12)
	v_ashrrev_i32_e32 v9, v171, v136
	v_and_or_b32 v1, v9, s11, v1
	s_waitcnt vmcnt(10)
	v_ashrrev_i32_e32 v9, v171, v138
	s_waitcnt vmcnt(0)
	ds_write_b32 v10, v46
	scratch_load_dwordx2 v[10:11], off, off offset:8 ; 8-byte Folded Reload
	s_waitcnt vmcnt(0)
	ds_write_b32 v10, v48
	scratch_load_dwordx2 v[10:11], off, off offset:16 ; 8-byte Folded Reload
	;; [unrolled: 3-line block ×6, first 2 shown]
	s_waitcnt vmcnt(0)
	ds_write_b32 v10, v124
	ds_write_b32 v58, v60
	scratch_load_dwordx2 v[10:11], off, off offset:56 ; 8-byte Folded Reload
	s_waitcnt vmcnt(0)
	ds_write_b32 v10, v61
	scratch_load_dwordx2 v[10:11], off, off offset:64 ; 8-byte Folded Reload
	s_waitcnt vmcnt(0)
	ds_write_b32 v10, v125
	ds_write_b32 v66, v130
	;; [unrolled: 1-line block ×9, first 2 shown]
	v_ashrrev_i32_e32 v1, v51, v137
	v_and_b32_e32 v1, 0xf0f0f0f, v1
	v_and_or_b32 v1, v9, s11, v1
	ds_write_b32 v52, v1
	ds_write_b32 v157, v139
	;; [unrolled: 1-line block ×10, first 2 shown]
	s_waitcnt lgkmcnt(0)
	s_barrier
	ds_read_b32 v0, v53
	ds_read_b32 v1, v57 offset:128
	ds_read_b32 v2, v59 offset:256
	;; [unrolled: 1-line block ×3, first 2 shown]
	s_waitcnt lgkmcnt(3)
	v_cvt_f32_f16_e32 v130, v0
	v_cvt_f32_f16_sdwa v132, v0 dst_sel:DWORD dst_unused:UNUSED_PAD src0_sel:WORD_1
	s_waitcnt lgkmcnt(2)
	v_cvt_f32_f16_e32 v134, v1
	v_cvt_f32_f16_sdwa v136, v1 dst_sel:DWORD dst_unused:UNUSED_PAD src0_sel:WORD_1
	;; [unrolled: 3-line block ×4, first 2 shown]
	v_mov_b32_e32 v131, v130
	v_mov_b32_e32 v133, v132
	;; [unrolled: 1-line block ×8, first 2 shown]
.LBB172_6:                              ;   Parent Loop BB172_5 Depth=1
                                        ; =>  This Inner Loop Header: Depth=2
	s_lshl_b32 s17, s18, 1
	s_lshr_b32 s19, s18, 2
	v_or_b32_e32 v0, s17, v47
	s_lshl_b32 s18, s18, 2
	v_mul_u32_u24_e32 v44, 0x84, v41
	v_lshlrev_b32_e32 v1, 2, v0
	v_add_u32_e32 v48, s18, v44
	v_lshrrev_b32_e32 v162, 1, v0
	ds_read_b128 v[12:15], v1 offset:16896
	ds_read_b128 v[8:11], v1 offset:16912
	;; [unrolled: 1-line block ×4, first 2 shown]
	ds_read2_b32 v[44:45], v48 offset1:1
	ds_read2_b32 v[60:61], v48 offset0:2 offset1:3
	ds_read2_b32 v[62:63], v48 offset0:4 offset1:5
	;; [unrolled: 1-line block ×3, first 2 shown]
	s_addk_i32 s19, 0x6200
	s_waitcnt lgkmcnt(3)
	v_and_b32_e32 v191, 0xf0f0f0f, v44
	v_lshrrev_b32_e32 v44, 4, v44
	v_and_b32_e32 v193, 0xf0f0f0f, v44
	v_lshrrev_b32_e32 v44, 4, v45
	v_add3_u32 v46, s19, v177, v69
	v_and_b32_e32 v211, 0xf0f0f0f, v44
	s_waitcnt lgkmcnt(2)
	v_lshrrev_b32_e32 v44, 4, v60
	ds_read_u16 v48, v46
	ds_read_u16 v46, v46 offset:8
	v_and_b32_e32 v212, 0xf0f0f0f, v44
	v_lshrrev_b32_e32 v44, 4, v61
	v_and_b32_e32 v213, 0xf0f0f0f, v44
	s_waitcnt lgkmcnt(3)
	v_lshrrev_b32_e32 v44, 4, v62
	v_and_b32_e32 v214, 0xf0f0f0f, v44
	v_lshrrev_b32_e32 v44, 4, v63
	v_and_b32_e32 v215, 0xf0f0f0f, v44
	s_waitcnt lgkmcnt(2)
	v_lshrrev_b32_e32 v44, 4, v164
	s_waitcnt lgkmcnt(1)
	v_and_b32_e32 v190, 0xff, v48
	v_and_b32_e32 v216, 0xf0f0f0f, v44
	v_lshrrev_b32_e32 v44, 4, v165
	v_lshrrev_b16_e32 v210, 8, v48
	v_add_u32_e32 v48, s18, v119
	v_and_b32_e32 v194, 0xf0f0f0f, v45
	v_and_b32_e32 v217, 0xf0f0f0f, v44
	ds_read2_b32 v[44:45], v48 offset1:1
	v_and_b32_e32 v195, 0xf0f0f0f, v60
	v_and_b32_e32 v196, 0xf0f0f0f, v61
	ds_read2_b32 v[60:61], v48 offset0:2 offset1:3
	v_and_b32_e32 v197, 0xf0f0f0f, v62
	v_and_b32_e32 v198, 0xf0f0f0f, v63
	ds_read2_b32 v[62:63], v48 offset0:4 offset1:5
	;; [unrolled: 3-line block ×3, first 2 shown]
	s_waitcnt lgkmcnt(3)
	v_and_b32_e32 v189, 0xf0f0f0f, v44
	v_lshrrev_b32_e32 v44, 4, v44
	v_and_b32_e32 v202, 0xf0f0f0f, v44
	v_lshrrev_b32_e32 v44, 4, v45
	v_and_b32_e32 v219, 0xf0f0f0f, v44
	s_waitcnt lgkmcnt(2)
	v_lshrrev_b32_e32 v44, 4, v60
	v_cvt_f32_ubyte0_e32 v150, v46
	v_cvt_f32_ubyte1_e32 v154, v46
	v_add3_u32 v46, s19, v176, v172
	v_and_b32_e32 v220, 0xf0f0f0f, v44
	v_lshrrev_b32_e32 v44, 4, v61
	ds_read_u16 v48, v46
	ds_read_u16 v46, v46 offset:8
	v_and_b32_e32 v221, 0xf0f0f0f, v44
	s_waitcnt lgkmcnt(3)
	v_lshrrev_b32_e32 v44, 4, v62
	v_and_b32_e32 v222, 0xf0f0f0f, v44
	v_lshrrev_b32_e32 v44, 4, v63
	v_and_b32_e32 v224, 0xf0f0f0f, v44
	s_waitcnt lgkmcnt(2)
	v_lshrrev_b32_e32 v44, 4, v164
	v_and_b32_e32 v225, 0xf0f0f0f, v44
	v_lshrrev_b32_e32 v44, 4, v165
	v_and_b32_e32 v203, 0xf0f0f0f, v45
	v_and_b32_e32 v226, 0xf0f0f0f, v44
	v_add3_u32 v44, s19, v170, v173
	v_add_u32_e32 v45, s18, v121
	v_and_b32_e32 v204, 0xf0f0f0f, v60
	v_and_b32_e32 v205, 0xf0f0f0f, v61
	;; [unrolled: 1-line block ×6, first 2 shown]
	s_waitcnt lgkmcnt(0)
	v_cvt_f32_ubyte0_e32 v152, v46
	v_cvt_f32_ubyte1_e32 v156, v46
	ds_read2_b32 v[60:61], v45 offset1:1
	ds_read2_b32 v[62:63], v45 offset0:2 offset1:3
	ds_read2_b32 v[164:165], v45 offset0:4 offset1:5
	;; [unrolled: 1-line block ×3, first 2 shown]
	ds_read_u16 v46, v44
	ds_read_u16 v44, v44 offset:8
	v_and_b32_e32 v201, 0xff, v48
	v_lshrrev_b16_e32 v223, 8, v48
	s_waitcnt lgkmcnt(5)
	v_and_b32_e32 v192, 0xf0f0f0f, v60
	s_waitcnt lgkmcnt(1)
	v_and_b32_e32 v227, 0xff, v46
	v_lshrrev_b16_e32 v240, 8, v46
	v_add_u32_e32 v46, s18, v123
	v_and_b32_e32 v229, 0xf0f0f0f, v61
	v_lshrrev_b32_e32 v45, 4, v60
	v_lshrrev_b32_e32 v48, 4, v61
	ds_read2_b32 v[60:61], v46 offset1:1
	v_mov_b32_e32 v251, 0
	v_mov_b32_e32 v252, 0
	;; [unrolled: 1-line block ×4, first 2 shown]
	s_waitcnt lgkmcnt(0)
	v_and_b32_e32 v218, 0xf0f0f0f, v60
	v_dot4c_i32_i8_e32 v251, v191, v12
	v_dot4c_i32_i8_e32 v252, v189, v12
	;; [unrolled: 1-line block ×4, first 2 shown]
	v_and_b32_e32 v244, 0xf0f0f0f, v61
	v_dot4c_i32_i8_e32 v251, v194, v13
	v_dot4c_i32_i8_e32 v252, v203, v13
	;; [unrolled: 1-line block ×4, first 2 shown]
	ds_read2_b32 v[12:13], v46 offset0:2 offset1:3
	v_and_b32_e32 v230, 0xf0f0f0f, v62
	v_dot4c_i32_i8_e32 v251, v195, v14
	v_dot4c_i32_i8_e32 v252, v204, v14
	;; [unrolled: 1-line block ×3, first 2 shown]
	s_waitcnt lgkmcnt(0)
	v_and_b32_e32 v245, 0xf0f0f0f, v12
	v_and_b32_e32 v231, 0xf0f0f0f, v63
	v_dot4c_i32_i8_e32 v93, v245, v14
	v_and_b32_e32 v246, 0xf0f0f0f, v13
	v_dot4c_i32_i8_e32 v251, v196, v15
	v_dot4c_i32_i8_e32 v252, v205, v15
	v_dot4c_i32_i8_e32 v255, v231, v15
	v_dot4c_i32_i8_e32 v93, v246, v15
	ds_read2_b32 v[14:15], v46 offset0:4 offset1:5
	v_and_b32_e32 v232, 0xf0f0f0f, v164
	v_dot4c_i32_i8_e32 v251, v197, v8
	v_dot4c_i32_i8_e32 v252, v206, v8
	;; [unrolled: 1-line block ×3, first 2 shown]
	s_waitcnt lgkmcnt(0)
	v_and_b32_e32 v247, 0xf0f0f0f, v14
	v_and_b32_e32 v233, 0xf0f0f0f, v165
	v_dot4c_i32_i8_e32 v93, v247, v8
	v_and_b32_e32 v248, 0xf0f0f0f, v15
	v_dot4c_i32_i8_e32 v251, v198, v9
	v_dot4c_i32_i8_e32 v252, v207, v9
	;; [unrolled: 1-line block ×4, first 2 shown]
	ds_read2_b32 v[8:9], v46 offset0:6 offset1:7
	v_and_b32_e32 v234, 0xf0f0f0f, v166
	v_dot4c_i32_i8_e32 v251, v199, v10
	v_dot4c_i32_i8_e32 v252, v208, v10
	;; [unrolled: 1-line block ×3, first 2 shown]
	s_waitcnt lgkmcnt(0)
	v_and_b32_e32 v249, 0xf0f0f0f, v8
	v_and_b32_e32 v235, 0xf0f0f0f, v167
	v_cvt_f32_ubyte0_e32 v158, v44
	v_cvt_f32_ubyte1_e32 v160, v44
	v_add3_u32 v44, s19, v161, v174
	v_dot4c_i32_i8_e32 v93, v249, v10
	v_and_b32_e32 v250, 0xf0f0f0f, v9
	v_dot4c_i32_i8_e32 v251, v200, v11
	v_dot4c_i32_i8_e32 v252, v209, v11
	;; [unrolled: 1-line block ×4, first 2 shown]
	ds_read_u16 v10, v44
	ds_read_u16 v11, v44 offset:8
	v_lshrrev_b32_e32 v44, 4, v60
	v_mov_b32_e32 v253, 0
	v_mov_b32_e32 v254, 0
	v_and_b32_e32 v228, 0xf0f0f0f, v45
	v_mov_b32_e32 v45, 0
	v_and_b32_e32 v187, 0xf0f0f0f, v44
	v_mov_b32_e32 v44, 0
	v_dot4c_i32_i8_e32 v253, v193, v4
	v_dot4c_i32_i8_e32 v254, v202, v4
	v_dot4c_i32_i8_e32 v45, v228, v4
	v_dot4c_i32_i8_e32 v44, v187, v4
	v_lshrrev_b32_e32 v4, 4, v61
	v_and_b32_e32 v236, 0xf0f0f0f, v48
	v_lshrrev_b32_e32 v48, 4, v62
	v_and_b32_e32 v188, 0xf0f0f0f, v4
	v_lshrrev_b32_e32 v4, 4, v12
	v_dot4c_i32_i8_e32 v253, v211, v5
	v_dot4c_i32_i8_e32 v254, v219, v5
	v_dot4c_i32_i8_e32 v45, v236, v5
	v_and_b32_e32 v237, 0xf0f0f0f, v48
	v_lshrrev_b32_e32 v48, 4, v63
	v_dot4c_i32_i8_e32 v44, v188, v5
	v_and_b32_e32 v186, 0xf0f0f0f, v4
	v_lshrrev_b32_e32 v4, 4, v13
	v_dot4c_i32_i8_e32 v253, v212, v6
	v_dot4c_i32_i8_e32 v254, v220, v6
	v_dot4c_i32_i8_e32 v45, v237, v6
	v_and_b32_e32 v238, 0xf0f0f0f, v48
	v_lshrrev_b32_e32 v48, 4, v164
	v_dot4c_i32_i8_e32 v44, v186, v6
	v_and_b32_e32 v181, 0xf0f0f0f, v4
	v_lshrrev_b32_e32 v4, 4, v14
	v_dot4c_i32_i8_e32 v253, v213, v7
	v_dot4c_i32_i8_e32 v254, v221, v7
	;; [unrolled: 1-line block ×3, first 2 shown]
	v_and_b32_e32 v239, 0xf0f0f0f, v48
	v_dot4c_i32_i8_e32 v44, v181, v7
	v_and_b32_e32 v182, 0xf0f0f0f, v4
	v_dot4c_i32_i8_e32 v253, v214, v0
	v_dot4c_i32_i8_e32 v254, v222, v0
	;; [unrolled: 1-line block ×4, first 2 shown]
	v_lshrrev_b32_e32 v0, 4, v15
	v_lshrrev_b32_e32 v48, 4, v165
	v_and_b32_e32 v183, 0xf0f0f0f, v0
	v_lshrrev_b32_e32 v0, 4, v8
	v_and_b32_e32 v241, 0xf0f0f0f, v48
	;; [unrolled: 2-line block ×3, first 2 shown]
	v_lshrrev_b32_e32 v0, 4, v9
	v_dot4c_i32_i8_e32 v253, v215, v1
	v_dot4c_i32_i8_e32 v254, v224, v1
	;; [unrolled: 1-line block ×3, first 2 shown]
	v_and_b32_e32 v242, 0xf0f0f0f, v48
	v_lshrrev_b32_e32 v48, 4, v167
	v_dot4c_i32_i8_e32 v44, v183, v1
	v_and_b32_e32 v185, 0xf0f0f0f, v0
	v_or_b32_e32 v0, s17, v105
	v_dot4c_i32_i8_e32 v253, v216, v2
	v_dot4c_i32_i8_e32 v254, v225, v2
	;; [unrolled: 1-line block ×3, first 2 shown]
	v_and_b32_e32 v243, 0xf0f0f0f, v48
	v_dot4c_i32_i8_e32 v44, v184, v2
	v_lshlrev_b32_e32 v1, 2, v0
	v_dot4c_i32_i8_e32 v253, v217, v3
	v_dot4c_i32_i8_e32 v254, v226, v3
	;; [unrolled: 1-line block ×3, first 2 shown]
	s_waitcnt lgkmcnt(1)
	v_and_b32_e32 v180, 0xff, v10
	s_waitcnt lgkmcnt(0)
	v_cvt_f32_ubyte0_e32 v148, v11
	v_dot4c_i32_i8_e32 v44, v185, v3
	v_lshrrev_b16_e32 v179, 8, v10
	v_cvt_f32_ubyte1_e32 v146, v11
	v_lshrrev_b32_e32 v46, 1, v0
	ds_read_b128 v[12:15], v1 offset:16896
	ds_read_b128 v[8:11], v1 offset:16912
	;; [unrolled: 1-line block ×4, first 2 shown]
	v_mov_b32_e32 v48, 0
	s_waitcnt lgkmcnt(3)
	v_dot4c_i32_i8_e32 v48, v191, v12
	v_mov_b32_e32 v49, 0
	v_dot4c_i32_i8_e32 v48, v194, v13
	s_waitcnt lgkmcnt(1)
	v_dot4c_i32_i8_e32 v49, v193, v4
	v_dot4c_i32_i8_e32 v48, v195, v14
	;; [unrolled: 1-line block ×7, first 2 shown]
	ds_read_b64 v[60:61], v162 offset:27200
	ds_read_b64 v[62:63], v46 offset:27200
	v_dot4c_i32_i8_e32 v48, v198, v9
	s_waitcnt lgkmcnt(2)
	v_dot4c_i32_i8_e32 v49, v214, v0
	v_dot4c_i32_i8_e32 v48, v199, v10
	;; [unrolled: 1-line block ×6, first 2 shown]
	v_mul_lo_u32 v46, v251, v190
	v_mul_lo_u32 v48, v48, v190
	s_waitcnt lgkmcnt(0)
	v_cvt_f32_f16_e32 v167, v62
	v_cvt_f32_f16_e32 v166, v60
	v_cvt_f32_f16_sdwa v169, v62 dst_sel:DWORD dst_unused:UNUSED_PAD src0_sel:WORD_1
	v_cvt_f32_f16_sdwa v168, v60 dst_sel:DWORD dst_unused:UNUSED_PAD src0_sel:WORD_1
	v_cvt_f32_f16_e32 v162, v61
	v_cvt_f32_f16_sdwa v164, v61 dst_sel:DWORD dst_unused:UNUSED_PAD src0_sel:WORD_1
	v_cvt_f32_i32_e32 v61, v48
	v_cvt_f32_i32_e32 v60, v46
	v_mul_lo_u32 v46, v253, v210
	v_mul_lo_u32 v48, v49, v210
	v_cvt_f32_f16_e32 v163, v63
	v_cvt_f32_f16_sdwa v165, v63 dst_sel:DWORD dst_unused:UNUSED_PAD src0_sel:WORD_1
	v_cvt_f32_i32_e32 v49, v48
	v_cvt_f32_i32_e32 v48, v46
	v_pk_fma_f32 v[60:61], v[166:167], v[60:61], 0 op_sel_hi:[1,1,0]
	v_pk_fma_f32 v[62:63], v[150:151], v[168:169], 0 op_sel_hi:[0,1,0]
	v_mov_b32_e32 v46, 0
	v_pk_fma_f32 v[48:49], v[162:163], v[48:49], v[60:61]
	v_pk_fma_f32 v[60:61], v[154:155], v[164:165], v[62:63] op_sel_hi:[0,1,1]
	v_dot4c_i32_i8_e32 v46, v189, v12
	v_mov_b32_e32 v62, 0
	v_dot4c_i32_i8_e32 v46, v203, v13
	v_dot4c_i32_i8_e32 v62, v202, v4
	;; [unrolled: 1-line block ×10, first 2 shown]
	v_pk_mul_f32 v[60:61], v[60:61], v[132:133]
	v_dot4c_i32_i8_e32 v46, v208, v10
	v_dot4c_i32_i8_e32 v62, v224, v1
	v_pk_fma_f32 v[48:49], v[48:49], v[130:131], v[60:61] neg_lo:[0,0,1] neg_hi:[0,0,1]
	v_dot4c_i32_i8_e32 v46, v209, v11
	v_dot4c_i32_i8_e32 v62, v225, v2
	v_pk_add_f32 v[76:77], v[76:77], v[48:49]
	v_dot4c_i32_i8_e32 v62, v226, v3
	v_mul_lo_u32 v48, v252, v201
	v_mul_lo_u32 v46, v46, v201
	v_cvt_f32_i32_e32 v49, v46
	v_cvt_f32_i32_e32 v48, v48
	v_mul_lo_u32 v46, v254, v223
	v_mul_lo_u32 v62, v62, v223
	v_cvt_f32_i32_e32 v63, v62
	v_cvt_f32_i32_e32 v62, v46
	v_pk_fma_f32 v[48:49], v[166:167], v[48:49], 0 op_sel_hi:[1,1,0]
	v_mov_b32_e32 v46, 0
	v_dot4c_i32_i8_e32 v46, v192, v12
	v_pk_fma_f32 v[48:49], v[162:163], v[62:63], v[48:49]
	v_mov_b32_e32 v62, 0
	v_dot4c_i32_i8_e32 v46, v229, v13
	v_dot4c_i32_i8_e32 v62, v228, v4
	;; [unrolled: 1-line block ×8, first 2 shown]
	v_pk_fma_f32 v[60:61], v[152:153], v[168:169], 0 op_sel_hi:[0,1,0]
	v_dot4c_i32_i8_e32 v46, v233, v9
	v_dot4c_i32_i8_e32 v62, v239, v0
	v_pk_fma_f32 v[60:61], v[156:157], v[164:165], v[60:61] op_sel_hi:[0,1,1]
	v_dot4c_i32_i8_e32 v46, v234, v10
	v_dot4c_i32_i8_e32 v62, v241, v1
	v_pk_mul_f32 v[60:61], v[60:61], v[136:137]
	v_dot4c_i32_i8_e32 v46, v235, v11
	v_dot4c_i32_i8_e32 v62, v242, v2
	v_pk_fma_f32 v[48:49], v[48:49], v[134:135], v[60:61] neg_lo:[0,0,1] neg_hi:[0,0,1]
	v_dot4c_i32_i8_e32 v62, v243, v3
	v_mul_lo_u32 v46, v46, v227
	v_mul_lo_u32 v45, v45, v240
	v_pk_add_f32 v[78:79], v[78:79], v[48:49]
	v_cvt_f32_i32_e32 v49, v46
	v_mul_lo_u32 v46, v62, v240
	v_cvt_f32_i32_e32 v62, v45
	v_mov_b32_e32 v45, 0
	v_dot4c_i32_i8_e32 v45, v218, v12
	v_dot4c_i32_i8_e32 v45, v244, v13
	v_dot4c_i32_i8_e32 v45, v245, v14
	v_dot4c_i32_i8_e32 v45, v246, v15
	v_dot4c_i32_i8_e32 v45, v247, v8
	v_mov_b32_e32 v8, 0
	v_dot4c_i32_i8_e32 v8, v187, v4
	v_dot4c_i32_i8_e32 v8, v188, v5
	v_dot4c_i32_i8_e32 v8, v186, v6
	v_dot4c_i32_i8_e32 v8, v181, v7
	v_dot4c_i32_i8_e32 v45, v248, v9
	v_dot4c_i32_i8_e32 v8, v182, v0
	v_dot4c_i32_i8_e32 v45, v249, v10
	v_dot4c_i32_i8_e32 v8, v183, v1
	v_dot4c_i32_i8_e32 v45, v250, v11
	v_dot4c_i32_i8_e32 v8, v184, v2
	v_dot4c_i32_i8_e32 v8, v185, v3
	v_mul_lo_u32 v0, v93, v180
	v_mul_lo_u32 v1, v45, v180
	v_cvt_f32_i32_e32 v1, v1
	v_cvt_f32_i32_e32 v0, v0
	v_mul_lo_u32 v4, v44, v179
	v_mul_lo_u32 v5, v8, v179
	v_cvt_f32_i32_e32 v5, v5
	v_cvt_f32_i32_e32 v4, v4
	v_pk_fma_f32 v[2:3], v[148:149], v[168:169], 0 op_sel_hi:[0,1,0]
	v_mul_lo_u32 v48, v255, v227
	v_pk_fma_f32 v[0:1], v[166:167], v[0:1], 0 op_sel_hi:[1,1,0]
	v_pk_fma_f32 v[2:3], v[146:147], v[164:165], v[2:3] op_sel_hi:[0,1,1]
	v_cvt_f32_i32_e32 v48, v48
	v_pk_fma_f32 v[0:1], v[162:163], v[4:5], v[0:1]
	v_pk_mul_f32 v[2:3], v[2:3], v[144:145]
	v_cvt_f32_i32_e32 v63, v46
	v_pk_fma_f32 v[0:1], v[0:1], v[142:143], v[2:3] neg_lo:[0,0,1] neg_hi:[0,0,1]
	v_pk_fma_f32 v[60:61], v[158:159], v[168:169], 0 op_sel_hi:[0,1,0]
	v_pk_add_f32 v[64:65], v[64:65], v[0:1]
	v_or_b32_e32 v0, s17, v107
	v_lshlrev_b32_e32 v1, 2, v0
	v_pk_fma_f32 v[48:49], v[166:167], v[48:49], 0 op_sel_hi:[1,1,0]
	v_pk_fma_f32 v[60:61], v[160:161], v[164:165], v[60:61] op_sel_hi:[0,1,1]
	v_lshrrev_b32_e32 v93, 1, v0
	ds_read_b128 v[12:15], v1 offset:16896
	ds_read_b128 v[8:11], v1 offset:16912
	;; [unrolled: 1-line block ×4, first 2 shown]
	v_pk_fma_f32 v[48:49], v[162:163], v[62:63], v[48:49]
	v_pk_mul_f32 v[60:61], v[60:61], v[140:141]
	v_mov_b32_e32 v124, 0
	v_pk_fma_f32 v[48:49], v[48:49], v[138:139], v[60:61] neg_lo:[0,0,1] neg_hi:[0,0,1]
	v_mov_b32_e32 v251, 0
	v_pk_add_f32 v[74:75], v[74:75], v[48:49]
	v_mov_b32_e32 v49, 0
	v_mov_b32_e32 v252, 0
	;; [unrolled: 1-line block ×6, first 2 shown]
	s_waitcnt lgkmcnt(3)
	v_dot4c_i32_i8_e32 v49, v191, v12
	s_waitcnt lgkmcnt(1)
	v_dot4c_i32_i8_e32 v124, v193, v4
	v_dot4c_i32_i8_e32 v251, v189, v12
	;; [unrolled: 1-line block ×32, first 2 shown]
	s_waitcnt lgkmcnt(0)
	v_dot4c_i32_i8_e32 v124, v214, v0
	v_dot4c_i32_i8_e32 v251, v206, v8
	;; [unrolled: 1-line block ×15, first 2 shown]
	v_or_b32_e32 v0, s17, v109
	v_dot4c_i32_i8_e32 v49, v199, v10
	v_dot4c_i32_i8_e32 v124, v216, v2
	;; [unrolled: 1-line block ×8, first 2 shown]
	v_lshlrev_b32_e32 v1, 2, v0
	v_dot4c_i32_i8_e32 v49, v200, v11
	v_dot4c_i32_i8_e32 v124, v217, v3
	v_dot4c_i32_i8_e32 v251, v209, v11
	v_dot4c_i32_i8_e32 v252, v226, v3
	v_dot4c_i32_i8_e32 v46, v235, v11
	v_dot4c_i32_i8_e32 v48, v243, v3
	v_dot4c_i32_i8_e32 v44, v250, v11
	v_dot4c_i32_i8_e32 v45, v185, v3
	v_lshrrev_b32_e32 v62, 1, v0
	ds_read_b128 v[12:15], v1 offset:16896
	ds_read_b128 v[8:11], v1 offset:16912
	;; [unrolled: 1-line block ×4, first 2 shown]
	v_mov_b32_e32 v125, 0
	s_waitcnt lgkmcnt(3)
	v_dot4c_i32_i8_e32 v125, v191, v12
	v_dot4c_i32_i8_e32 v125, v194, v13
	v_mov_b32_e32 v253, 0
	v_dot4c_i32_i8_e32 v125, v195, v14
	s_waitcnt lgkmcnt(1)
	v_dot4c_i32_i8_e32 v253, v193, v4
	v_dot4c_i32_i8_e32 v125, v196, v15
	;; [unrolled: 1-line block ×5, first 2 shown]
	ds_read_b64 v[60:61], v93 offset:27200
	ds_read_b64 v[62:63], v62 offset:27200
	v_dot4c_i32_i8_e32 v125, v198, v9
	v_dot4c_i32_i8_e32 v253, v213, v7
	;; [unrolled: 1-line block ×3, first 2 shown]
	s_waitcnt lgkmcnt(2)
	v_dot4c_i32_i8_e32 v253, v214, v0
	v_dot4c_i32_i8_e32 v125, v200, v11
	;; [unrolled: 1-line block ×4, first 2 shown]
	s_waitcnt lgkmcnt(1)
	v_cvt_f32_f16_e32 v166, v60
	v_cvt_f32_f16_sdwa v168, v60 dst_sel:DWORD dst_unused:UNUSED_PAD src0_sel:WORD_1
	v_mul_lo_u32 v49, v49, v190
	v_mul_lo_u32 v60, v125, v190
	v_dot4c_i32_i8_e32 v253, v217, v3
	v_cvt_f32_f16_e32 v162, v61
	v_cvt_f32_f16_sdwa v164, v61 dst_sel:DWORD dst_unused:UNUSED_PAD src0_sel:WORD_1
	v_cvt_f32_i32_e32 v61, v60
	v_cvt_f32_i32_e32 v60, v49
	v_mul_lo_u32 v49, v124, v210
	v_mul_lo_u32 v93, v253, v210
	v_cvt_f32_i32_e32 v254, v49
	v_mov_b32_e32 v49, 0
	v_cvt_f32_i32_e32 v255, v93
	v_dot4c_i32_i8_e32 v49, v189, v12
	v_mov_b32_e32 v93, 0
	s_waitcnt lgkmcnt(0)
	v_cvt_f32_f16_sdwa v169, v62 dst_sel:DWORD dst_unused:UNUSED_PAD src0_sel:WORD_1
	v_dot4c_i32_i8_e32 v49, v203, v13
	v_dot4c_i32_i8_e32 v93, v202, v4
	v_cvt_f32_f16_e32 v167, v62
	v_cvt_f32_f16_sdwa v165, v63 dst_sel:DWORD dst_unused:UNUSED_PAD src0_sel:WORD_1
	v_dot4c_i32_i8_e32 v49, v204, v14
	v_dot4c_i32_i8_e32 v93, v219, v5
	v_cvt_f32_f16_e32 v163, v63
	v_dot4c_i32_i8_e32 v49, v205, v15
	v_dot4c_i32_i8_e32 v93, v220, v6
	;; [unrolled: 1-line block ×4, first 2 shown]
	v_pk_fma_f32 v[62:63], v[150:151], v[168:169], 0 op_sel_hi:[0,1,0]
	v_dot4c_i32_i8_e32 v49, v207, v9
	v_dot4c_i32_i8_e32 v93, v222, v0
	v_pk_fma_f32 v[60:61], v[60:61], v[166:167], 0 op_sel_hi:[1,1,0]
	v_pk_fma_f32 v[62:63], v[154:155], v[164:165], v[62:63] op_sel_hi:[0,1,1]
	v_dot4c_i32_i8_e32 v49, v208, v10
	v_dot4c_i32_i8_e32 v93, v224, v1
	v_pk_fma_f32 v[60:61], v[254:255], v[162:163], v[60:61]
	v_pk_mul_f32 v[62:63], v[62:63], v[132:133]
	v_dot4c_i32_i8_e32 v49, v209, v11
	v_dot4c_i32_i8_e32 v93, v225, v2
	v_pk_fma_f32 v[60:61], v[60:61], v[130:131], v[62:63] neg_lo:[0,0,1] neg_hi:[0,0,1]
	v_dot4c_i32_i8_e32 v93, v226, v3
	v_mul_lo_u32 v49, v49, v201
	v_pk_add_f32 v[38:39], v[38:39], v[60:61]
	v_cvt_f32_i32_e32 v61, v49
	v_mul_lo_u32 v49, v252, v223
	v_mul_lo_u32 v93, v93, v223
	v_cvt_f32_i32_e32 v253, v93
	v_cvt_f32_i32_e32 v252, v49
	v_mov_b32_e32 v49, 0
	v_mov_b32_e32 v93, 0
	v_mul_lo_u32 v60, v251, v201
	v_dot4c_i32_i8_e32 v49, v192, v12
	v_dot4c_i32_i8_e32 v93, v228, v4
	v_cvt_f32_i32_e32 v60, v60
	v_dot4c_i32_i8_e32 v49, v229, v13
	v_dot4c_i32_i8_e32 v93, v236, v5
	;; [unrolled: 1-line block ×6, first 2 shown]
	v_pk_fma_f32 v[62:63], v[152:153], v[168:169], 0 op_sel_hi:[0,1,0]
	v_dot4c_i32_i8_e32 v49, v232, v8
	v_dot4c_i32_i8_e32 v93, v239, v0
	v_pk_fma_f32 v[60:61], v[60:61], v[166:167], 0 op_sel_hi:[1,1,0]
	v_pk_fma_f32 v[62:63], v[156:157], v[164:165], v[62:63] op_sel_hi:[0,1,1]
	v_dot4c_i32_i8_e32 v49, v233, v9
	v_dot4c_i32_i8_e32 v93, v241, v1
	v_pk_fma_f32 v[60:61], v[252:253], v[162:163], v[60:61]
	v_pk_mul_f32 v[62:63], v[62:63], v[136:137]
	v_dot4c_i32_i8_e32 v49, v234, v10
	v_dot4c_i32_i8_e32 v93, v242, v2
	v_pk_fma_f32 v[60:61], v[60:61], v[134:135], v[62:63] neg_lo:[0,0,1] neg_hi:[0,0,1]
	v_dot4c_i32_i8_e32 v49, v235, v11
	v_dot4c_i32_i8_e32 v93, v243, v3
	v_mul_lo_u32 v46, v46, v227
	v_pk_add_f32 v[36:37], v[36:37], v[60:61]
	v_mul_lo_u32 v49, v49, v227
	v_cvt_f32_i32_e32 v60, v46
	v_mul_lo_u32 v46, v48, v240
	v_mul_lo_u32 v48, v93, v240
	v_cvt_f32_i32_e32 v61, v49
	v_cvt_f32_i32_e32 v49, v48
	v_cvt_f32_i32_e32 v48, v46
	v_mov_b32_e32 v46, 0
	v_dot4c_i32_i8_e32 v46, v218, v12
	v_dot4c_i32_i8_e32 v46, v244, v13
	;; [unrolled: 1-line block ×5, first 2 shown]
	v_mov_b32_e32 v8, 0
	v_dot4c_i32_i8_e32 v8, v187, v4
	v_dot4c_i32_i8_e32 v8, v188, v5
	;; [unrolled: 1-line block ×11, first 2 shown]
	v_mul_lo_u32 v0, v44, v180
	v_mul_lo_u32 v1, v46, v180
	v_cvt_f32_i32_e32 v1, v1
	v_cvt_f32_i32_e32 v0, v0
	v_mul_lo_u32 v4, v45, v179
	v_mul_lo_u32 v5, v8, v179
	v_cvt_f32_i32_e32 v5, v5
	v_cvt_f32_i32_e32 v4, v4
	v_pk_fma_f32 v[2:3], v[148:149], v[168:169], 0 op_sel_hi:[0,1,0]
	v_pk_fma_f32 v[0:1], v[0:1], v[166:167], 0 op_sel_hi:[1,1,0]
	v_pk_fma_f32 v[2:3], v[146:147], v[164:165], v[2:3] op_sel_hi:[0,1,1]
	v_pk_fma_f32 v[0:1], v[4:5], v[162:163], v[0:1]
	v_pk_mul_f32 v[2:3], v[2:3], v[144:145]
	v_pk_fma_f32 v[60:61], v[60:61], v[166:167], 0 op_sel_hi:[1,1,0]
	v_pk_fma_f32 v[0:1], v[0:1], v[142:143], v[2:3] neg_lo:[0,0,1] neg_hi:[0,0,1]
	v_pk_fma_f32 v[62:63], v[158:159], v[168:169], 0 op_sel_hi:[0,1,0]
	v_pk_add_f32 v[32:33], v[32:33], v[0:1]
	v_or_b32_e32 v0, s17, v111
	v_lshlrev_b32_e32 v1, 2, v0
	v_pk_fma_f32 v[48:49], v[48:49], v[162:163], v[60:61]
	v_pk_fma_f32 v[60:61], v[160:161], v[164:165], v[62:63] op_sel_hi:[0,1,1]
	v_lshrrev_b32_e32 v45, 1, v0
	ds_read_b128 v[12:15], v1 offset:16896
	ds_read_b128 v[8:11], v1 offset:16912
	;; [unrolled: 1-line block ×4, first 2 shown]
	v_pk_mul_f32 v[60:61], v[60:61], v[140:141]
	v_mov_b32_e32 v252, 0
	v_pk_fma_f32 v[48:49], v[48:49], v[138:139], v[60:61] neg_lo:[0,0,1] neg_hi:[0,0,1]
	v_mov_b32_e32 v251, 0
	v_pk_add_f32 v[34:35], v[34:35], v[48:49]
	v_mov_b32_e32 v49, 0
	v_mov_b32_e32 v253, 0
	v_mov_b32_e32 v48, 0
	v_mov_b32_e32 v93, 0
	v_mov_b32_e32 v44, 0
	v_mov_b32_e32 v46, 0
	s_waitcnt lgkmcnt(3)
	v_dot4c_i32_i8_e32 v252, v191, v12
	s_waitcnt lgkmcnt(1)
	v_dot4c_i32_i8_e32 v49, v193, v4
	v_dot4c_i32_i8_e32 v251, v189, v12
	;; [unrolled: 1-line block ×32, first 2 shown]
	s_waitcnt lgkmcnt(0)
	v_dot4c_i32_i8_e32 v49, v214, v0
	v_dot4c_i32_i8_e32 v251, v206, v8
	;; [unrolled: 1-line block ×15, first 2 shown]
	v_or_b32_e32 v0, s17, v113
	v_dot4c_i32_i8_e32 v252, v199, v10
	v_dot4c_i32_i8_e32 v49, v216, v2
	;; [unrolled: 1-line block ×8, first 2 shown]
	v_lshlrev_b32_e32 v1, 2, v0
	v_dot4c_i32_i8_e32 v252, v200, v11
	v_dot4c_i32_i8_e32 v49, v217, v3
	v_dot4c_i32_i8_e32 v251, v209, v11
	v_dot4c_i32_i8_e32 v253, v226, v3
	v_dot4c_i32_i8_e32 v48, v235, v11
	v_dot4c_i32_i8_e32 v93, v243, v3
	v_dot4c_i32_i8_e32 v44, v250, v11
	v_dot4c_i32_i8_e32 v46, v185, v3
	v_lshrrev_b32_e32 v62, 1, v0
	ds_read_b128 v[12:15], v1 offset:16896
	ds_read_b128 v[8:11], v1 offset:16912
	ds_read_b128 v[4:7], v1 offset:16928
	ds_read_b128 v[0:3], v1 offset:16944
	v_mov_b32_e32 v124, 0
	s_waitcnt lgkmcnt(3)
	v_dot4c_i32_i8_e32 v124, v191, v12
	v_dot4c_i32_i8_e32 v124, v194, v13
	v_mov_b32_e32 v125, 0
	v_dot4c_i32_i8_e32 v124, v195, v14
	s_waitcnt lgkmcnt(1)
	v_dot4c_i32_i8_e32 v125, v193, v4
	v_dot4c_i32_i8_e32 v124, v196, v15
	;; [unrolled: 1-line block ×5, first 2 shown]
	ds_read_b64 v[60:61], v45 offset:27200
	ds_read_b64 v[62:63], v62 offset:27200
	v_dot4c_i32_i8_e32 v124, v198, v9
	v_dot4c_i32_i8_e32 v125, v213, v7
	;; [unrolled: 1-line block ×3, first 2 shown]
	s_waitcnt lgkmcnt(2)
	v_dot4c_i32_i8_e32 v125, v214, v0
	v_dot4c_i32_i8_e32 v124, v200, v11
	;; [unrolled: 1-line block ×4, first 2 shown]
	s_waitcnt lgkmcnt(1)
	v_cvt_f32_f16_e32 v166, v60
	v_cvt_f32_f16_sdwa v168, v60 dst_sel:DWORD dst_unused:UNUSED_PAD src0_sel:WORD_1
	v_mul_lo_u32 v45, v252, v190
	v_mul_lo_u32 v60, v124, v190
	v_dot4c_i32_i8_e32 v125, v217, v3
	v_cvt_f32_f16_e32 v162, v61
	v_cvt_f32_f16_sdwa v164, v61 dst_sel:DWORD dst_unused:UNUSED_PAD src0_sel:WORD_1
	v_cvt_f32_i32_e32 v61, v60
	v_cvt_f32_i32_e32 v60, v45
	v_mul_lo_u32 v45, v49, v210
	v_mul_lo_u32 v49, v125, v210
	v_cvt_f32_i32_e32 v254, v45
	v_mov_b32_e32 v45, 0
	s_waitcnt lgkmcnt(0)
	v_cvt_f32_f16_sdwa v169, v62 dst_sel:DWORD dst_unused:UNUSED_PAD src0_sel:WORD_1
	v_cvt_f32_i32_e32 v255, v49
	v_dot4c_i32_i8_e32 v45, v189, v12
	v_mov_b32_e32 v49, 0
	v_cvt_f32_f16_e32 v167, v62
	v_cvt_f32_f16_sdwa v165, v63 dst_sel:DWORD dst_unused:UNUSED_PAD src0_sel:WORD_1
	v_dot4c_i32_i8_e32 v45, v203, v13
	v_dot4c_i32_i8_e32 v49, v202, v4
	v_cvt_f32_f16_e32 v163, v63
	v_dot4c_i32_i8_e32 v45, v204, v14
	v_dot4c_i32_i8_e32 v49, v219, v5
	;; [unrolled: 1-line block ×4, first 2 shown]
	v_pk_fma_f32 v[62:63], v[150:151], v[168:169], 0 op_sel_hi:[0,1,0]
	v_dot4c_i32_i8_e32 v45, v206, v8
	v_dot4c_i32_i8_e32 v49, v221, v7
	v_pk_fma_f32 v[60:61], v[60:61], v[166:167], 0 op_sel_hi:[1,1,0]
	v_pk_fma_f32 v[62:63], v[154:155], v[164:165], v[62:63] op_sel_hi:[0,1,1]
	v_dot4c_i32_i8_e32 v45, v207, v9
	v_dot4c_i32_i8_e32 v49, v222, v0
	v_pk_fma_f32 v[60:61], v[254:255], v[162:163], v[60:61]
	v_pk_mul_f32 v[62:63], v[62:63], v[132:133]
	v_dot4c_i32_i8_e32 v45, v208, v10
	v_dot4c_i32_i8_e32 v49, v224, v1
	v_pk_fma_f32 v[60:61], v[60:61], v[130:131], v[62:63] neg_lo:[0,0,1] neg_hi:[0,0,1]
	v_dot4c_i32_i8_e32 v45, v209, v11
	v_dot4c_i32_i8_e32 v49, v225, v2
	v_pk_add_f32 v[30:31], v[30:31], v[60:61]
	v_dot4c_i32_i8_e32 v49, v226, v3
	v_mul_lo_u32 v60, v251, v201
	v_mul_lo_u32 v45, v45, v201
	v_cvt_f32_i32_e32 v61, v45
	v_cvt_f32_i32_e32 v60, v60
	v_mul_lo_u32 v45, v253, v223
	v_mul_lo_u32 v49, v49, v223
	v_cvt_f32_i32_e32 v253, v49
	v_cvt_f32_i32_e32 v252, v45
	v_pk_fma_f32 v[62:63], v[152:153], v[168:169], 0 op_sel_hi:[0,1,0]
	v_pk_fma_f32 v[60:61], v[60:61], v[166:167], 0 op_sel_hi:[1,1,0]
	v_pk_fma_f32 v[62:63], v[156:157], v[164:165], v[62:63] op_sel_hi:[0,1,1]
	v_pk_fma_f32 v[60:61], v[252:253], v[162:163], v[60:61]
	v_pk_mul_f32 v[62:63], v[62:63], v[136:137]
	v_mov_b32_e32 v45, 0
	v_pk_fma_f32 v[60:61], v[60:61], v[134:135], v[62:63] neg_lo:[0,0,1] neg_hi:[0,0,1]
	v_dot4c_i32_i8_e32 v45, v192, v12
	v_mov_b32_e32 v62, 0
	v_dot4c_i32_i8_e32 v45, v229, v13
	v_dot4c_i32_i8_e32 v62, v228, v4
	;; [unrolled: 1-line block ×15, first 2 shown]
	v_mul_lo_u32 v48, v48, v227
	v_mul_lo_u32 v45, v45, v227
	v_cvt_f32_i32_e32 v49, v45
	v_mul_lo_u32 v45, v93, v240
	v_mul_lo_u32 v62, v62, v240
	v_cvt_f32_i32_e32 v63, v62
	v_cvt_f32_i32_e32 v62, v45
	v_mov_b32_e32 v45, 0
	v_dot4c_i32_i8_e32 v45, v218, v12
	v_dot4c_i32_i8_e32 v45, v244, v13
	;; [unrolled: 1-line block ×5, first 2 shown]
	v_mov_b32_e32 v8, 0
	v_dot4c_i32_i8_e32 v8, v187, v4
	v_dot4c_i32_i8_e32 v8, v188, v5
	;; [unrolled: 1-line block ×11, first 2 shown]
	v_mul_lo_u32 v0, v44, v180
	v_mul_lo_u32 v1, v45, v180
	v_cvt_f32_i32_e32 v1, v1
	v_cvt_f32_i32_e32 v0, v0
	v_mul_lo_u32 v4, v46, v179
	v_mul_lo_u32 v5, v8, v179
	v_cvt_f32_i32_e32 v5, v5
	v_cvt_f32_i32_e32 v4, v4
	v_pk_fma_f32 v[2:3], v[148:149], v[168:169], 0 op_sel_hi:[0,1,0]
	v_pk_fma_f32 v[0:1], v[0:1], v[166:167], 0 op_sel_hi:[1,1,0]
	;; [unrolled: 1-line block ×3, first 2 shown]
	v_cvt_f32_i32_e32 v48, v48
	v_pk_fma_f32 v[0:1], v[4:5], v[162:163], v[0:1]
	v_pk_mul_f32 v[2:3], v[2:3], v[144:145]
	v_pk_add_f32 v[28:29], v[28:29], v[60:61]
	v_pk_fma_f32 v[0:1], v[0:1], v[142:143], v[2:3] neg_lo:[0,0,1] neg_hi:[0,0,1]
	v_pk_fma_f32 v[60:61], v[158:159], v[168:169], 0 op_sel_hi:[0,1,0]
	v_pk_add_f32 v[24:25], v[24:25], v[0:1]
	v_or_b32_e32 v0, s17, v115
	v_lshlrev_b32_e32 v1, 2, v0
	v_pk_fma_f32 v[48:49], v[48:49], v[166:167], 0 op_sel_hi:[1,1,0]
	v_pk_fma_f32 v[60:61], v[160:161], v[164:165], v[60:61] op_sel_hi:[0,1,1]
	v_lshrrev_b32_e32 v46, 1, v0
	ds_read_b128 v[12:15], v1 offset:16896
	ds_read_b128 v[8:11], v1 offset:16912
	;; [unrolled: 1-line block ×4, first 2 shown]
	v_pk_fma_f32 v[48:49], v[62:63], v[162:163], v[48:49]
	v_pk_mul_f32 v[60:61], v[60:61], v[140:141]
	v_mov_b32_e32 v124, 0
	v_pk_fma_f32 v[48:49], v[48:49], v[138:139], v[60:61] neg_lo:[0,0,1] neg_hi:[0,0,1]
	v_mov_b32_e32 v93, 0
	v_pk_add_f32 v[26:27], v[26:27], v[48:49]
	v_mov_b32_e32 v49, 0
	v_mov_b32_e32 v48, 0
	;; [unrolled: 1-line block ×6, first 2 shown]
	s_waitcnt lgkmcnt(3)
	v_dot4c_i32_i8_e32 v49, v191, v12
	s_waitcnt lgkmcnt(1)
	v_dot4c_i32_i8_e32 v124, v193, v4
	v_dot4c_i32_i8_e32 v48, v189, v12
	;; [unrolled: 1-line block ×32, first 2 shown]
	s_waitcnt lgkmcnt(0)
	v_dot4c_i32_i8_e32 v124, v214, v0
	v_dot4c_i32_i8_e32 v48, v206, v8
	;; [unrolled: 1-line block ×15, first 2 shown]
	v_or_b32_e32 v0, s17, v117
	v_dot4c_i32_i8_e32 v49, v199, v10
	v_dot4c_i32_i8_e32 v124, v216, v2
	;; [unrolled: 1-line block ×8, first 2 shown]
	v_lshlrev_b32_e32 v1, 2, v0
	v_dot4c_i32_i8_e32 v49, v200, v11
	v_dot4c_i32_i8_e32 v124, v217, v3
	;; [unrolled: 1-line block ×8, first 2 shown]
	v_lshrrev_b32_e32 v62, 1, v0
	ds_read_b128 v[12:15], v1 offset:16896
	ds_read_b128 v[8:11], v1 offset:16912
	;; [unrolled: 1-line block ×4, first 2 shown]
	v_mov_b32_e32 v125, 0
	s_waitcnt lgkmcnt(3)
	v_dot4c_i32_i8_e32 v125, v191, v12
	v_mov_b32_e32 v191, 0
	v_dot4c_i32_i8_e32 v125, v194, v13
	s_waitcnt lgkmcnt(1)
	v_dot4c_i32_i8_e32 v191, v193, v4
	v_dot4c_i32_i8_e32 v125, v195, v14
	;; [unrolled: 1-line block ×5, first 2 shown]
	ds_read_b64 v[60:61], v46 offset:27200
	ds_read_b64 v[62:63], v62 offset:27200
	v_dot4c_i32_i8_e32 v125, v197, v8
	v_dot4c_i32_i8_e32 v191, v213, v7
	;; [unrolled: 1-line block ×3, first 2 shown]
	s_waitcnt lgkmcnt(2)
	v_dot4c_i32_i8_e32 v191, v214, v0
	v_dot4c_i32_i8_e32 v125, v199, v10
	v_dot4c_i32_i8_e32 v191, v215, v1
	v_dot4c_i32_i8_e32 v125, v200, v11
	v_dot4c_i32_i8_e32 v191, v216, v2
	v_dot4c_i32_i8_e32 v191, v217, v3
	s_waitcnt lgkmcnt(0)
	v_cvt_f32_f16_sdwa v167, v62 dst_sel:DWORD dst_unused:UNUSED_PAD src0_sel:WORD_1
	v_cvt_f32_f16_sdwa v166, v60 dst_sel:DWORD dst_unused:UNUSED_PAD src0_sel:WORD_1
	v_mul_lo_u32 v46, v49, v190
	v_mul_lo_u32 v49, v125, v190
	v_cvt_f32_f16_e32 v169, v62
	v_cvt_f32_f16_e32 v168, v60
	;; [unrolled: 1-line block ×3, first 2 shown]
	v_cvt_f32_f16_sdwa v163, v63 dst_sel:DWORD dst_unused:UNUSED_PAD src0_sel:WORD_1
	v_cvt_f32_f16_sdwa v162, v61 dst_sel:DWORD dst_unused:UNUSED_PAD src0_sel:WORD_1
	v_cvt_f32_i32_e32 v61, v49
	v_cvt_f32_i32_e32 v60, v46
	v_mul_lo_u32 v46, v124, v210
	v_mul_lo_u32 v49, v191, v210
	v_cvt_f32_f16_e32 v165, v63
	v_cvt_f32_i32_e32 v191, v49
	v_cvt_f32_i32_e32 v190, v46
	v_pk_fma_f32 v[62:63], v[150:151], v[166:167], 0 op_sel_hi:[0,1,0]
	v_pk_fma_f32 v[60:61], v[60:61], v[168:169], 0 op_sel_hi:[1,1,0]
	;; [unrolled: 1-line block ×3, first 2 shown]
	v_pk_fma_f32 v[60:61], v[190:191], v[164:165], v[60:61]
	v_pk_mul_f32 v[62:63], v[62:63], v[132:133]
	v_mov_b32_e32 v46, 0
	v_pk_fma_f32 v[60:61], v[60:61], v[130:131], v[62:63] neg_lo:[0,0,1] neg_hi:[0,0,1]
	v_dot4c_i32_i8_e32 v46, v189, v12
	v_mov_b32_e32 v62, 0
	v_dot4c_i32_i8_e32 v46, v203, v13
	v_dot4c_i32_i8_e32 v62, v202, v4
	;; [unrolled: 1-line block ×15, first 2 shown]
	v_mul_lo_u32 v48, v48, v201
	v_mul_lo_u32 v46, v46, v201
	v_cvt_f32_i32_e32 v49, v46
	v_cvt_f32_i32_e32 v48, v48
	v_mul_lo_u32 v46, v93, v223
	v_mul_lo_u32 v62, v62, v223
	v_cvt_f32_i32_e32 v63, v62
	v_cvt_f32_i32_e32 v62, v46
	v_mov_b32_e32 v46, 0
	v_mov_b32_e32 v150, 0
	v_dot4c_i32_i8_e32 v46, v192, v12
	v_dot4c_i32_i8_e32 v150, v218, v12
	;; [unrolled: 1-line block ×4, first 2 shown]
	v_pk_fma_f32 v[48:49], v[48:49], v[168:169], 0 op_sel_hi:[1,1,0]
	v_dot4c_i32_i8_e32 v46, v230, v14
	v_dot4c_i32_i8_e32 v150, v245, v14
	v_pk_fma_f32 v[48:49], v[62:63], v[164:165], v[48:49]
	v_dot4c_i32_i8_e32 v46, v231, v15
	v_mov_b32_e32 v62, 0
	v_dot4c_i32_i8_e32 v150, v246, v15
	v_dot4c_i32_i8_e32 v46, v232, v8
	;; [unrolled: 1-line block ×4, first 2 shown]
	v_mov_b32_e32 v8, 0
	v_dot4c_i32_i8_e32 v62, v236, v5
	v_dot4c_i32_i8_e32 v8, v187, v4
	;; [unrolled: 1-line block ×6, first 2 shown]
	v_pk_add_f32 v[22:23], v[22:23], v[60:61]
	v_pk_fma_f32 v[60:61], v[152:153], v[166:167], 0 op_sel_hi:[0,1,0]
	v_dot4c_i32_i8_e32 v46, v233, v9
	v_dot4c_i32_i8_e32 v62, v239, v0
	;; [unrolled: 1-line block ×3, first 2 shown]
	v_pk_fma_f32 v[60:61], v[156:157], v[162:163], v[60:61] op_sel_hi:[0,1,1]
	v_dot4c_i32_i8_e32 v46, v234, v10
	v_dot4c_i32_i8_e32 v62, v241, v1
	;; [unrolled: 1-line block ×4, first 2 shown]
	v_pk_mul_f32 v[60:61], v[60:61], v[136:137]
	v_dot4c_i32_i8_e32 v46, v235, v11
	v_dot4c_i32_i8_e32 v62, v242, v2
	;; [unrolled: 1-line block ×4, first 2 shown]
	v_pk_fma_f32 v[48:49], v[48:49], v[134:135], v[60:61] neg_lo:[0,0,1] neg_hi:[0,0,1]
	v_dot4c_i32_i8_e32 v62, v243, v3
	v_mul_lo_u32 v44, v44, v227
	v_mul_lo_u32 v46, v46, v227
	v_dot4c_i32_i8_e32 v150, v250, v11
	v_dot4c_i32_i8_e32 v8, v184, v2
	v_pk_add_f32 v[20:21], v[20:21], v[48:49]
	v_cvt_f32_i32_e32 v49, v46
	v_cvt_f32_i32_e32 v48, v44
	v_mul_lo_u32 v44, v45, v240
	v_mul_lo_u32 v45, v62, v240
	v_dot4c_i32_i8_e32 v8, v185, v3
	v_mul_lo_u32 v0, v252, v180
	v_mul_lo_u32 v1, v150, v180
	v_cvt_f32_i32_e32 v45, v45
	v_cvt_f32_i32_e32 v44, v44
	v_cvt_f32_i32_e32 v1, v1
	v_cvt_f32_i32_e32 v0, v0
	v_mul_lo_u32 v4, v251, v179
	v_mul_lo_u32 v5, v8, v179
	v_cvt_f32_i32_e32 v5, v5
	v_cvt_f32_i32_e32 v4, v4
	v_pk_fma_f32 v[48:49], v[48:49], v[168:169], 0 op_sel_hi:[1,1,0]
	v_pk_fma_f32 v[60:61], v[158:159], v[166:167], 0 op_sel_hi:[0,1,0]
	;; [unrolled: 1-line block ×3, first 2 shown]
	v_pk_fma_f32 v[44:45], v[44:45], v[164:165], v[48:49]
	v_pk_fma_f32 v[48:49], v[160:161], v[162:163], v[60:61] op_sel_hi:[0,1,1]
	v_pk_fma_f32 v[0:1], v[0:1], v[168:169], 0 op_sel_hi:[1,1,0]
	;; [unrolled: 1-line block ×3, first 2 shown]
	v_pk_mul_f32 v[48:49], v[48:49], v[140:141]
	v_pk_fma_f32 v[0:1], v[4:5], v[164:165], v[0:1]
	v_pk_mul_f32 v[2:3], v[2:3], v[144:145]
	v_pk_fma_f32 v[44:45], v[44:45], v[138:139], v[48:49] neg_lo:[0,0,1] neg_hi:[0,0,1]
	v_pk_fma_f32 v[0:1], v[0:1], v[142:143], v[2:3] neg_lo:[0,0,1] neg_hi:[0,0,1]
	v_pk_add_f32 v[18:19], v[18:19], v[44:45]
	v_pk_add_f32 v[16:17], v[16:17], v[0:1]
	s_mov_b32 s18, 8
	s_and_b64 vcc, exec, s[0:1]
	s_mov_b64 s[0:1], 0
	s_cbranch_vccnz .LBB172_6
; %bb.7:                                ;   in Loop: Header=BB172_5 Depth=1
	v_add_u32_e32 v14, s16, v55
	v_add_u32_e32 v0, v14, v81
	;; [unrolled: 1-line block ×6, first 2 shown]
	v_mad_i64_i32 v[0:1], s[0:1], v0, 36, v[86:87]
	v_mad_i64_i32 v[2:3], s[0:1], v2, 36, v[86:87]
	;; [unrolled: 1-line block ×4, first 2 shown]
	v_add_u32_e32 v8, v14, v97
	v_add_u32_e32 v10, v14, v99
	;; [unrolled: 1-line block ×4, first 2 shown]
	v_mad_u64_u32 v[44:45], s[0:1], v44, 36, s[2:3]
	s_barrier
	v_mad_i64_i32 v[8:9], s[0:1], v8, 36, v[86:87]
	v_mad_i64_i32 v[10:11], s[0:1], v10, 36, v[86:87]
	;; [unrolled: 1-line block ×4, first 2 shown]
	global_load_dword v44, v[44:45], off
	s_nop 0
	global_load_dword v0, v[0:1], off offset:4
	s_nop 0
	global_load_dword v1, v[2:3], off offset:4
	;; [unrolled: 2-line block ×3, first 2 shown]
	global_load_dword v3, v[6:7], off offset:4
	s_nop 0
	global_load_dword v4, v[8:9], off offset:4
	global_load_dword v5, v[10:11], off offset:4
	;; [unrolled: 1-line block ×4, first 2 shown]
	s_mov_b32 s0, 16
	s_mov_b32 s1, 0
	v_mov_b32_e32 v178, v159
	v_mov_b32_e32 v179, v56
	;; [unrolled: 1-line block ×3, first 2 shown]
	s_mov_b32 s16, 0
	s_waitcnt vmcnt(8)
	ds_write_b32 v71, v44
	s_waitcnt vmcnt(7)
	ds_write_b32 v157, v0
	s_waitcnt vmcnt(6)
	ds_write_b32 v127, v1
	s_waitcnt vmcnt(5)
	ds_write_b32 v129, v2
	s_waitcnt vmcnt(4)
	ds_write_b32 v147, v3
	s_waitcnt vmcnt(3)
	ds_write_b32 v149, v4
	s_waitcnt vmcnt(2)
	ds_write_b32 v151, v5
	s_waitcnt vmcnt(1)
	ds_write_b32 v153, v6
	s_waitcnt vmcnt(0)
	ds_write_b32 v155, v7
	s_waitcnt lgkmcnt(0)
	s_barrier
	ds_read_b32 v0, v53
	ds_read_b32 v1, v57 offset:128
	ds_read_b32 v2, v59 offset:256
	;; [unrolled: 1-line block ×3, first 2 shown]
	s_waitcnt lgkmcnt(2)
	v_cvt_f32_f16_e32 v134, v1
	v_cvt_f32_f16_e32 v130, v0
	v_cvt_f32_f16_sdwa v132, v0 dst_sel:DWORD dst_unused:UNUSED_PAD src0_sel:WORD_1
	v_cvt_f32_f16_sdwa v136, v1 dst_sel:DWORD dst_unused:UNUSED_PAD src0_sel:WORD_1
	s_waitcnt lgkmcnt(1)
	v_cvt_f32_f16_e32 v138, v2
	v_cvt_f32_f16_sdwa v140, v2 dst_sel:DWORD dst_unused:UNUSED_PAD src0_sel:WORD_1
	s_waitcnt lgkmcnt(0)
	v_cvt_f32_f16_e32 v142, v3
	v_cvt_f32_f16_sdwa v144, v3 dst_sel:DWORD dst_unused:UNUSED_PAD src0_sel:WORD_1
	v_mov_b32_e32 v131, v130
	v_mov_b32_e32 v133, v132
	;; [unrolled: 1-line block ×8, first 2 shown]
.LBB172_8:                              ;   Parent Loop BB172_5 Depth=1
                                        ; =>  This Inner Loop Header: Depth=2
	ds_read_b128 v[12:15], v178
	ds_read_b128 v[8:11], v178 offset:16
	ds_read_b128 v[4:7], v178 offset:32
	;; [unrolled: 1-line block ×3, first 2 shown]
	ds_read2_b32 v[48:49], v180 offset1:1
	ds_read2_b32 v[60:61], v180 offset0:2 offset1:3
	ds_read2_b32 v[62:63], v180 offset0:4 offset1:5
	ds_read2_b32 v[162:163], v180 offset0:6 offset1:7
	s_lshr_b32 s17, s0, 2
	v_lshlrev_b32_e32 v44, 4, v41
	s_waitcnt lgkmcnt(3)
	v_and_b32_e32 v199, 0xf0f0f0f, v48
	v_lshrrev_b32_e32 v48, 4, v48
	s_and_b32 s17, s17, 0x3ffffffc
	v_add_u32_e32 v44, s1, v44
	v_and_b32_e32 v213, 0xf0f0f0f, v48
	v_lshrrev_b32_e32 v48, 4, v49
	v_add3_u32 v45, v177, s17, v44
	v_and_b32_e32 v221, 0xf0f0f0f, v48
	s_waitcnt lgkmcnt(2)
	v_lshrrev_b32_e32 v48, 4, v60
	ds_read_u16 v46, v45 offset:25088
	ds_read_u16 v45, v45 offset:25096
	v_and_b32_e32 v222, 0xf0f0f0f, v48
	v_lshrrev_b32_e32 v48, 4, v61
	v_and_b32_e32 v223, 0xf0f0f0f, v48
	s_waitcnt lgkmcnt(3)
	v_lshrrev_b32_e32 v48, 4, v62
	v_and_b32_e32 v225, 0xf0f0f0f, v48
	v_lshrrev_b32_e32 v48, 4, v63
	v_and_b32_e32 v227, 0xf0f0f0f, v48
	s_waitcnt lgkmcnt(2)
	v_lshrrev_b32_e32 v48, 4, v162
	s_waitcnt lgkmcnt(1)
	v_and_b32_e32 v208, 0xff, v46
	v_and_b32_e32 v228, 0xf0f0f0f, v48
	v_lshrrev_b32_e32 v48, 4, v163
	v_lshrrev_b16_e32 v220, 8, v46
	v_add_u32_e32 v46, 0x1080, v180
	v_and_b32_e32 v197, 0xf0f0f0f, v49
	v_and_b32_e32 v229, 0xf0f0f0f, v48
	ds_read2_b32 v[48:49], v46 offset1:1
	v_add_u32_e32 v46, 0x1088, v180
	v_and_b32_e32 v201, 0xf0f0f0f, v60
	v_and_b32_e32 v202, 0xf0f0f0f, v61
	ds_read2_b32 v[60:61], v46 offset1:1
	;; [unrolled: 4-line block ×3, first 2 shown]
	s_waitcnt lgkmcnt(2)
	v_and_b32_e32 v198, 0xf0f0f0f, v48
	v_add_u32_e32 v46, 0x1098, v180
	v_lshrrev_b32_e32 v48, 4, v48
	v_and_b32_e32 v209, 0xf0f0f0f, v162
	v_and_b32_e32 v210, 0xf0f0f0f, v163
	v_cvt_f32_ubyte0_e32 v150, v45
	v_cvt_f32_ubyte1_e32 v154, v45
	v_add3_u32 v45, v176, s17, v44
	ds_read2_b32 v[162:163], v46 offset1:1
	v_and_b32_e32 v218, 0xf0f0f0f, v48
	v_lshrrev_b32_e32 v48, 4, v49
	ds_read_u16 v46, v45 offset:25600
	ds_read_u16 v45, v45 offset:25608
	v_and_b32_e32 v231, 0xf0f0f0f, v48
	s_waitcnt lgkmcnt(4)
	v_lshrrev_b32_e32 v48, 4, v60
	v_and_b32_e32 v234, 0xf0f0f0f, v48
	v_lshrrev_b32_e32 v48, 4, v61
	v_and_b32_e32 v235, 0xf0f0f0f, v48
	s_waitcnt lgkmcnt(3)
	v_lshrrev_b32_e32 v48, 4, v62
	v_and_b32_e32 v238, 0xf0f0f0f, v48
	v_lshrrev_b32_e32 v48, 4, v63
	v_and_b32_e32 v240, 0xf0f0f0f, v48
	s_waitcnt lgkmcnt(2)
	v_lshrrev_b32_e32 v48, 4, v162
	s_waitcnt lgkmcnt(0)
	v_cvt_f32_ubyte0_e32 v152, v45
	v_and_b32_e32 v241, 0xf0f0f0f, v48
	v_lshrrev_b32_e32 v48, 4, v163
	v_cvt_f32_ubyte1_e32 v158, v45
	v_add_u32_e32 v45, 0x2100, v180
	v_and_b32_e32 v203, 0xf0f0f0f, v49
	v_and_b32_e32 v204, 0xf0f0f0f, v60
	;; [unrolled: 1-line block ×3, first 2 shown]
	ds_read2_b32 v[48:49], v45 offset1:1
	v_add_u32_e32 v60, 0x2108, v180
	v_and_b32_e32 v205, 0xf0f0f0f, v61
	ds_read2_b32 v[60:61], v60 offset1:1
	v_and_b32_e32 v211, 0xf0f0f0f, v62
	v_add_u32_e32 v62, 0x2110, v180
	v_and_b32_e32 v212, 0xf0f0f0f, v63
	ds_read2_b32 v[62:63], v62 offset1:1
	v_and_b32_e32 v214, 0xff, v46
	v_lshrrev_b16_e32 v239, 8, v46
	v_add3_u32 v46, v170, s17, v44
	v_add_u32_e32 v124, 0x2118, v180
	v_and_b32_e32 v215, 0xf0f0f0f, v162
	v_and_b32_e32 v216, 0xf0f0f0f, v163
	ds_read2_b32 v[162:163], v124 offset1:1
	s_waitcnt lgkmcnt(3)
	v_and_b32_e32 v217, 0xf0f0f0f, v48
	ds_read_u16 v124, v46 offset:26112
	ds_read_u16 v125, v46 offset:26120
	v_lshrrev_b32_e32 v46, 4, v48
	v_lshrrev_b32_e32 v48, 4, v49
	v_and_b32_e32 v245, 0xf0f0f0f, v48
	s_waitcnt lgkmcnt(4)
	v_lshrrev_b32_e32 v48, 4, v60
	v_and_b32_e32 v246, 0xf0f0f0f, v48
	v_lshrrev_b32_e32 v48, 4, v61
	v_and_b32_e32 v247, 0xf0f0f0f, v48
	s_waitcnt lgkmcnt(3)
	v_lshrrev_b32_e32 v48, 4, v62
	v_and_b32_e32 v248, 0xf0f0f0f, v48
	;; [unrolled: 5-line block ×3, first 2 shown]
	v_and_b32_e32 v251, 0xf0f0f0f, v48
	v_lshrrev_b32_e32 v48, 4, v163
	v_add3_u32 v60, v161, s17, v44
	v_add_u32_e32 v44, 0x3180, v180
	v_and_b32_e32 v219, 0xf0f0f0f, v49
	v_and_b32_e32 v252, 0xf0f0f0f, v48
	ds_read2_b32 v[48:49], v44 offset1:1
	v_mov_b32_e32 v253, 0
	v_mov_b32_e32 v254, 0
	;; [unrolled: 1-line block ×4, first 2 shown]
	s_waitcnt lgkmcnt(0)
	v_and_b32_e32 v244, 0xf0f0f0f, v48
	v_dot4c_i32_i8_e32 v253, v199, v12
	v_dot4c_i32_i8_e32 v254, v198, v12
	;; [unrolled: 1-line block ×4, first 2 shown]
	v_and_b32_e32 v200, 0xf0f0f0f, v49
	v_add_u32_e32 v12, 0x3188, v180
	v_dot4c_i32_i8_e32 v253, v197, v13
	v_dot4c_i32_i8_e32 v254, v203, v13
	;; [unrolled: 1-line block ×4, first 2 shown]
	ds_read2_b32 v[12:13], v12 offset1:1
	v_dot4c_i32_i8_e32 v253, v201, v14
	v_dot4c_i32_i8_e32 v254, v204, v14
	v_dot4c_i32_i8_e32 v45, v224, v14
	v_and_b32_e32 v226, 0xf0f0f0f, v61
	s_waitcnt lgkmcnt(0)
	v_and_b32_e32 v192, 0xf0f0f0f, v12
	v_dot4c_i32_i8_e32 v44, v192, v14
	v_and_b32_e32 v191, 0xf0f0f0f, v13
	v_add_u32_e32 v14, 0x3190, v180
	v_dot4c_i32_i8_e32 v253, v202, v15
	v_dot4c_i32_i8_e32 v254, v205, v15
	;; [unrolled: 1-line block ×4, first 2 shown]
	ds_read2_b32 v[14:15], v14 offset1:1
	v_and_b32_e32 v232, 0xf0f0f0f, v62
	v_dot4c_i32_i8_e32 v253, v206, v8
	v_dot4c_i32_i8_e32 v254, v211, v8
	;; [unrolled: 1-line block ×3, first 2 shown]
	s_waitcnt lgkmcnt(0)
	v_and_b32_e32 v193, 0xf0f0f0f, v14
	v_and_b32_e32 v233, 0xf0f0f0f, v63
	v_dot4c_i32_i8_e32 v44, v193, v8
	v_and_b32_e32 v194, 0xf0f0f0f, v15
	v_add_u32_e32 v8, 0x3198, v180
	v_dot4c_i32_i8_e32 v253, v207, v9
	v_dot4c_i32_i8_e32 v254, v212, v9
	;; [unrolled: 1-line block ×4, first 2 shown]
	ds_read2_b32 v[8:9], v8 offset1:1
	v_lshrrev_b32_e32 v48, 4, v48
	v_mov_b32_e32 v255, 0
	v_mov_b32_e32 v93, 0
	v_and_b32_e32 v242, 0xf0f0f0f, v46
	v_mov_b32_e32 v46, 0
	v_and_b32_e32 v188, 0xf0f0f0f, v48
	v_mov_b32_e32 v48, 0
	v_dot4c_i32_i8_e32 v255, v213, v4
	v_dot4c_i32_i8_e32 v93, v218, v4
	;; [unrolled: 1-line block ×4, first 2 shown]
	v_lshrrev_b32_e32 v4, 4, v49
	v_and_b32_e32 v190, 0xf0f0f0f, v4
	v_lshrrev_b32_e32 v4, 4, v12
	v_dot4c_i32_i8_e32 v255, v221, v5
	v_dot4c_i32_i8_e32 v93, v231, v5
	v_and_b32_e32 v236, 0xf0f0f0f, v162
	v_dot4c_i32_i8_e32 v46, v245, v5
	s_waitcnt lgkmcnt(0)
	v_and_b32_e32 v195, 0xf0f0f0f, v8
	v_dot4c_i32_i8_e32 v48, v190, v5
	v_and_b32_e32 v189, 0xf0f0f0f, v4
	v_lshrrev_b32_e32 v4, 4, v13
	v_dot4c_i32_i8_e32 v253, v209, v10
	v_dot4c_i32_i8_e32 v255, v222, v6
	;; [unrolled: 1-line block ×5, first 2 shown]
	v_and_b32_e32 v237, 0xf0f0f0f, v163
	v_dot4c_i32_i8_e32 v46, v246, v6
	v_dot4c_i32_i8_e32 v44, v195, v10
	v_and_b32_e32 v196, 0xf0f0f0f, v9
	v_dot4c_i32_i8_e32 v48, v189, v6
	v_and_b32_e32 v183, 0xf0f0f0f, v4
	v_lshrrev_b32_e32 v4, 4, v14
	v_dot4c_i32_i8_e32 v253, v210, v11
	v_dot4c_i32_i8_e32 v255, v223, v7
	;; [unrolled: 1-line block ×7, first 2 shown]
	ds_read_u16 v10, v60 offset:26624
	ds_read_u16 v11, v60 offset:26632
	v_dot4c_i32_i8_e32 v48, v183, v7
	v_and_b32_e32 v184, 0xf0f0f0f, v4
	v_dot4c_i32_i8_e32 v255, v225, v0
	v_dot4c_i32_i8_e32 v93, v238, v0
	;; [unrolled: 1-line block ×4, first 2 shown]
	v_lshrrev_b32_e32 v0, 4, v15
	v_and_b32_e32 v185, 0xf0f0f0f, v0
	v_lshrrev_b32_e32 v0, 4, v8
	v_dot4c_i32_i8_e32 v255, v227, v1
	v_dot4c_i32_i8_e32 v93, v240, v1
	;; [unrolled: 1-line block ×4, first 2 shown]
	v_and_b32_e32 v186, 0xf0f0f0f, v0
	v_lshrrev_b32_e32 v0, 4, v9
	v_dot4c_i32_i8_e32 v255, v228, v2
	v_dot4c_i32_i8_e32 v93, v241, v2
	;; [unrolled: 1-line block ×4, first 2 shown]
	v_and_b32_e32 v187, 0xf0f0f0f, v0
	v_dot4c_i32_i8_e32 v255, v229, v3
	v_dot4c_i32_i8_e32 v93, v243, v3
	;; [unrolled: 1-line block ×3, first 2 shown]
	s_waitcnt lgkmcnt(1)
	v_and_b32_e32 v182, 0xff, v10
	s_waitcnt lgkmcnt(0)
	v_cvt_f32_ubyte0_e32 v148, v11
	v_dot4c_i32_i8_e32 v48, v187, v3
	v_lshrrev_b16_e32 v181, 8, v10
	v_cvt_f32_ubyte1_e32 v146, v11
	ds_read_b128 v[12:15], v178 offset:1024
	ds_read_b128 v[8:11], v178 offset:1040
	;; [unrolled: 1-line block ×4, first 2 shown]
	v_mov_b32_e32 v49, 0
	v_and_b32_e32 v230, 0xff, v124
	v_lshrrev_b16_e32 v249, 8, v124
	s_waitcnt lgkmcnt(3)
	v_dot4c_i32_i8_e32 v49, v199, v12
	v_mov_b32_e32 v124, 0
	v_dot4c_i32_i8_e32 v49, v197, v13
	s_waitcnt lgkmcnt(1)
	v_dot4c_i32_i8_e32 v124, v213, v4
	v_dot4c_i32_i8_e32 v49, v201, v14
	;; [unrolled: 1-line block ×5, first 2 shown]
	ds_read2_b64 v[60:63], v179 offset1:16
	v_dot4c_i32_i8_e32 v49, v206, v8
	v_dot4c_i32_i8_e32 v124, v223, v7
	;; [unrolled: 1-line block ×3, first 2 shown]
	s_waitcnt lgkmcnt(1)
	v_dot4c_i32_i8_e32 v124, v225, v0
	v_dot4c_i32_i8_e32 v49, v209, v10
	v_dot4c_i32_i8_e32 v124, v227, v1
	v_dot4c_i32_i8_e32 v49, v210, v11
	v_dot4c_i32_i8_e32 v124, v228, v2
	v_dot4c_i32_i8_e32 v124, v229, v3
	s_waitcnt lgkmcnt(0)
	v_cvt_f32_f16_e32 v166, v60
	v_cvt_f32_f16_sdwa v168, v60 dst_sel:DWORD dst_unused:UNUSED_PAD src0_sel:WORD_1
	v_mul_lo_u32 v60, v253, v208
	v_mul_lo_u32 v49, v49, v208
	v_cvt_f32_f16_e32 v167, v62
	v_cvt_f32_f16_e32 v162, v61
	v_cvt_f32_f16_sdwa v164, v61 dst_sel:DWORD dst_unused:UNUSED_PAD src0_sel:WORD_1
	v_cvt_f32_i32_e32 v61, v49
	v_cvt_f32_i32_e32 v60, v60
	v_mul_lo_u32 v49, v255, v220
	v_mul_lo_u32 v124, v124, v220
	v_cvt_f32_ubyte0_e32 v156, v125
	v_cvt_f32_ubyte1_e32 v160, v125
	v_cvt_f32_f16_e32 v163, v63
	v_cvt_f32_i32_e32 v125, v124
	v_cvt_f32_i32_e32 v124, v49
	v_pk_fma_f32 v[60:61], v[166:167], v[60:61], 0 op_sel_hi:[1,1,0]
	v_mov_b32_e32 v49, 0
	v_cvt_f32_f16_sdwa v169, v62 dst_sel:DWORD dst_unused:UNUSED_PAD src0_sel:WORD_1
	v_pk_fma_f32 v[60:61], v[162:163], v[124:125], v[60:61]
	v_dot4c_i32_i8_e32 v49, v198, v12
	v_mov_b32_e32 v124, 0
	v_cvt_f32_f16_sdwa v165, v63 dst_sel:DWORD dst_unused:UNUSED_PAD src0_sel:WORD_1
	v_dot4c_i32_i8_e32 v49, v203, v13
	v_dot4c_i32_i8_e32 v124, v218, v4
	;; [unrolled: 1-line block ×6, first 2 shown]
	v_pk_fma_f32 v[62:63], v[150:151], v[168:169], 0 op_sel_hi:[0,1,0]
	v_dot4c_i32_i8_e32 v49, v211, v8
	v_dot4c_i32_i8_e32 v124, v235, v7
	v_pk_fma_f32 v[62:63], v[154:155], v[164:165], v[62:63] op_sel_hi:[0,1,1]
	v_dot4c_i32_i8_e32 v49, v212, v9
	v_dot4c_i32_i8_e32 v124, v238, v0
	v_pk_mul_f32 v[62:63], v[62:63], v[132:133]
	v_dot4c_i32_i8_e32 v49, v215, v10
	v_dot4c_i32_i8_e32 v124, v240, v1
	v_pk_fma_f32 v[60:61], v[60:61], v[130:131], v[62:63] neg_lo:[0,0,1] neg_hi:[0,0,1]
	v_dot4c_i32_i8_e32 v49, v216, v11
	v_dot4c_i32_i8_e32 v124, v241, v2
	v_pk_add_f32 v[76:77], v[76:77], v[60:61]
	v_dot4c_i32_i8_e32 v124, v243, v3
	v_mul_lo_u32 v60, v254, v214
	v_mul_lo_u32 v49, v49, v214
	v_cvt_f32_i32_e32 v61, v49
	v_cvt_f32_i32_e32 v60, v60
	v_mul_lo_u32 v49, v93, v239
	v_mul_lo_u32 v93, v124, v239
	v_cvt_f32_i32_e32 v125, v93
	v_cvt_f32_i32_e32 v124, v49
	v_pk_fma_f32 v[62:63], v[152:153], v[168:169], 0 op_sel_hi:[0,1,0]
	v_pk_fma_f32 v[60:61], v[166:167], v[60:61], 0 op_sel_hi:[1,1,0]
	;; [unrolled: 1-line block ×3, first 2 shown]
	v_pk_fma_f32 v[60:61], v[162:163], v[124:125], v[60:61]
	v_pk_mul_f32 v[62:63], v[62:63], v[136:137]
	v_mul_lo_u32 v45, v45, v230
	v_pk_fma_f32 v[60:61], v[60:61], v[134:135], v[62:63] neg_lo:[0,0,1] neg_hi:[0,0,1]
	v_mov_b32_e32 v49, 0
	v_pk_add_f32 v[78:79], v[78:79], v[60:61]
	v_cvt_f32_i32_e32 v60, v45
	v_mul_lo_u32 v45, v46, v249
	v_cvt_f32_i32_e32 v124, v45
	v_mov_b32_e32 v45, 0
	v_dot4c_i32_i8_e32 v49, v217, v12
	v_dot4c_i32_i8_e32 v45, v244, v12
	;; [unrolled: 1-line block ×10, first 2 shown]
	v_mov_b32_e32 v8, 0
	v_dot4c_i32_i8_e32 v8, v188, v4
	v_mov_b32_e32 v93, 0
	v_dot4c_i32_i8_e32 v8, v190, v5
	v_dot4c_i32_i8_e32 v93, v242, v4
	;; [unrolled: 1-line block ×16, first 2 shown]
	v_mul_lo_u32 v0, v44, v182
	v_mul_lo_u32 v1, v45, v182
	v_cvt_f32_i32_e32 v1, v1
	v_cvt_f32_i32_e32 v0, v0
	v_mul_lo_u32 v4, v48, v181
	v_mul_lo_u32 v5, v8, v181
	v_dot4c_i32_i8_e32 v49, v233, v9
	v_cvt_f32_i32_e32 v5, v5
	v_cvt_f32_i32_e32 v4, v4
	v_dot4c_i32_i8_e32 v49, v236, v10
	v_dot4c_i32_i8_e32 v93, v251, v2
	;; [unrolled: 1-line block ×4, first 2 shown]
	v_pk_fma_f32 v[2:3], v[148:149], v[168:169], 0 op_sel_hi:[0,1,0]
	v_pk_fma_f32 v[0:1], v[166:167], v[0:1], 0 op_sel_hi:[1,1,0]
	v_mul_lo_u32 v49, v49, v230
	v_pk_fma_f32 v[2:3], v[146:147], v[164:165], v[2:3] op_sel_hi:[0,1,1]
	v_cvt_f32_i32_e32 v61, v49
	v_mul_lo_u32 v46, v93, v249
	v_pk_fma_f32 v[0:1], v[162:163], v[4:5], v[0:1]
	v_pk_mul_f32 v[2:3], v[2:3], v[144:145]
	v_cvt_f32_i32_e32 v125, v46
	v_pk_fma_f32 v[0:1], v[0:1], v[142:143], v[2:3] neg_lo:[0,0,1] neg_hi:[0,0,1]
	v_pk_fma_f32 v[60:61], v[166:167], v[60:61], 0 op_sel_hi:[1,1,0]
	v_pk_add_f32 v[64:65], v[64:65], v[0:1]
	ds_read_b128 v[12:15], v178 offset:2048
	ds_read_b128 v[8:11], v178 offset:2064
	;; [unrolled: 1-line block ×4, first 2 shown]
	v_pk_fma_f32 v[60:61], v[162:163], v[124:125], v[60:61]
	v_mov_b32_e32 v49, 0
	v_mov_b32_e32 v124, 0
	;; [unrolled: 1-line block ×8, first 2 shown]
	s_waitcnt lgkmcnt(3)
	v_dot4c_i32_i8_e32 v49, v199, v12
	s_waitcnt lgkmcnt(1)
	v_dot4c_i32_i8_e32 v124, v213, v4
	v_dot4c_i32_i8_e32 v93, v198, v12
	;; [unrolled: 1-line block ×32, first 2 shown]
	s_waitcnt lgkmcnt(0)
	v_dot4c_i32_i8_e32 v124, v225, v0
	v_dot4c_i32_i8_e32 v93, v211, v8
	;; [unrolled: 1-line block ×31, first 2 shown]
	ds_read_b128 v[12:15], v178 offset:3072
	ds_read_b128 v[8:11], v178 offset:3088
	;; [unrolled: 1-line block ×4, first 2 shown]
	v_pk_fma_f32 v[62:63], v[156:157], v[168:169], 0 op_sel_hi:[0,1,0]
	v_mov_b32_e32 v125, 0
	v_pk_fma_f32 v[62:63], v[160:161], v[164:165], v[62:63] op_sel_hi:[0,1,1]
	s_waitcnt lgkmcnt(3)
	v_dot4c_i32_i8_e32 v125, v199, v12
	v_mov_b32_e32 v254, 0
	v_pk_mul_f32 v[62:63], v[62:63], v[140:141]
	v_dot4c_i32_i8_e32 v125, v197, v13
	s_waitcnt lgkmcnt(1)
	v_dot4c_i32_i8_e32 v254, v213, v4
	v_pk_fma_f32 v[60:61], v[60:61], v[138:139], v[62:63] neg_lo:[0,0,1] neg_hi:[0,0,1]
	v_dot4c_i32_i8_e32 v125, v201, v14
	v_dot4c_i32_i8_e32 v254, v221, v5
	v_pk_add_f32 v[74:75], v[74:75], v[60:61]
	v_dot4c_i32_i8_e32 v125, v202, v15
	v_dot4c_i32_i8_e32 v254, v222, v6
	ds_read2_b64 v[60:63], v179 offset0:32 offset1:48
	v_dot4c_i32_i8_e32 v125, v206, v8
	v_dot4c_i32_i8_e32 v254, v223, v7
	;; [unrolled: 1-line block ×3, first 2 shown]
	s_waitcnt lgkmcnt(1)
	v_dot4c_i32_i8_e32 v254, v225, v0
	v_dot4c_i32_i8_e32 v125, v209, v10
	;; [unrolled: 1-line block ×6, first 2 shown]
	s_waitcnt lgkmcnt(0)
	v_cvt_f32_f16_e32 v166, v60
	v_cvt_f32_f16_sdwa v168, v60 dst_sel:DWORD dst_unused:UNUSED_PAD src0_sel:WORD_1
	v_mul_lo_u32 v49, v49, v208
	v_mul_lo_u32 v60, v125, v208
	v_cvt_f32_f16_e32 v167, v62
	v_cvt_f32_f16_e32 v162, v61
	v_cvt_f32_f16_sdwa v164, v61 dst_sel:DWORD dst_unused:UNUSED_PAD src0_sel:WORD_1
	v_cvt_f32_i32_e32 v61, v60
	v_cvt_f32_i32_e32 v60, v49
	v_mul_lo_u32 v49, v124, v220
	v_mul_lo_u32 v124, v254, v220
	v_cvt_f32_f16_e32 v163, v63
	v_cvt_f32_i32_e32 v125, v124
	v_cvt_f32_i32_e32 v124, v49
	v_pk_fma_f32 v[60:61], v[60:61], v[166:167], 0 op_sel_hi:[1,1,0]
	v_mov_b32_e32 v49, 0
	v_dot4c_i32_i8_e32 v49, v198, v12
	v_pk_fma_f32 v[60:61], v[124:125], v[162:163], v[60:61]
	v_mov_b32_e32 v124, 0
	v_cvt_f32_f16_sdwa v169, v62 dst_sel:DWORD dst_unused:UNUSED_PAD src0_sel:WORD_1
	v_dot4c_i32_i8_e32 v49, v203, v13
	v_dot4c_i32_i8_e32 v124, v218, v4
	v_cvt_f32_f16_sdwa v165, v63 dst_sel:DWORD dst_unused:UNUSED_PAD src0_sel:WORD_1
	v_dot4c_i32_i8_e32 v49, v204, v14
	v_dot4c_i32_i8_e32 v124, v231, v5
	;; [unrolled: 1-line block ×6, first 2 shown]
	v_pk_fma_f32 v[62:63], v[150:151], v[168:169], 0 op_sel_hi:[0,1,0]
	v_dot4c_i32_i8_e32 v49, v212, v9
	v_dot4c_i32_i8_e32 v124, v238, v0
	v_pk_fma_f32 v[62:63], v[154:155], v[164:165], v[62:63] op_sel_hi:[0,1,1]
	v_dot4c_i32_i8_e32 v49, v215, v10
	v_dot4c_i32_i8_e32 v124, v240, v1
	v_pk_mul_f32 v[62:63], v[62:63], v[132:133]
	v_dot4c_i32_i8_e32 v49, v216, v11
	v_dot4c_i32_i8_e32 v124, v241, v2
	v_pk_fma_f32 v[60:61], v[60:61], v[130:131], v[62:63] neg_lo:[0,0,1] neg_hi:[0,0,1]
	v_dot4c_i32_i8_e32 v124, v243, v3
	v_mul_lo_u32 v49, v49, v214
	v_pk_add_f32 v[38:39], v[38:39], v[60:61]
	v_mul_lo_u32 v60, v93, v214
	v_cvt_f32_i32_e32 v61, v49
	v_mul_lo_u32 v49, v253, v239
	v_mul_lo_u32 v93, v124, v239
	v_cvt_f32_i32_e32 v125, v93
	v_cvt_f32_i32_e32 v124, v49
	v_mov_b32_e32 v49, 0
	v_mov_b32_e32 v93, 0
	v_dot4c_i32_i8_e32 v49, v217, v12
	v_dot4c_i32_i8_e32 v93, v242, v4
	v_cvt_f32_i32_e32 v60, v60
	v_dot4c_i32_i8_e32 v49, v219, v13
	v_dot4c_i32_i8_e32 v93, v245, v5
	;; [unrolled: 1-line block ×6, first 2 shown]
	v_pk_fma_f32 v[62:63], v[152:153], v[168:169], 0 op_sel_hi:[0,1,0]
	v_dot4c_i32_i8_e32 v49, v232, v8
	v_dot4c_i32_i8_e32 v93, v248, v0
	v_pk_fma_f32 v[60:61], v[60:61], v[166:167], 0 op_sel_hi:[1,1,0]
	v_pk_fma_f32 v[62:63], v[158:159], v[164:165], v[62:63] op_sel_hi:[0,1,1]
	v_dot4c_i32_i8_e32 v49, v233, v9
	v_dot4c_i32_i8_e32 v93, v250, v1
	v_pk_fma_f32 v[60:61], v[124:125], v[162:163], v[60:61]
	v_pk_mul_f32 v[62:63], v[62:63], v[136:137]
	v_dot4c_i32_i8_e32 v49, v236, v10
	v_dot4c_i32_i8_e32 v93, v251, v2
	v_pk_fma_f32 v[60:61], v[60:61], v[134:135], v[62:63] neg_lo:[0,0,1] neg_hi:[0,0,1]
	v_dot4c_i32_i8_e32 v49, v237, v11
	v_dot4c_i32_i8_e32 v93, v252, v3
	v_mul_lo_u32 v46, v46, v230
	v_pk_add_f32 v[36:37], v[36:37], v[60:61]
	v_mul_lo_u32 v49, v49, v230
	v_cvt_f32_i32_e32 v60, v46
	v_mul_lo_u32 v46, v48, v249
	v_mul_lo_u32 v48, v93, v249
	v_cvt_f32_i32_e32 v61, v49
	v_cvt_f32_i32_e32 v49, v48
	;; [unrolled: 1-line block ×3, first 2 shown]
	v_mov_b32_e32 v46, 0
	v_dot4c_i32_i8_e32 v46, v244, v12
	v_dot4c_i32_i8_e32 v46, v200, v13
	;; [unrolled: 1-line block ×5, first 2 shown]
	v_mov_b32_e32 v8, 0
	v_dot4c_i32_i8_e32 v8, v188, v4
	v_dot4c_i32_i8_e32 v8, v190, v5
	;; [unrolled: 1-line block ×11, first 2 shown]
	v_mul_lo_u32 v0, v44, v182
	v_mul_lo_u32 v1, v46, v182
	v_cvt_f32_i32_e32 v1, v1
	v_cvt_f32_i32_e32 v0, v0
	v_mul_lo_u32 v4, v45, v181
	v_mul_lo_u32 v5, v8, v181
	v_cvt_f32_i32_e32 v5, v5
	v_cvt_f32_i32_e32 v4, v4
	v_pk_fma_f32 v[2:3], v[148:149], v[168:169], 0 op_sel_hi:[0,1,0]
	v_pk_fma_f32 v[0:1], v[0:1], v[166:167], 0 op_sel_hi:[1,1,0]
	;; [unrolled: 1-line block ×3, first 2 shown]
	v_pk_fma_f32 v[0:1], v[4:5], v[162:163], v[0:1]
	v_pk_mul_f32 v[2:3], v[2:3], v[144:145]
	v_pk_fma_f32 v[60:61], v[60:61], v[166:167], 0 op_sel_hi:[1,1,0]
	v_pk_fma_f32 v[62:63], v[156:157], v[168:169], 0 op_sel_hi:[0,1,0]
	v_pk_fma_f32 v[0:1], v[0:1], v[142:143], v[2:3] neg_lo:[0,0,1] neg_hi:[0,0,1]
	v_pk_fma_f32 v[48:49], v[48:49], v[162:163], v[60:61]
	v_pk_fma_f32 v[60:61], v[160:161], v[164:165], v[62:63] op_sel_hi:[0,1,1]
	v_pk_add_f32 v[32:33], v[32:33], v[0:1]
	ds_read_b128 v[12:15], v178 offset:4096
	ds_read_b128 v[8:11], v178 offset:4112
	;; [unrolled: 1-line block ×4, first 2 shown]
	v_pk_mul_f32 v[60:61], v[60:61], v[140:141]
	v_mov_b32_e32 v254, 0
	v_pk_fma_f32 v[48:49], v[48:49], v[138:139], v[60:61] neg_lo:[0,0,1] neg_hi:[0,0,1]
	v_mov_b32_e32 v255, 0
	v_pk_add_f32 v[34:35], v[34:35], v[48:49]
	v_mov_b32_e32 v93, 0
	v_mov_b32_e32 v253, 0
	;; [unrolled: 1-line block ×6, first 2 shown]
	s_waitcnt lgkmcnt(3)
	v_dot4c_i32_i8_e32 v254, v199, v12
	s_waitcnt lgkmcnt(1)
	v_dot4c_i32_i8_e32 v255, v213, v4
	v_dot4c_i32_i8_e32 v93, v198, v12
	;; [unrolled: 1-line block ×32, first 2 shown]
	s_waitcnt lgkmcnt(0)
	v_dot4c_i32_i8_e32 v255, v225, v0
	v_dot4c_i32_i8_e32 v93, v211, v8
	;; [unrolled: 1-line block ×31, first 2 shown]
	ds_read_b128 v[12:15], v178 offset:5120
	ds_read_b128 v[8:11], v178 offset:5136
	ds_read_b128 v[4:7], v178 offset:5152
	ds_read_b128 v[0:3], v178 offset:5168
	v_mov_b32_e32 v49, 0
	s_waitcnt lgkmcnt(3)
	v_dot4c_i32_i8_e32 v49, v199, v12
	v_mov_b32_e32 v124, 0
	v_dot4c_i32_i8_e32 v49, v197, v13
	s_waitcnt lgkmcnt(1)
	v_dot4c_i32_i8_e32 v124, v213, v4
	v_dot4c_i32_i8_e32 v49, v201, v14
	;; [unrolled: 1-line block ×5, first 2 shown]
	ds_read2_b64 v[60:63], v179 offset0:64 offset1:80
	v_dot4c_i32_i8_e32 v49, v206, v8
	v_dot4c_i32_i8_e32 v124, v223, v7
	;; [unrolled: 1-line block ×3, first 2 shown]
	s_waitcnt lgkmcnt(1)
	v_dot4c_i32_i8_e32 v124, v225, v0
	v_dot4c_i32_i8_e32 v49, v209, v10
	v_dot4c_i32_i8_e32 v124, v227, v1
	v_dot4c_i32_i8_e32 v49, v210, v11
	v_dot4c_i32_i8_e32 v124, v228, v2
	v_dot4c_i32_i8_e32 v124, v229, v3
	s_waitcnt lgkmcnt(0)
	v_cvt_f32_f16_e32 v166, v60
	v_cvt_f32_f16_sdwa v168, v60 dst_sel:DWORD dst_unused:UNUSED_PAD src0_sel:WORD_1
	v_mul_lo_u32 v60, v254, v208
	v_mul_lo_u32 v49, v49, v208
	v_cvt_f32_f16_e32 v167, v62
	v_cvt_f32_f16_e32 v162, v61
	v_cvt_f32_f16_sdwa v164, v61 dst_sel:DWORD dst_unused:UNUSED_PAD src0_sel:WORD_1
	v_cvt_f32_i32_e32 v61, v49
	v_cvt_f32_i32_e32 v60, v60
	v_mul_lo_u32 v49, v255, v220
	v_mul_lo_u32 v124, v124, v220
	v_cvt_f32_f16_e32 v163, v63
	v_cvt_f32_i32_e32 v125, v124
	v_cvt_f32_i32_e32 v124, v49
	v_pk_fma_f32 v[60:61], v[60:61], v[166:167], 0 op_sel_hi:[1,1,0]
	v_mov_b32_e32 v49, 0
	v_dot4c_i32_i8_e32 v49, v198, v12
	v_pk_fma_f32 v[60:61], v[124:125], v[162:163], v[60:61]
	v_mov_b32_e32 v124, 0
	v_cvt_f32_f16_sdwa v169, v62 dst_sel:DWORD dst_unused:UNUSED_PAD src0_sel:WORD_1
	v_dot4c_i32_i8_e32 v49, v203, v13
	v_dot4c_i32_i8_e32 v124, v218, v4
	v_cvt_f32_f16_sdwa v165, v63 dst_sel:DWORD dst_unused:UNUSED_PAD src0_sel:WORD_1
	v_dot4c_i32_i8_e32 v49, v204, v14
	v_dot4c_i32_i8_e32 v124, v231, v5
	;; [unrolled: 1-line block ×6, first 2 shown]
	v_pk_fma_f32 v[62:63], v[150:151], v[168:169], 0 op_sel_hi:[0,1,0]
	v_dot4c_i32_i8_e32 v49, v212, v9
	v_dot4c_i32_i8_e32 v124, v238, v0
	v_pk_fma_f32 v[62:63], v[154:155], v[164:165], v[62:63] op_sel_hi:[0,1,1]
	v_dot4c_i32_i8_e32 v49, v215, v10
	v_dot4c_i32_i8_e32 v124, v240, v1
	v_pk_mul_f32 v[62:63], v[62:63], v[132:133]
	v_dot4c_i32_i8_e32 v49, v216, v11
	v_dot4c_i32_i8_e32 v124, v241, v2
	v_pk_fma_f32 v[60:61], v[60:61], v[130:131], v[62:63] neg_lo:[0,0,1] neg_hi:[0,0,1]
	v_dot4c_i32_i8_e32 v124, v243, v3
	v_mul_lo_u32 v49, v49, v214
	v_pk_add_f32 v[30:31], v[30:31], v[60:61]
	v_mul_lo_u32 v60, v93, v214
	v_cvt_f32_i32_e32 v61, v49
	v_mul_lo_u32 v49, v253, v239
	v_mul_lo_u32 v93, v124, v239
	v_cvt_f32_i32_e32 v125, v93
	v_cvt_f32_i32_e32 v124, v49
	v_mov_b32_e32 v49, 0
	v_mov_b32_e32 v93, 0
	v_dot4c_i32_i8_e32 v49, v217, v12
	v_dot4c_i32_i8_e32 v93, v242, v4
	v_cvt_f32_i32_e32 v60, v60
	v_dot4c_i32_i8_e32 v49, v219, v13
	v_dot4c_i32_i8_e32 v93, v245, v5
	;; [unrolled: 1-line block ×6, first 2 shown]
	v_pk_fma_f32 v[62:63], v[152:153], v[168:169], 0 op_sel_hi:[0,1,0]
	v_dot4c_i32_i8_e32 v49, v232, v8
	v_dot4c_i32_i8_e32 v93, v248, v0
	v_pk_fma_f32 v[60:61], v[60:61], v[166:167], 0 op_sel_hi:[1,1,0]
	v_pk_fma_f32 v[62:63], v[158:159], v[164:165], v[62:63] op_sel_hi:[0,1,1]
	v_dot4c_i32_i8_e32 v49, v233, v9
	v_dot4c_i32_i8_e32 v93, v250, v1
	v_pk_fma_f32 v[60:61], v[124:125], v[162:163], v[60:61]
	v_pk_mul_f32 v[62:63], v[62:63], v[136:137]
	v_dot4c_i32_i8_e32 v49, v236, v10
	v_dot4c_i32_i8_e32 v93, v251, v2
	v_pk_fma_f32 v[60:61], v[60:61], v[134:135], v[62:63] neg_lo:[0,0,1] neg_hi:[0,0,1]
	v_dot4c_i32_i8_e32 v49, v237, v11
	v_dot4c_i32_i8_e32 v93, v252, v3
	v_mul_lo_u32 v46, v46, v230
	v_pk_add_f32 v[28:29], v[28:29], v[60:61]
	v_mul_lo_u32 v49, v49, v230
	v_cvt_f32_i32_e32 v60, v46
	v_mul_lo_u32 v46, v48, v249
	v_mul_lo_u32 v48, v93, v249
	v_cvt_f32_i32_e32 v61, v49
	v_cvt_f32_i32_e32 v49, v48
	v_cvt_f32_i32_e32 v48, v46
	v_mov_b32_e32 v46, 0
	v_dot4c_i32_i8_e32 v46, v244, v12
	v_dot4c_i32_i8_e32 v46, v200, v13
	;; [unrolled: 1-line block ×5, first 2 shown]
	v_mov_b32_e32 v8, 0
	v_dot4c_i32_i8_e32 v8, v188, v4
	v_dot4c_i32_i8_e32 v8, v190, v5
	;; [unrolled: 1-line block ×11, first 2 shown]
	v_mul_lo_u32 v0, v44, v182
	v_mul_lo_u32 v1, v46, v182
	v_cvt_f32_i32_e32 v1, v1
	v_cvt_f32_i32_e32 v0, v0
	v_mul_lo_u32 v4, v45, v181
	v_mul_lo_u32 v5, v8, v181
	v_cvt_f32_i32_e32 v5, v5
	v_cvt_f32_i32_e32 v4, v4
	v_pk_fma_f32 v[2:3], v[148:149], v[168:169], 0 op_sel_hi:[0,1,0]
	v_pk_fma_f32 v[0:1], v[0:1], v[166:167], 0 op_sel_hi:[1,1,0]
	;; [unrolled: 1-line block ×3, first 2 shown]
	v_pk_fma_f32 v[0:1], v[4:5], v[162:163], v[0:1]
	v_pk_mul_f32 v[2:3], v[2:3], v[144:145]
	v_pk_fma_f32 v[60:61], v[60:61], v[166:167], 0 op_sel_hi:[1,1,0]
	v_pk_fma_f32 v[62:63], v[156:157], v[168:169], 0 op_sel_hi:[0,1,0]
	v_pk_fma_f32 v[0:1], v[0:1], v[142:143], v[2:3] neg_lo:[0,0,1] neg_hi:[0,0,1]
	v_pk_fma_f32 v[48:49], v[48:49], v[162:163], v[60:61]
	v_pk_fma_f32 v[60:61], v[160:161], v[164:165], v[62:63] op_sel_hi:[0,1,1]
	v_pk_add_f32 v[24:25], v[24:25], v[0:1]
	ds_read_b128 v[8:11], v178 offset:6144
	ds_read_b128 v[12:15], v178 offset:6160
	;; [unrolled: 1-line block ×4, first 2 shown]
	v_pk_mul_f32 v[60:61], v[60:61], v[140:141]
	v_mov_b32_e32 v46, 0
	v_pk_fma_f32 v[48:49], v[48:49], v[138:139], v[60:61] neg_lo:[0,0,1] neg_hi:[0,0,1]
	v_mov_b32_e32 v93, 0
	v_pk_add_f32 v[26:27], v[26:27], v[48:49]
	v_mov_b32_e32 v48, 0
	v_mov_b32_e32 v44, 0
	;; [unrolled: 1-line block ×6, first 2 shown]
	s_waitcnt lgkmcnt(3)
	v_dot4c_i32_i8_e32 v46, v199, v8
	s_waitcnt lgkmcnt(1)
	v_dot4c_i32_i8_e32 v48, v213, v4
	v_dot4c_i32_i8_e32 v93, v198, v8
	;; [unrolled: 1-line block ×32, first 2 shown]
	s_waitcnt lgkmcnt(0)
	v_dot4c_i32_i8_e32 v48, v225, v0
	v_dot4c_i32_i8_e32 v93, v211, v12
	;; [unrolled: 1-line block ×31, first 2 shown]
	ds_read_b128 v[8:11], v178 offset:7168
	ds_read_b128 v[12:15], v178 offset:7184
	;; [unrolled: 1-line block ×4, first 2 shown]
	v_mov_b32_e32 v49, 0
	s_waitcnt lgkmcnt(3)
	v_dot4c_i32_i8_e32 v49, v199, v8
	v_mov_b32_e32 v124, 0
	v_dot4c_i32_i8_e32 v49, v197, v9
	s_waitcnt lgkmcnt(1)
	v_dot4c_i32_i8_e32 v124, v213, v4
	v_dot4c_i32_i8_e32 v49, v201, v10
	;; [unrolled: 1-line block ×7, first 2 shown]
	ds_read2_b64 v[60:63], v179 offset0:96 offset1:112
	v_dot4c_i32_i8_e32 v49, v207, v13
	s_waitcnt lgkmcnt(1)
	v_dot4c_i32_i8_e32 v124, v225, v0
	v_dot4c_i32_i8_e32 v49, v209, v14
	;; [unrolled: 1-line block ×6, first 2 shown]
	v_mul_lo_u32 v46, v46, v208
	v_mul_lo_u32 v49, v49, v208
	s_waitcnt lgkmcnt(0)
	v_cvt_f32_f16_e32 v169, v62
	v_cvt_f32_f16_e32 v168, v60
	v_cvt_f32_f16_sdwa v167, v62 dst_sel:DWORD dst_unused:UNUSED_PAD src0_sel:WORD_1
	v_cvt_f32_f16_sdwa v166, v60 dst_sel:DWORD dst_unused:UNUSED_PAD src0_sel:WORD_1
	v_cvt_f32_f16_e32 v164, v61
	v_cvt_f32_f16_sdwa v162, v61 dst_sel:DWORD dst_unused:UNUSED_PAD src0_sel:WORD_1
	v_cvt_f32_i32_e32 v61, v49
	v_cvt_f32_i32_e32 v60, v46
	v_mul_lo_u32 v46, v48, v220
	v_mul_lo_u32 v48, v124, v220
	v_cvt_f32_f16_e32 v165, v63
	v_cvt_f32_f16_sdwa v163, v63 dst_sel:DWORD dst_unused:UNUSED_PAD src0_sel:WORD_1
	v_cvt_f32_i32_e32 v49, v48
	v_cvt_f32_i32_e32 v48, v46
	v_pk_fma_f32 v[60:61], v[60:61], v[168:169], 0 op_sel_hi:[1,1,0]
	v_pk_fma_f32 v[62:63], v[150:151], v[166:167], 0 op_sel_hi:[0,1,0]
	v_mov_b32_e32 v46, 0
	v_pk_fma_f32 v[48:49], v[48:49], v[164:165], v[60:61]
	v_pk_fma_f32 v[60:61], v[154:155], v[162:163], v[62:63] op_sel_hi:[0,1,1]
	v_dot4c_i32_i8_e32 v46, v198, v8
	v_mov_b32_e32 v62, 0
	v_dot4c_i32_i8_e32 v46, v203, v9
	v_dot4c_i32_i8_e32 v62, v218, v4
	;; [unrolled: 1-line block ×12, first 2 shown]
	v_pk_mul_f32 v[60:61], v[60:61], v[132:133]
	v_dot4c_i32_i8_e32 v46, v216, v15
	v_dot4c_i32_i8_e32 v62, v241, v2
	v_pk_fma_f32 v[48:49], v[48:49], v[130:131], v[60:61] neg_lo:[0,0,1] neg_hi:[0,0,1]
	v_dot4c_i32_i8_e32 v62, v243, v3
	v_mul_lo_u32 v46, v46, v214
	v_mul_lo_u32 v44, v44, v239
	v_pk_add_f32 v[22:23], v[22:23], v[48:49]
	v_cvt_f32_i32_e32 v49, v46
	v_mul_lo_u32 v46, v62, v239
	v_cvt_f32_i32_e32 v62, v44
	v_mov_b32_e32 v44, 0
	v_mul_lo_u32 v48, v93, v214
	v_cvt_f32_i32_e32 v63, v46
	v_dot4c_i32_i8_e32 v44, v217, v8
	v_mov_b32_e32 v46, 0
	v_mov_b32_e32 v150, 0
	v_cvt_f32_i32_e32 v48, v48
	v_dot4c_i32_i8_e32 v44, v219, v9
	v_dot4c_i32_i8_e32 v46, v242, v4
	;; [unrolled: 1-line block ×3, first 2 shown]
	v_mov_b32_e32 v8, 0
	v_dot4c_i32_i8_e32 v44, v224, v10
	v_dot4c_i32_i8_e32 v46, v245, v5
	;; [unrolled: 1-line block ×8, first 2 shown]
	v_pk_fma_f32 v[60:61], v[152:153], v[166:167], 0 op_sel_hi:[0,1,0]
	v_dot4c_i32_i8_e32 v44, v232, v12
	v_dot4c_i32_i8_e32 v46, v247, v7
	;; [unrolled: 1-line block ×4, first 2 shown]
	v_pk_fma_f32 v[48:49], v[48:49], v[168:169], 0 op_sel_hi:[1,1,0]
	v_pk_fma_f32 v[60:61], v[158:159], v[162:163], v[60:61] op_sel_hi:[0,1,1]
	v_dot4c_i32_i8_e32 v44, v233, v13
	v_dot4c_i32_i8_e32 v46, v248, v0
	;; [unrolled: 1-line block ×4, first 2 shown]
	v_pk_fma_f32 v[48:49], v[62:63], v[164:165], v[48:49]
	v_pk_mul_f32 v[60:61], v[60:61], v[136:137]
	v_dot4c_i32_i8_e32 v44, v236, v14
	v_dot4c_i32_i8_e32 v46, v250, v1
	;; [unrolled: 1-line block ×4, first 2 shown]
	v_pk_fma_f32 v[48:49], v[48:49], v[134:135], v[60:61] neg_lo:[0,0,1] neg_hi:[0,0,1]
	v_dot4c_i32_i8_e32 v44, v237, v15
	v_dot4c_i32_i8_e32 v46, v251, v2
	;; [unrolled: 1-line block ×4, first 2 shown]
	v_pk_add_f32 v[20:21], v[20:21], v[48:49]
	v_dot4c_i32_i8_e32 v46, v252, v3
	v_mul_lo_u32 v48, v255, v230
	v_mul_lo_u32 v44, v44, v230
	v_dot4c_i32_i8_e32 v150, v196, v15
	v_dot4c_i32_i8_e32 v8, v186, v2
	v_cvt_f32_i32_e32 v49, v44
	v_cvt_f32_i32_e32 v48, v48
	v_mul_lo_u32 v44, v45, v249
	v_mul_lo_u32 v45, v46, v249
	v_dot4c_i32_i8_e32 v8, v187, v3
	v_mul_lo_u32 v0, v254, v182
	v_mul_lo_u32 v1, v150, v182
	v_cvt_f32_i32_e32 v45, v45
	v_cvt_f32_i32_e32 v44, v44
	;; [unrolled: 1-line block ×4, first 2 shown]
	v_mul_lo_u32 v4, v253, v181
	v_mul_lo_u32 v5, v8, v181
	v_cvt_f32_i32_e32 v5, v5
	v_cvt_f32_i32_e32 v4, v4
	v_pk_fma_f32 v[48:49], v[48:49], v[168:169], 0 op_sel_hi:[1,1,0]
	v_pk_fma_f32 v[60:61], v[156:157], v[166:167], 0 op_sel_hi:[0,1,0]
	;; [unrolled: 1-line block ×3, first 2 shown]
	v_pk_fma_f32 v[44:45], v[44:45], v[164:165], v[48:49]
	v_pk_fma_f32 v[48:49], v[160:161], v[162:163], v[60:61] op_sel_hi:[0,1,1]
	v_pk_fma_f32 v[0:1], v[0:1], v[168:169], 0 op_sel_hi:[1,1,0]
	;; [unrolled: 1-line block ×3, first 2 shown]
	v_pk_mul_f32 v[48:49], v[48:49], v[140:141]
	v_pk_fma_f32 v[0:1], v[4:5], v[164:165], v[0:1]
	v_pk_mul_f32 v[2:3], v[2:3], v[144:145]
	v_pk_fma_f32 v[44:45], v[44:45], v[138:139], v[48:49] neg_lo:[0,0,1] neg_hi:[0,0,1]
	v_pk_fma_f32 v[0:1], v[0:1], v[142:143], v[2:3] neg_lo:[0,0,1] neg_hi:[0,0,1]
	s_add_i32 s0, s0, 8
	s_add_i32 s17, s16, 8
	;; [unrolled: 1-line block ×4, first 2 shown]
	v_pk_add_f32 v[18:19], v[18:19], v[44:45]
	v_pk_add_f32 v[16:17], v[16:17], v[0:1]
	v_add_u32_e32 v180, 32, v180
	v_add_u32_e32 v179, 8, v179
	;; [unrolled: 1-line block ×3, first 2 shown]
	s_cmp_lt_u32 s16, 24
	s_mov_b32 s16, s17
	s_cbranch_scc1 .LBB172_8
; %bb.9:                                ;   in Loop: Header=BB172_5 Depth=1
	s_add_i32 s9, s9, 1
	s_cmp_eq_u32 s9, s4
	s_barrier
	s_cbranch_scc0 .LBB172_5
; %bb.10:
	scratch_load_dword v1, off, off offset:80 ; 4-byte Folded Reload
	scratch_load_dword v2, off, off offset:84 ; 4-byte Folded Reload
.LBB172_11:
	s_waitcnt vmcnt(0)
	v_cmp_gt_u32_e32 vcc, s10, v2
	s_and_saveexec_b64 s[0:1], vcc
	s_cbranch_execz .LBB172_62
; %bb.12:
	v_add_u32_e32 v0, s6, v41
	v_mul_lo_u32 v5, v2, s14
	v_cmp_gt_u32_e64 s[0:1], s14, v0
	s_and_saveexec_b64 s[2:3], s[0:1]
	s_cbranch_execz .LBB172_14
; %bb.13:
	v_bfe_u32 v2, v76, 16, 1
	s_movk_i32 s4, 0x7fff
	v_add3_u32 v2, v76, v2, s4
	v_cmp_o_f32_e32 vcc, v76, v76
	v_mov_b32_e32 v3, 0x7fc0
	s_nop 0
	v_cndmask_b32_sdwa v4, v3, v2, vcc dst_sel:DWORD dst_unused:UNUSED_PAD src0_sel:DWORD src1_sel:WORD_1
	v_add_u32_e32 v2, v0, v5
	v_mov_b32_e32 v3, 0
	s_waitcnt lgkmcnt(0)
	v_lshl_add_u64 v[2:3], v[2:3], 1, s[12:13]
	global_store_short v[2:3], v4, off
.LBB172_14:
	s_or_b64 exec, exec, s[2:3]
	v_add_u32_e32 v2, 32, v0
	v_cmp_gt_u32_e64 s[2:3], s14, v2
	s_and_saveexec_b64 s[4:5], s[2:3]
	s_cbranch_execz .LBB172_16
; %bb.15:
	v_bfe_u32 v3, v78, 16, 1
	s_movk_i32 s6, 0x7fff
	v_add3_u32 v3, v78, v3, s6
	v_cmp_o_f32_e32 vcc, v78, v78
	v_mov_b32_e32 v4, 0x7fc0
	v_add_u32_e32 v6, v2, v5
	v_mov_b32_e32 v7, 0
	v_cndmask_b32_sdwa v3, v4, v3, vcc dst_sel:DWORD dst_unused:UNUSED_PAD src0_sel:DWORD src1_sel:WORD_1
	s_waitcnt lgkmcnt(0)
	v_lshl_add_u64 v[6:7], v[6:7], 1, s[12:13]
	global_store_short v[6:7], v3, off
.LBB172_16:
	s_or_b64 exec, exec, s[4:5]
	v_add_u32_e32 v3, 64, v0
	v_cmp_gt_u32_e64 s[4:5], s14, v3
	s_and_saveexec_b64 s[6:7], s[4:5]
	s_cbranch_execz .LBB172_18
; %bb.17:
	v_bfe_u32 v4, v74, 16, 1
	s_movk_i32 s8, 0x7fff
	v_add3_u32 v4, v74, v4, s8
	v_cmp_o_f32_e32 vcc, v74, v74
	v_mov_b32_e32 v6, 0x7fc0
	v_mov_b32_e32 v7, 0
	v_cndmask_b32_sdwa v4, v6, v4, vcc dst_sel:DWORD dst_unused:UNUSED_PAD src0_sel:DWORD src1_sel:WORD_1
	v_add_u32_e32 v6, v3, v5
	s_waitcnt lgkmcnt(0)
	v_lshl_add_u64 v[6:7], v[6:7], 1, s[12:13]
	global_store_short v[6:7], v4, off
.LBB172_18:
	s_or_b64 exec, exec, s[6:7]
	v_add_u32_e32 v4, 0x60, v0
	v_cmp_gt_u32_e64 s[6:7], s14, v4
	s_and_saveexec_b64 s[8:9], s[6:7]
	s_cbranch_execz .LBB172_20
; %bb.19:
	v_bfe_u32 v6, v64, 16, 1
	s_movk_i32 s11, 0x7fff
	v_add3_u32 v6, v64, v6, s11
	v_cmp_o_f32_e32 vcc, v64, v64
	v_mov_b32_e32 v7, 0x7fc0
	s_nop 0
	v_cndmask_b32_sdwa v8, v7, v6, vcc dst_sel:DWORD dst_unused:UNUSED_PAD src0_sel:DWORD src1_sel:WORD_1
	v_add_u32_e32 v6, v4, v5
	v_mov_b32_e32 v7, 0
	s_waitcnt lgkmcnt(0)
	v_lshl_add_u64 v[6:7], v[6:7], 1, s[12:13]
	global_store_short v[6:7], v8, off
.LBB172_20:
	s_or_b64 exec, exec, s[8:9]
	v_add3_u32 v5, v1, s15, 8
	v_cmp_gt_u32_e32 vcc, s10, v5
	s_and_b64 exec, exec, vcc
	s_cbranch_execz .LBB172_62
; %bb.21:
	v_mul_lo_u32 v5, v5, s14
	s_and_saveexec_b64 s[8:9], s[0:1]
	s_cbranch_execnz .LBB172_63
; %bb.22:
	s_or_b64 exec, exec, s[8:9]
	s_and_saveexec_b64 s[8:9], s[2:3]
	s_cbranch_execnz .LBB172_64
.LBB172_23:
	s_or_b64 exec, exec, s[8:9]
	s_and_saveexec_b64 s[8:9], s[4:5]
	s_cbranch_execnz .LBB172_65
.LBB172_24:
	s_or_b64 exec, exec, s[8:9]
	s_and_saveexec_b64 s[8:9], s[6:7]
	s_cbranch_execz .LBB172_26
.LBB172_25:
	v_bfe_u32 v6, v65, 16, 1
	s_movk_i32 s11, 0x7fff
	v_add3_u32 v6, v65, v6, s11
	v_cmp_o_f32_e32 vcc, v65, v65
	v_mov_b32_e32 v7, 0x7fc0
	s_nop 0
	v_cndmask_b32_sdwa v8, v7, v6, vcc dst_sel:DWORD dst_unused:UNUSED_PAD src0_sel:DWORD src1_sel:WORD_1
	v_add_u32_e32 v6, v5, v4
	v_mov_b32_e32 v7, 0
	s_waitcnt lgkmcnt(0)
	v_lshl_add_u64 v[6:7], v[6:7], 1, s[12:13]
	global_store_short v[6:7], v8, off
.LBB172_26:
	s_or_b64 exec, exec, s[8:9]
	v_add3_u32 v5, v1, s15, 16
	v_cmp_gt_u32_e32 vcc, s10, v5
	s_and_b64 exec, exec, vcc
	s_cbranch_execz .LBB172_62
; %bb.27:
	v_mul_lo_u32 v5, v5, s14
	s_and_saveexec_b64 s[8:9], s[0:1]
	s_cbranch_execnz .LBB172_66
; %bb.28:
	s_or_b64 exec, exec, s[8:9]
	s_and_saveexec_b64 s[8:9], s[2:3]
	s_cbranch_execnz .LBB172_67
.LBB172_29:
	s_or_b64 exec, exec, s[8:9]
	s_and_saveexec_b64 s[8:9], s[4:5]
	s_cbranch_execnz .LBB172_68
.LBB172_30:
	s_or_b64 exec, exec, s[8:9]
	s_and_saveexec_b64 s[8:9], s[6:7]
	s_cbranch_execz .LBB172_32
.LBB172_31:
	v_bfe_u32 v6, v32, 16, 1
	s_movk_i32 s11, 0x7fff
	v_add3_u32 v6, v32, v6, s11
	v_cmp_o_f32_e32 vcc, v32, v32
	v_mov_b32_e32 v7, 0x7fc0
	s_nop 0
	v_cndmask_b32_sdwa v8, v7, v6, vcc dst_sel:DWORD dst_unused:UNUSED_PAD src0_sel:DWORD src1_sel:WORD_1
	v_add_u32_e32 v6, v5, v4
	v_mov_b32_e32 v7, 0
	s_waitcnt lgkmcnt(0)
	v_lshl_add_u64 v[6:7], v[6:7], 1, s[12:13]
	global_store_short v[6:7], v8, off
.LBB172_32:
	s_or_b64 exec, exec, s[8:9]
	v_add3_u32 v5, v1, s15, 24
	v_cmp_gt_u32_e32 vcc, s10, v5
	s_and_b64 exec, exec, vcc
	s_cbranch_execz .LBB172_62
; %bb.33:
	v_mul_lo_u32 v5, v5, s14
	s_and_saveexec_b64 s[8:9], s[0:1]
	s_cbranch_execnz .LBB172_69
; %bb.34:
	s_or_b64 exec, exec, s[8:9]
	s_and_saveexec_b64 s[8:9], s[2:3]
	s_cbranch_execnz .LBB172_70
.LBB172_35:
	s_or_b64 exec, exec, s[8:9]
	s_and_saveexec_b64 s[8:9], s[4:5]
	s_cbranch_execnz .LBB172_71
.LBB172_36:
	s_or_b64 exec, exec, s[8:9]
	s_and_saveexec_b64 s[8:9], s[6:7]
	s_cbranch_execz .LBB172_38
.LBB172_37:
	v_bfe_u32 v6, v33, 16, 1
	s_movk_i32 s11, 0x7fff
	v_add3_u32 v6, v33, v6, s11
	v_cmp_o_f32_e32 vcc, v33, v33
	v_mov_b32_e32 v7, 0x7fc0
	s_nop 0
	v_cndmask_b32_sdwa v8, v7, v6, vcc dst_sel:DWORD dst_unused:UNUSED_PAD src0_sel:DWORD src1_sel:WORD_1
	v_add_u32_e32 v6, v5, v4
	v_mov_b32_e32 v7, 0
	s_waitcnt lgkmcnt(0)
	v_lshl_add_u64 v[6:7], v[6:7], 1, s[12:13]
	global_store_short v[6:7], v8, off
.LBB172_38:
	s_or_b64 exec, exec, s[8:9]
	v_add3_u32 v5, v1, s15, 32
	v_cmp_gt_u32_e32 vcc, s10, v5
	s_and_b64 exec, exec, vcc
	s_cbranch_execz .LBB172_62
; %bb.39:
	v_mul_lo_u32 v5, v5, s14
	s_and_saveexec_b64 s[8:9], s[0:1]
	s_cbranch_execnz .LBB172_72
; %bb.40:
	s_or_b64 exec, exec, s[8:9]
	s_and_saveexec_b64 s[8:9], s[2:3]
	s_cbranch_execnz .LBB172_73
.LBB172_41:
	s_or_b64 exec, exec, s[8:9]
	s_and_saveexec_b64 s[8:9], s[4:5]
	s_cbranch_execnz .LBB172_74
.LBB172_42:
	s_or_b64 exec, exec, s[8:9]
	s_and_saveexec_b64 s[8:9], s[6:7]
	s_cbranch_execz .LBB172_44
.LBB172_43:
	v_bfe_u32 v6, v24, 16, 1
	s_movk_i32 s11, 0x7fff
	v_add3_u32 v6, v24, v6, s11
	v_cmp_o_f32_e32 vcc, v24, v24
	v_mov_b32_e32 v7, 0x7fc0
	s_nop 0
	v_cndmask_b32_sdwa v8, v7, v6, vcc dst_sel:DWORD dst_unused:UNUSED_PAD src0_sel:DWORD src1_sel:WORD_1
	v_add_u32_e32 v6, v5, v4
	v_mov_b32_e32 v7, 0
	s_waitcnt lgkmcnt(0)
	v_lshl_add_u64 v[6:7], v[6:7], 1, s[12:13]
	global_store_short v[6:7], v8, off
.LBB172_44:
	s_or_b64 exec, exec, s[8:9]
	v_add3_u32 v5, v1, s15, 40
	v_cmp_gt_u32_e32 vcc, s10, v5
	s_and_b64 exec, exec, vcc
	s_cbranch_execz .LBB172_62
; %bb.45:
	v_mul_lo_u32 v5, v5, s14
	s_and_saveexec_b64 s[8:9], s[0:1]
	s_cbranch_execnz .LBB172_75
; %bb.46:
	s_or_b64 exec, exec, s[8:9]
	s_and_saveexec_b64 s[8:9], s[2:3]
	s_cbranch_execnz .LBB172_76
.LBB172_47:
	s_or_b64 exec, exec, s[8:9]
	s_and_saveexec_b64 s[8:9], s[4:5]
	s_cbranch_execnz .LBB172_77
.LBB172_48:
	s_or_b64 exec, exec, s[8:9]
	s_and_saveexec_b64 s[8:9], s[6:7]
	s_cbranch_execz .LBB172_50
.LBB172_49:
	v_bfe_u32 v6, v25, 16, 1
	s_movk_i32 s11, 0x7fff
	v_add3_u32 v6, v25, v6, s11
	v_cmp_o_f32_e32 vcc, v25, v25
	v_mov_b32_e32 v7, 0x7fc0
	s_nop 0
	v_cndmask_b32_sdwa v8, v7, v6, vcc dst_sel:DWORD dst_unused:UNUSED_PAD src0_sel:DWORD src1_sel:WORD_1
	v_add_u32_e32 v6, v5, v4
	v_mov_b32_e32 v7, 0
	s_waitcnt lgkmcnt(0)
	v_lshl_add_u64 v[6:7], v[6:7], 1, s[12:13]
	global_store_short v[6:7], v8, off
.LBB172_50:
	s_or_b64 exec, exec, s[8:9]
	v_add3_u32 v5, v1, s15, 48
	v_cmp_gt_u32_e32 vcc, s10, v5
	s_and_b64 exec, exec, vcc
	s_cbranch_execz .LBB172_62
; %bb.51:
	v_mul_lo_u32 v5, v5, s14
	s_and_saveexec_b64 s[8:9], s[0:1]
	s_cbranch_execnz .LBB172_78
; %bb.52:
	s_or_b64 exec, exec, s[8:9]
	s_and_saveexec_b64 s[8:9], s[2:3]
	s_cbranch_execnz .LBB172_79
.LBB172_53:
	s_or_b64 exec, exec, s[8:9]
	s_and_saveexec_b64 s[8:9], s[4:5]
	s_cbranch_execnz .LBB172_80
.LBB172_54:
	s_or_b64 exec, exec, s[8:9]
	s_and_saveexec_b64 s[8:9], s[6:7]
	s_cbranch_execz .LBB172_56
.LBB172_55:
	v_bfe_u32 v6, v16, 16, 1
	s_movk_i32 s11, 0x7fff
	v_add3_u32 v6, v16, v6, s11
	v_cmp_o_f32_e32 vcc, v16, v16
	v_mov_b32_e32 v7, 0x7fc0
	s_nop 0
	v_cndmask_b32_sdwa v8, v7, v6, vcc dst_sel:DWORD dst_unused:UNUSED_PAD src0_sel:DWORD src1_sel:WORD_1
	v_add_u32_e32 v6, v5, v4
	v_mov_b32_e32 v7, 0
	s_waitcnt lgkmcnt(0)
	v_lshl_add_u64 v[6:7], v[6:7], 1, s[12:13]
	global_store_short v[6:7], v8, off
.LBB172_56:
	s_or_b64 exec, exec, s[8:9]
	v_add3_u32 v1, v1, s15, 56
	v_cmp_gt_u32_e32 vcc, s10, v1
	s_and_b64 exec, exec, vcc
	s_cbranch_execz .LBB172_62
; %bb.57:
	v_mul_lo_u32 v1, v1, s14
	s_and_saveexec_b64 s[8:9], s[0:1]
	s_cbranch_execnz .LBB172_81
; %bb.58:
	s_or_b64 exec, exec, s[8:9]
	s_and_saveexec_b64 s[0:1], s[2:3]
	s_cbranch_execnz .LBB172_82
.LBB172_59:
	s_or_b64 exec, exec, s[0:1]
	s_and_saveexec_b64 s[0:1], s[4:5]
	s_cbranch_execnz .LBB172_83
.LBB172_60:
	s_or_b64 exec, exec, s[0:1]
	s_and_b64 exec, exec, s[6:7]
	s_cbranch_execz .LBB172_62
.LBB172_61:
	v_bfe_u32 v0, v17, 16, 1
	s_movk_i32 s0, 0x7fff
	v_add3_u32 v0, v17, v0, s0
	v_cmp_o_f32_e32 vcc, v17, v17
	v_mov_b32_e32 v2, 0x7fc0
	s_nop 0
	v_cndmask_b32_sdwa v2, v2, v0, vcc dst_sel:DWORD dst_unused:UNUSED_PAD src0_sel:DWORD src1_sel:WORD_1
	v_add_u32_e32 v0, v1, v4
	v_mov_b32_e32 v1, 0
	s_waitcnt lgkmcnt(0)
	v_lshl_add_u64 v[0:1], v[0:1], 1, s[12:13]
	global_store_short v[0:1], v2, off
.LBB172_62:
	s_endpgm
.LBB172_63:
	v_bfe_u32 v6, v77, 16, 1
	s_movk_i32 s11, 0x7fff
	v_add3_u32 v6, v77, v6, s11
	v_cmp_o_f32_e32 vcc, v77, v77
	v_mov_b32_e32 v7, 0x7fc0
	s_nop 0
	v_cndmask_b32_sdwa v8, v7, v6, vcc dst_sel:DWORD dst_unused:UNUSED_PAD src0_sel:DWORD src1_sel:WORD_1
	v_add_u32_e32 v6, v5, v0
	v_mov_b32_e32 v7, 0
	s_waitcnt lgkmcnt(0)
	v_lshl_add_u64 v[6:7], v[6:7], 1, s[12:13]
	global_store_short v[6:7], v8, off
	s_or_b64 exec, exec, s[8:9]
	s_and_saveexec_b64 s[8:9], s[2:3]
	s_cbranch_execz .LBB172_23
.LBB172_64:
	v_bfe_u32 v6, v79, 16, 1
	s_movk_i32 s11, 0x7fff
	v_add3_u32 v6, v79, v6, s11
	v_cmp_o_f32_e32 vcc, v79, v79
	v_mov_b32_e32 v7, 0x7fc0
	s_nop 0
	v_cndmask_b32_sdwa v8, v7, v6, vcc dst_sel:DWORD dst_unused:UNUSED_PAD src0_sel:DWORD src1_sel:WORD_1
	v_add_u32_e32 v6, v5, v2
	v_mov_b32_e32 v7, 0
	s_waitcnt lgkmcnt(0)
	v_lshl_add_u64 v[6:7], v[6:7], 1, s[12:13]
	global_store_short v[6:7], v8, off
	s_or_b64 exec, exec, s[8:9]
	s_and_saveexec_b64 s[8:9], s[4:5]
	s_cbranch_execz .LBB172_24
.LBB172_65:
	v_bfe_u32 v6, v75, 16, 1
	s_movk_i32 s11, 0x7fff
	v_add3_u32 v6, v75, v6, s11
	v_cmp_o_f32_e32 vcc, v75, v75
	v_mov_b32_e32 v7, 0x7fc0
	s_nop 0
	v_cndmask_b32_sdwa v8, v7, v6, vcc dst_sel:DWORD dst_unused:UNUSED_PAD src0_sel:DWORD src1_sel:WORD_1
	v_add_u32_e32 v6, v5, v3
	v_mov_b32_e32 v7, 0
	s_waitcnt lgkmcnt(0)
	v_lshl_add_u64 v[6:7], v[6:7], 1, s[12:13]
	global_store_short v[6:7], v8, off
	s_or_b64 exec, exec, s[8:9]
	s_and_saveexec_b64 s[8:9], s[6:7]
	s_cbranch_execnz .LBB172_25
	s_branch .LBB172_26
.LBB172_66:
	v_bfe_u32 v6, v38, 16, 1
	s_movk_i32 s11, 0x7fff
	v_add3_u32 v6, v38, v6, s11
	v_cmp_o_f32_e32 vcc, v38, v38
	v_mov_b32_e32 v7, 0x7fc0
	s_nop 0
	v_cndmask_b32_sdwa v8, v7, v6, vcc dst_sel:DWORD dst_unused:UNUSED_PAD src0_sel:DWORD src1_sel:WORD_1
	v_add_u32_e32 v6, v5, v0
	v_mov_b32_e32 v7, 0
	s_waitcnt lgkmcnt(0)
	v_lshl_add_u64 v[6:7], v[6:7], 1, s[12:13]
	global_store_short v[6:7], v8, off
	s_or_b64 exec, exec, s[8:9]
	s_and_saveexec_b64 s[8:9], s[2:3]
	s_cbranch_execz .LBB172_29
.LBB172_67:
	v_bfe_u32 v6, v36, 16, 1
	s_movk_i32 s11, 0x7fff
	v_add3_u32 v6, v36, v6, s11
	v_cmp_o_f32_e32 vcc, v36, v36
	v_mov_b32_e32 v7, 0x7fc0
	s_nop 0
	v_cndmask_b32_sdwa v8, v7, v6, vcc dst_sel:DWORD dst_unused:UNUSED_PAD src0_sel:DWORD src1_sel:WORD_1
	v_add_u32_e32 v6, v5, v2
	v_mov_b32_e32 v7, 0
	s_waitcnt lgkmcnt(0)
	v_lshl_add_u64 v[6:7], v[6:7], 1, s[12:13]
	global_store_short v[6:7], v8, off
	s_or_b64 exec, exec, s[8:9]
	s_and_saveexec_b64 s[8:9], s[4:5]
	s_cbranch_execz .LBB172_30
.LBB172_68:
	v_bfe_u32 v6, v34, 16, 1
	s_movk_i32 s11, 0x7fff
	v_add3_u32 v6, v34, v6, s11
	v_cmp_o_f32_e32 vcc, v34, v34
	v_mov_b32_e32 v7, 0x7fc0
	s_nop 0
	v_cndmask_b32_sdwa v8, v7, v6, vcc dst_sel:DWORD dst_unused:UNUSED_PAD src0_sel:DWORD src1_sel:WORD_1
	v_add_u32_e32 v6, v5, v3
	v_mov_b32_e32 v7, 0
	s_waitcnt lgkmcnt(0)
	v_lshl_add_u64 v[6:7], v[6:7], 1, s[12:13]
	global_store_short v[6:7], v8, off
	s_or_b64 exec, exec, s[8:9]
	s_and_saveexec_b64 s[8:9], s[6:7]
	s_cbranch_execnz .LBB172_31
	s_branch .LBB172_32
.LBB172_69:
	v_bfe_u32 v6, v39, 16, 1
	s_movk_i32 s11, 0x7fff
	v_add3_u32 v6, v39, v6, s11
	v_cmp_o_f32_e32 vcc, v39, v39
	v_mov_b32_e32 v7, 0x7fc0
	s_nop 0
	v_cndmask_b32_sdwa v8, v7, v6, vcc dst_sel:DWORD dst_unused:UNUSED_PAD src0_sel:DWORD src1_sel:WORD_1
	v_add_u32_e32 v6, v5, v0
	v_mov_b32_e32 v7, 0
	s_waitcnt lgkmcnt(0)
	v_lshl_add_u64 v[6:7], v[6:7], 1, s[12:13]
	global_store_short v[6:7], v8, off
	s_or_b64 exec, exec, s[8:9]
	s_and_saveexec_b64 s[8:9], s[2:3]
	s_cbranch_execz .LBB172_35
.LBB172_70:
	v_bfe_u32 v6, v37, 16, 1
	s_movk_i32 s11, 0x7fff
	v_add3_u32 v6, v37, v6, s11
	v_cmp_o_f32_e32 vcc, v37, v37
	v_mov_b32_e32 v7, 0x7fc0
	s_nop 0
	v_cndmask_b32_sdwa v8, v7, v6, vcc dst_sel:DWORD dst_unused:UNUSED_PAD src0_sel:DWORD src1_sel:WORD_1
	v_add_u32_e32 v6, v5, v2
	v_mov_b32_e32 v7, 0
	s_waitcnt lgkmcnt(0)
	v_lshl_add_u64 v[6:7], v[6:7], 1, s[12:13]
	global_store_short v[6:7], v8, off
	s_or_b64 exec, exec, s[8:9]
	s_and_saveexec_b64 s[8:9], s[4:5]
	s_cbranch_execz .LBB172_36
.LBB172_71:
	v_bfe_u32 v6, v35, 16, 1
	s_movk_i32 s11, 0x7fff
	v_add3_u32 v6, v35, v6, s11
	v_cmp_o_f32_e32 vcc, v35, v35
	v_mov_b32_e32 v7, 0x7fc0
	s_nop 0
	v_cndmask_b32_sdwa v8, v7, v6, vcc dst_sel:DWORD dst_unused:UNUSED_PAD src0_sel:DWORD src1_sel:WORD_1
	v_add_u32_e32 v6, v5, v3
	v_mov_b32_e32 v7, 0
	s_waitcnt lgkmcnt(0)
	v_lshl_add_u64 v[6:7], v[6:7], 1, s[12:13]
	global_store_short v[6:7], v8, off
	s_or_b64 exec, exec, s[8:9]
	s_and_saveexec_b64 s[8:9], s[6:7]
	s_cbranch_execnz .LBB172_37
	s_branch .LBB172_38
.LBB172_72:
	v_bfe_u32 v6, v30, 16, 1
	s_movk_i32 s11, 0x7fff
	v_add3_u32 v6, v30, v6, s11
	v_cmp_o_f32_e32 vcc, v30, v30
	v_mov_b32_e32 v7, 0x7fc0
	s_nop 0
	v_cndmask_b32_sdwa v8, v7, v6, vcc dst_sel:DWORD dst_unused:UNUSED_PAD src0_sel:DWORD src1_sel:WORD_1
	v_add_u32_e32 v6, v5, v0
	v_mov_b32_e32 v7, 0
	s_waitcnt lgkmcnt(0)
	v_lshl_add_u64 v[6:7], v[6:7], 1, s[12:13]
	global_store_short v[6:7], v8, off
	s_or_b64 exec, exec, s[8:9]
	s_and_saveexec_b64 s[8:9], s[2:3]
	s_cbranch_execz .LBB172_41
.LBB172_73:
	v_bfe_u32 v6, v28, 16, 1
	s_movk_i32 s11, 0x7fff
	v_add3_u32 v6, v28, v6, s11
	v_cmp_o_f32_e32 vcc, v28, v28
	v_mov_b32_e32 v7, 0x7fc0
	s_nop 0
	v_cndmask_b32_sdwa v8, v7, v6, vcc dst_sel:DWORD dst_unused:UNUSED_PAD src0_sel:DWORD src1_sel:WORD_1
	v_add_u32_e32 v6, v5, v2
	v_mov_b32_e32 v7, 0
	s_waitcnt lgkmcnt(0)
	v_lshl_add_u64 v[6:7], v[6:7], 1, s[12:13]
	global_store_short v[6:7], v8, off
	s_or_b64 exec, exec, s[8:9]
	s_and_saveexec_b64 s[8:9], s[4:5]
	s_cbranch_execz .LBB172_42
.LBB172_74:
	v_bfe_u32 v6, v26, 16, 1
	s_movk_i32 s11, 0x7fff
	v_add3_u32 v6, v26, v6, s11
	v_cmp_o_f32_e32 vcc, v26, v26
	v_mov_b32_e32 v7, 0x7fc0
	s_nop 0
	v_cndmask_b32_sdwa v8, v7, v6, vcc dst_sel:DWORD dst_unused:UNUSED_PAD src0_sel:DWORD src1_sel:WORD_1
	v_add_u32_e32 v6, v5, v3
	v_mov_b32_e32 v7, 0
	s_waitcnt lgkmcnt(0)
	v_lshl_add_u64 v[6:7], v[6:7], 1, s[12:13]
	global_store_short v[6:7], v8, off
	s_or_b64 exec, exec, s[8:9]
	s_and_saveexec_b64 s[8:9], s[6:7]
	s_cbranch_execnz .LBB172_43
	s_branch .LBB172_44
.LBB172_75:
	v_bfe_u32 v6, v31, 16, 1
	s_movk_i32 s11, 0x7fff
	v_add3_u32 v6, v31, v6, s11
	v_cmp_o_f32_e32 vcc, v31, v31
	v_mov_b32_e32 v7, 0x7fc0
	s_nop 0
	v_cndmask_b32_sdwa v8, v7, v6, vcc dst_sel:DWORD dst_unused:UNUSED_PAD src0_sel:DWORD src1_sel:WORD_1
	v_add_u32_e32 v6, v5, v0
	v_mov_b32_e32 v7, 0
	s_waitcnt lgkmcnt(0)
	v_lshl_add_u64 v[6:7], v[6:7], 1, s[12:13]
	global_store_short v[6:7], v8, off
	s_or_b64 exec, exec, s[8:9]
	s_and_saveexec_b64 s[8:9], s[2:3]
	s_cbranch_execz .LBB172_47
.LBB172_76:
	v_bfe_u32 v6, v29, 16, 1
	s_movk_i32 s11, 0x7fff
	v_add3_u32 v6, v29, v6, s11
	v_cmp_o_f32_e32 vcc, v29, v29
	v_mov_b32_e32 v7, 0x7fc0
	s_nop 0
	v_cndmask_b32_sdwa v8, v7, v6, vcc dst_sel:DWORD dst_unused:UNUSED_PAD src0_sel:DWORD src1_sel:WORD_1
	v_add_u32_e32 v6, v5, v2
	v_mov_b32_e32 v7, 0
	s_waitcnt lgkmcnt(0)
	v_lshl_add_u64 v[6:7], v[6:7], 1, s[12:13]
	global_store_short v[6:7], v8, off
	s_or_b64 exec, exec, s[8:9]
	s_and_saveexec_b64 s[8:9], s[4:5]
	s_cbranch_execz .LBB172_48
.LBB172_77:
	v_bfe_u32 v6, v27, 16, 1
	s_movk_i32 s11, 0x7fff
	v_add3_u32 v6, v27, v6, s11
	v_cmp_o_f32_e32 vcc, v27, v27
	v_mov_b32_e32 v7, 0x7fc0
	s_nop 0
	v_cndmask_b32_sdwa v8, v7, v6, vcc dst_sel:DWORD dst_unused:UNUSED_PAD src0_sel:DWORD src1_sel:WORD_1
	v_add_u32_e32 v6, v5, v3
	v_mov_b32_e32 v7, 0
	s_waitcnt lgkmcnt(0)
	v_lshl_add_u64 v[6:7], v[6:7], 1, s[12:13]
	global_store_short v[6:7], v8, off
	s_or_b64 exec, exec, s[8:9]
	s_and_saveexec_b64 s[8:9], s[6:7]
	s_cbranch_execnz .LBB172_49
	s_branch .LBB172_50
.LBB172_78:
	v_bfe_u32 v6, v22, 16, 1
	s_movk_i32 s11, 0x7fff
	v_add3_u32 v6, v22, v6, s11
	v_cmp_o_f32_e32 vcc, v22, v22
	v_mov_b32_e32 v7, 0x7fc0
	s_nop 0
	v_cndmask_b32_sdwa v8, v7, v6, vcc dst_sel:DWORD dst_unused:UNUSED_PAD src0_sel:DWORD src1_sel:WORD_1
	v_add_u32_e32 v6, v5, v0
	v_mov_b32_e32 v7, 0
	s_waitcnt lgkmcnt(0)
	v_lshl_add_u64 v[6:7], v[6:7], 1, s[12:13]
	global_store_short v[6:7], v8, off
	s_or_b64 exec, exec, s[8:9]
	s_and_saveexec_b64 s[8:9], s[2:3]
	s_cbranch_execz .LBB172_53
.LBB172_79:
	v_bfe_u32 v6, v20, 16, 1
	s_movk_i32 s11, 0x7fff
	v_add3_u32 v6, v20, v6, s11
	v_cmp_o_f32_e32 vcc, v20, v20
	v_mov_b32_e32 v7, 0x7fc0
	s_nop 0
	v_cndmask_b32_sdwa v8, v7, v6, vcc dst_sel:DWORD dst_unused:UNUSED_PAD src0_sel:DWORD src1_sel:WORD_1
	v_add_u32_e32 v6, v5, v2
	v_mov_b32_e32 v7, 0
	s_waitcnt lgkmcnt(0)
	v_lshl_add_u64 v[6:7], v[6:7], 1, s[12:13]
	global_store_short v[6:7], v8, off
	s_or_b64 exec, exec, s[8:9]
	s_and_saveexec_b64 s[8:9], s[4:5]
	s_cbranch_execz .LBB172_54
.LBB172_80:
	v_bfe_u32 v6, v18, 16, 1
	s_movk_i32 s11, 0x7fff
	v_add3_u32 v6, v18, v6, s11
	v_cmp_o_f32_e32 vcc, v18, v18
	v_mov_b32_e32 v7, 0x7fc0
	s_nop 0
	v_cndmask_b32_sdwa v8, v7, v6, vcc dst_sel:DWORD dst_unused:UNUSED_PAD src0_sel:DWORD src1_sel:WORD_1
	v_add_u32_e32 v6, v5, v3
	v_mov_b32_e32 v7, 0
	s_waitcnt lgkmcnt(0)
	v_lshl_add_u64 v[6:7], v[6:7], 1, s[12:13]
	global_store_short v[6:7], v8, off
	s_or_b64 exec, exec, s[8:9]
	s_and_saveexec_b64 s[8:9], s[6:7]
	s_cbranch_execnz .LBB172_55
	s_branch .LBB172_56
.LBB172_81:
	v_bfe_u32 v5, v23, 16, 1
	s_movk_i32 s0, 0x7fff
	v_add3_u32 v5, v23, v5, s0
	v_cmp_o_f32_e32 vcc, v23, v23
	v_mov_b32_e32 v6, 0x7fc0
	v_mov_b32_e32 v7, 0
	v_cndmask_b32_sdwa v5, v6, v5, vcc dst_sel:DWORD dst_unused:UNUSED_PAD src0_sel:DWORD src1_sel:WORD_1
	v_add_u32_e32 v6, v1, v0
	s_waitcnt lgkmcnt(0)
	v_lshl_add_u64 v[6:7], v[6:7], 1, s[12:13]
	global_store_short v[6:7], v5, off
	s_or_b64 exec, exec, s[8:9]
	s_and_saveexec_b64 s[0:1], s[2:3]
	s_cbranch_execz .LBB172_59
.LBB172_82:
	v_bfe_u32 v0, v21, 16, 1
	s_movk_i32 s2, 0x7fff
	v_add3_u32 v0, v21, v0, s2
	v_cmp_o_f32_e32 vcc, v21, v21
	v_mov_b32_e32 v5, 0x7fc0
	v_add_u32_e32 v6, v1, v2
	v_mov_b32_e32 v7, 0
	v_cndmask_b32_sdwa v0, v5, v0, vcc dst_sel:DWORD dst_unused:UNUSED_PAD src0_sel:DWORD src1_sel:WORD_1
	s_waitcnt lgkmcnt(0)
	v_lshl_add_u64 v[6:7], v[6:7], 1, s[12:13]
	global_store_short v[6:7], v0, off
	s_or_b64 exec, exec, s[0:1]
	s_and_saveexec_b64 s[0:1], s[4:5]
	s_cbranch_execz .LBB172_60
.LBB172_83:
	v_bfe_u32 v0, v19, 16, 1
	s_movk_i32 s2, 0x7fff
	v_add3_u32 v0, v19, v0, s2
	v_cmp_o_f32_e32 vcc, v19, v19
	v_mov_b32_e32 v2, 0x7fc0
	s_nop 0
	v_cndmask_b32_sdwa v0, v2, v0, vcc dst_sel:DWORD dst_unused:UNUSED_PAD src0_sel:DWORD src1_sel:WORD_1
	v_add_u32_e32 v2, v1, v3
	v_mov_b32_e32 v3, 0
	s_waitcnt lgkmcnt(0)
	v_lshl_add_u64 v[2:3], v[2:3], 1, s[12:13]
	global_store_short v[2:3], v0, off
	s_or_b64 exec, exec, s[0:1]
	s_and_b64 exec, exec, s[6:7]
	s_cbranch_execnz .LBB172_61
	s_branch .LBB172_62
	.section	.rodata,"a",@progbits
	.p2align	6, 0x0
	.amdhsa_kernel _ZL12mul_mat_q4_KIN3c108BFloat16ELb1EEvPKvS3_PT_iiiii
		.amdhsa_group_segment_fixed_size 28752
		.amdhsa_private_segment_fixed_size 92
		.amdhsa_kernarg_size 44
		.amdhsa_user_sgpr_count 2
		.amdhsa_user_sgpr_dispatch_ptr 0
		.amdhsa_user_sgpr_queue_ptr 0
		.amdhsa_user_sgpr_kernarg_segment_ptr 1
		.amdhsa_user_sgpr_dispatch_id 0
		.amdhsa_user_sgpr_kernarg_preload_length 0
		.amdhsa_user_sgpr_kernarg_preload_offset 0
		.amdhsa_user_sgpr_private_segment_size 0
		.amdhsa_uses_dynamic_stack 0
		.amdhsa_enable_private_segment 1
		.amdhsa_system_sgpr_workgroup_id_x 1
		.amdhsa_system_sgpr_workgroup_id_y 1
		.amdhsa_system_sgpr_workgroup_id_z 0
		.amdhsa_system_sgpr_workgroup_info 0
		.amdhsa_system_vgpr_workitem_id 1
		.amdhsa_next_free_vgpr 256
		.amdhsa_next_free_sgpr 96
		.amdhsa_accum_offset 256
		.amdhsa_reserve_vcc 1
		.amdhsa_float_round_mode_32 0
		.amdhsa_float_round_mode_16_64 0
		.amdhsa_float_denorm_mode_32 3
		.amdhsa_float_denorm_mode_16_64 3
		.amdhsa_dx10_clamp 1
		.amdhsa_ieee_mode 1
		.amdhsa_fp16_overflow 0
		.amdhsa_tg_split 0
		.amdhsa_exception_fp_ieee_invalid_op 0
		.amdhsa_exception_fp_denorm_src 0
		.amdhsa_exception_fp_ieee_div_zero 0
		.amdhsa_exception_fp_ieee_overflow 0
		.amdhsa_exception_fp_ieee_underflow 0
		.amdhsa_exception_fp_ieee_inexact 0
		.amdhsa_exception_int_div_zero 0
	.end_amdhsa_kernel
	.section	.text._ZL12mul_mat_q4_KIN3c108BFloat16ELb1EEvPKvS3_PT_iiiii,"axG",@progbits,_ZL12mul_mat_q4_KIN3c108BFloat16ELb1EEvPKvS3_PT_iiiii,comdat
.Lfunc_end172:
	.size	_ZL12mul_mat_q4_KIN3c108BFloat16ELb1EEvPKvS3_PT_iiiii, .Lfunc_end172-_ZL12mul_mat_q4_KIN3c108BFloat16ELb1EEvPKvS3_PT_iiiii
                                        ; -- End function
	.set _ZL12mul_mat_q4_KIN3c108BFloat16ELb1EEvPKvS3_PT_iiiii.num_vgpr, 256
	.set _ZL12mul_mat_q4_KIN3c108BFloat16ELb1EEvPKvS3_PT_iiiii.num_agpr, 0
	.set _ZL12mul_mat_q4_KIN3c108BFloat16ELb1EEvPKvS3_PT_iiiii.numbered_sgpr, 20
	.set _ZL12mul_mat_q4_KIN3c108BFloat16ELb1EEvPKvS3_PT_iiiii.num_named_barrier, 0
	.set _ZL12mul_mat_q4_KIN3c108BFloat16ELb1EEvPKvS3_PT_iiiii.private_seg_size, 92
	.set _ZL12mul_mat_q4_KIN3c108BFloat16ELb1EEvPKvS3_PT_iiiii.uses_vcc, 1
	.set _ZL12mul_mat_q4_KIN3c108BFloat16ELb1EEvPKvS3_PT_iiiii.uses_flat_scratch, 0
	.set _ZL12mul_mat_q4_KIN3c108BFloat16ELb1EEvPKvS3_PT_iiiii.has_dyn_sized_stack, 0
	.set _ZL12mul_mat_q4_KIN3c108BFloat16ELb1EEvPKvS3_PT_iiiii.has_recursion, 0
	.set _ZL12mul_mat_q4_KIN3c108BFloat16ELb1EEvPKvS3_PT_iiiii.has_indirect_call, 0
	.section	.AMDGPU.csdata,"",@progbits
; Kernel info:
; codeLenInByte = 18312
; TotalNumSgprs: 26
; NumVgprs: 256
; NumAgprs: 0
; TotalNumVgprs: 256
; ScratchSize: 92
; MemoryBound: 0
; FloatMode: 240
; IeeeMode: 1
; LDSByteSize: 28752 bytes/workgroup (compile time only)
; SGPRBlocks: 12
; VGPRBlocks: 31
; NumSGPRsForWavesPerEU: 102
; NumVGPRsForWavesPerEU: 256
; AccumOffset: 256
; Occupancy: 2
; WaveLimiterHint : 0
; COMPUTE_PGM_RSRC2:SCRATCH_EN: 1
; COMPUTE_PGM_RSRC2:USER_SGPR: 2
; COMPUTE_PGM_RSRC2:TRAP_HANDLER: 0
; COMPUTE_PGM_RSRC2:TGID_X_EN: 1
; COMPUTE_PGM_RSRC2:TGID_Y_EN: 1
; COMPUTE_PGM_RSRC2:TGID_Z_EN: 0
; COMPUTE_PGM_RSRC2:TIDIG_COMP_CNT: 1
; COMPUTE_PGM_RSRC3_GFX90A:ACCUM_OFFSET: 63
; COMPUTE_PGM_RSRC3_GFX90A:TG_SPLIT: 0
	.section	.text._ZL12mul_mat_q5_KIN3c108BFloat16ELb0EEvPKvS3_PT_iiiii,"axG",@progbits,_ZL12mul_mat_q5_KIN3c108BFloat16ELb0EEvPKvS3_PT_iiiii,comdat
	.globl	_ZL12mul_mat_q5_KIN3c108BFloat16ELb0EEvPKvS3_PT_iiiii ; -- Begin function _ZL12mul_mat_q5_KIN3c108BFloat16ELb0EEvPKvS3_PT_iiiii
	.p2align	8
	.type	_ZL12mul_mat_q5_KIN3c108BFloat16ELb0EEvPKvS3_PT_iiiii,@function
_ZL12mul_mat_q5_KIN3c108BFloat16ELb0EEvPKvS3_PT_iiiii: ; @_ZL12mul_mat_q5_KIN3c108BFloat16ELb0EEvPKvS3_PT_iiiii
; %bb.0:
	s_load_dword s7, s[0:1], 0x18
	s_load_dwordx4 s[8:11], s[0:1], 0x20
	s_waitcnt lgkmcnt(0)
	s_lshl_b32 s11, s3, 6
	v_bfe_u32 v55, v0, 10, 10
	s_cmpk_gt_i32 s7, 0xff
	s_cbranch_scc1 .LBB173_2
; %bb.1:
	v_bfe_u32 v1, v0, 10, 10
	v_and_b32_e32 v49, 0x3ff, v0
	v_add_u32_e32 v57, s11, v1
	s_mov_b64 s[4:5], 0
	s_branch .LBB173_3
.LBB173_2:
	s_mov_b64 s[4:5], -1
                                        ; implicit-def: $vgpr1
                                        ; implicit-def: $vgpr49
                                        ; implicit-def: $vgpr57
.LBB173_3:
	s_load_dwordx2 s[12:13], s[0:1], 0x10
	s_lshl_b32 s6, s2, 7
	v_mov_b32_e32 v17, 0
	s_andn2_b64 vcc, exec, s[4:5]
	v_mov_b32_e32 v16, 0
	v_mov_b32_e32 v25, 0
	v_mov_b32_e32 v24, 0
	v_mov_b32_e32 v33, 0
	v_mov_b32_e32 v32, 0
	v_mov_b32_e32 v41, 0
	v_mov_b32_e32 v40, 0
	v_mov_b32_e32 v19, 0
	v_mov_b32_e32 v18, 0
	v_mov_b32_e32 v27, 0
	v_mov_b32_e32 v26, 0
	v_mov_b32_e32 v35, 0
	v_mov_b32_e32 v34, 0
	v_mov_b32_e32 v43, 0
	v_mov_b32_e32 v42, 0
	v_mov_b32_e32 v21, 0
	v_mov_b32_e32 v20, 0
	v_mov_b32_e32 v29, 0
	v_mov_b32_e32 v28, 0
	v_mov_b32_e32 v37, 0
	v_mov_b32_e32 v36, 0
	v_mov_b32_e32 v47, 0
	v_mov_b32_e32 v46, 0
	v_mov_b32_e32 v23, 0
	v_mov_b32_e32 v22, 0
	v_mov_b32_e32 v31, 0
	v_mov_b32_e32 v30, 0
	v_mov_b32_e32 v39, 0
	v_mov_b32_e32 v38, 0
	v_mov_b32_e32 v45, 0
	v_mov_b32_e32 v44, 0
	s_cbranch_vccnz .LBB173_11
; %bb.4:
	s_ashr_i32 s4, s7, 31
	s_load_dwordx4 s[0:3], s[0:1], 0x0
	s_lshr_b32 s4, s4, 24
	s_add_i32 s7, s7, s4
	s_ashr_i32 s5, s9, 31
	s_ashr_i32 s4, s7, 8
	s_lshr_b32 s5, s5, 27
	s_add_i32 s5, s9, s5
	s_mul_i32 s7, s4, s6
	s_ashr_i32 s15, s5, 5
	s_mul_hi_i32 s9, s7, 0xb0
	s_mulk_i32 s7, 0xb0
	v_and_b32_e32 v49, 0x3ff, v0
	v_and_b32_e32 v2, 7, v0
	s_waitcnt lgkmcnt(0)
	s_add_u32 s7, s0, s7
	v_lshlrev_b32_e32 v5, 3, v49
	v_lshlrev_b32_e32 v2, 2, v2
	s_movk_i32 s0, 0xc0
	s_addc_u32 s9, s1, s9
	v_mul_u32_u24_e32 v4, 0x41, v55
	v_and_or_b32 v2, v5, s0, v2
	s_lshl_b32 s0, s4, 3
	v_lshl_add_u32 v63, v4, 2, v2
	v_mov_b32_e32 v2, s0
	v_mad_i32_i24 v54, s4, v55, v2
	v_add_u32_e32 v56, s0, v54
	v_add_u32_e32 v58, s0, v56
	;; [unrolled: 1-line block ×5, first 2 shown]
	v_lshlrev_b32_e32 v65, 5, v55
	v_add_u32_e32 v66, s0, v64
	v_add_u32_e32 v2, v65, v49
	;; [unrolled: 1-line block ×3, first 2 shown]
	v_and_b32_e32 v4, 0x7f, v2
	v_lshrrev_b32_e32 v2, 3, v2
	v_add_u32_e32 v70, s0, v68
	v_mul_i32_i24_e32 v84, s4, v4
	v_and_b32_e32 v2, 12, v2
	v_lshlrev_b32_e32 v4, 2, v4
	s_mov_b32 s16, 0xae40
	v_add_u32_e32 v72, s0, v70
	v_add3_u32 v67, v4, v2, s16
	v_and_b32_e32 v2, 3, v0
	v_add_u32_e32 v74, s0, v72
	v_add_u32_e32 v4, 0xfe, v2
	v_bfe_u32 v1, v0, 2, 8
	v_add_u32_e32 v76, s0, v74
	v_lshlrev_b32_e32 v8, 3, v55
	v_and_b32_e32 v4, 0xff, v4
	v_cmp_gt_u32_e32 vcc, 2, v2
	v_and_b32_e32 v59, 6, v1
	v_add_u32_e32 v78, s0, v76
	v_add_u32_e32 v15, v1, v8
	v_cndmask_b32_e32 v9, v4, v2, vcc
	v_cmp_ne_u32_e32 vcc, 0, v2
	v_add_u16_e32 v1, v1, v8
	v_add_u32_e32 v80, s0, v78
	v_addc_co_u32_e32 v4, vcc, 0, v9, vcc
	v_lshlrev_b32_e32 v71, 1, v9
	v_and_b32_e32 v9, 0x7f, v15
	v_lshlrev_b32_e32 v16, 2, v2
	v_lshrrev_b16_e32 v1, 1, v1
	v_add_u32_e32 v82, s0, v80
	v_mul_i32_i24_e32 v86, s4, v9
	v_lshl_or_b32 v9, v9, 4, v16
	v_and_b32_e32 v1, 60, v1
	s_mov_b32 s0, 0xa200
	v_add3_u32 v73, v9, v1, s0
	v_mov_b32_e32 v1, 0x7f
	v_bitop3_b32 v1, v15, 64, v1 bitop3:0x6c
	v_mul_i32_i24_e32 v88, s4, v1
	v_lshl_or_b32 v8, v1, 4, v16
	v_lshrrev_b32_e32 v1, 1, v1
	v_and_b32_e32 v1, 60, v1
	v_add3_u32 v75, v8, v1, s0
	v_and_b32_e32 v1, 31, v0
	v_mov_b32_e32 v17, 0x8200
	v_lshl_or_b32 v17, v1, 2, v17
	v_and_b32_e32 v1, 63, v15
	v_add_u32_e32 v57, s11, v55
	s_add_i32 s0, s8, -1
	v_or_b32_e32 v15, s11, v1
	v_lshl_or_b32 v1, v1, 4, v16
	v_bfe_u32 v48, v0, 5, 5
	v_cvt_f64_i32_e32 v[8:9], s0
	v_add_u32_e32 v77, 0xaa40, v1
	v_bfe_u32 v79, v0, 3, 7
	v_cvt_f64_u32_e32 v[0:1], v57
	v_min_f64 v[0:1], v[0:1], v[8:9]
	v_cvt_i32_f64_e32 v0, v[0:1]
	v_mul_lo_u32 v81, s15, v0
	v_add_u32_e32 v0, 8, v57
	v_cvt_f64_u32_e32 v[0:1], v0
	v_min_f64 v[0:1], v[0:1], v[8:9]
	v_cvt_i32_f64_e32 v0, v[0:1]
	v_mul_lo_u32 v83, s15, v0
	v_add_u32_e32 v0, 16, v57
	;; [unrolled: 5-line block ×5, first 2 shown]
	v_cvt_f64_u32_e32 v[0:1], v0
	v_lshlrev_b32_e32 v3, 2, v49
	v_min_i32_e32 v15, s0, v15
	v_min_f64 v[0:1], v[0:1], v[8:9]
	v_mad_u64_u32 v[90:91], s[0:1], v15, s15, v[2:3]
	v_cvt_i32_f64_e32 v0, v[0:1]
	v_mul_lo_u32 v91, s15, v0
	v_add_u32_e32 v0, 48, v57
	v_cvt_f64_u32_e32 v[0:1], v0
	v_min_f64 v[0:1], v[0:1], v[8:9]
	v_cvt_i32_f64_e32 v0, v[0:1]
	v_mul_lo_u32 v115, s15, v0
	v_add_u32_e32 v0, 56, v57
	v_cvt_f64_u32_e32 v[0:1], v0
	v_min_f64 v[0:1], v[0:1], v[8:9]
	v_cvt_i32_f64_e32 v0, v[0:1]
	v_lshlrev_b32_e32 v1, 2, v48
	v_add3_u32 v139, v1, v3, s16
	v_add_u32_e32 v1, 32, v49
	v_lshrrev_b32_e32 v141, 3, v1
	v_lshlrev_b32_e32 v8, 2, v1
	v_and_b32_e32 v1, 60, v141
	v_add3_u32 v202, v3, v1, s16
	v_add_u32_e32 v1, 64, v49
	v_lshlrev_b32_e32 v9, 2, v1
	v_lshrrev_b32_e32 v1, 3, v1
	v_add_u32_e32 v5, 8, v55
	v_and_b32_e32 v22, 60, v1
	v_lshlrev_b32_e32 v15, 7, v5
	v_add3_u32 v203, v3, v22, s16
	v_add_u32_e32 v22, 0x60, v49
	v_lshlrev_b32_e32 v205, 5, v5
	s_movk_i32 s0, 0x104
	v_mov_b32_e32 v5, 0x2080
	v_mov_b32_e32 v51, 0
	v_add_u32_e32 v7, 16, v55
	v_add_u32_e32 v10, 24, v55
	;; [unrolled: 1-line block ×6, first 2 shown]
	v_and_b32_e32 v6, 4, v3
	v_cmp_lt_u32_e32 vcc, 1, v2
	v_lshlrev_b32_e32 v23, 2, v22
	v_lshrrev_b32_e32 v22, 3, v22
	v_mad_u32_u24 v213, v49, s0, v5
	v_mov_b32_e32 v5, 0x4100
	v_and_b32_e32 v52, 28, v3
	v_mov_b32_e32 v53, v51
	v_cndmask_b32_e32 v69, 0, v6, vcc
	v_cndmask_b32_e64 v6, 0, 1, vcc
	v_lshlrev_b32_e32 v2, 7, v55
	v_lshlrev_b32_e32 v16, 7, v7
	;; [unrolled: 1-line block ×6, first 2 shown]
	v_mul_lo_u32 v117, s15, v0
	v_lshlrev_b32_e32 v0, 7, v14
	v_and_b32_e32 v24, 60, v22
	v_mad_u32_u24 v214, v49, s0, v5
	v_mov_b32_e32 v5, 0x6180
	v_mov_b32_e32 v44, v51
	;; [unrolled: 1-line block ×3, first 2 shown]
	s_movk_i32 s5, 0xb0
	s_mov_b32 s14, 0
	v_and_b32_e32 v50, 0x7c, v3
	v_or_b32_e32 v61, 1, v59
	v_add3_u32 v204, v3, v24, s16
	v_lshlrev_b32_e32 v206, 5, v7
	v_lshlrev_b32_e32 v207, 5, v10
	;; [unrolled: 1-line block ×6, first 2 shown]
	v_mul_u32_u24_e32 v212, 0x104, v49
	v_mad_u32_u24 v215, v49, s0, v5
	v_lshl_add_u64 v[92:93], s[2:3], 0, v[52:53]
	s_mov_b32 s15, 0x10101010
	v_lshlrev_b32_e32 v94, 2, v4
	v_mov_b32_e32 v95, v51
	v_lshlrev_b32_e32 v96, 2, v6
	v_mov_b32_e32 v97, v51
	s_mov_b32 s16, 0x30303030
	v_add_u32_e32 v216, v17, v2
	v_add_u32_e32 v217, v17, v15
	;; [unrolled: 1-line block ×13, first 2 shown]
	v_lshlrev_b32_e32 v229, 2, v79
	v_lshlrev_b32_e32 v230, 2, v3
	;; [unrolled: 1-line block ×8, first 2 shown]
	v_mov_b64_e32 v[38:39], v[44:45]
	v_mov_b64_e32 v[30:31], v[44:45]
	;; [unrolled: 1-line block ×15, first 2 shown]
.LBB173_5:                              ; =>This Loop Header: Depth=1
                                        ;     Child Loop BB173_6 Depth 2
                                        ;     Child Loop BB173_8 Depth 2
	s_mul_i32 s0, s14, 0xb0
	s_mul_hi_u32 s1, s14, 0xb0
	s_add_u32 s0, s7, s0
	s_addc_u32 s1, s9, s1
	v_mov_b64_e32 v[0:1], s[0:1]
	v_mad_u64_u32 v[2:3], s[0:1], v48, s5, v[0:1]
	v_mul_i32_i24_e32 v4, s4, v55
	v_mad_u64_u32 v[4:5], s[0:1], v4, s5, v[2:3]
	v_lshl_add_u64 v[6:7], v[4:5], 0, v[50:51]
	global_load_dword v98, v[6:7], off offset:48
	v_lshl_add_u64 v[4:5], v[4:5], 0, v[52:53]
	v_mad_u64_u32 v[6:7], s[0:1], v54, s5, v[2:3]
	v_lshl_add_u64 v[8:9], v[6:7], 0, v[50:51]
	v_lshl_add_u64 v[6:7], v[6:7], 0, v[52:53]
	global_load_dword v99, v[4:5], off offset:16
	global_load_dword v100, v[8:9], off offset:48
	global_load_dword v101, v[6:7], off offset:16
	v_mad_u64_u32 v[4:5], s[0:1], v56, s5, v[2:3]
	v_lshl_add_u64 v[6:7], v[4:5], 0, v[50:51]
	v_lshl_add_u64 v[4:5], v[4:5], 0, v[52:53]
	global_load_dword v102, v[6:7], off offset:48
	global_load_dword v103, v[4:5], off offset:16
	v_mad_u64_u32 v[4:5], s[0:1], v58, s5, v[2:3]
	v_lshl_add_u64 v[6:7], v[4:5], 0, v[50:51]
	v_lshl_add_u64 v[4:5], v[4:5], 0, v[52:53]
	global_load_dword v104, v[6:7], off offset:48
	global_load_dword v105, v[4:5], off offset:16
	;; [unrolled: 5-line block ×5, first 2 shown]
	v_mad_u64_u32 v[6:7], s[0:1], v66, s5, v[2:3]
	v_mad_u64_u32 v[8:9], s[0:1], v68, s5, v[2:3]
	v_lshl_add_u64 v[4:5], v[6:7], 0, v[50:51]
	v_lshl_add_u64 v[6:7], v[6:7], 0, v[52:53]
	;; [unrolled: 1-line block ×4, first 2 shown]
	global_load_dword v113, v[4:5], off offset:48
	s_nop 0
	global_load_dword v6, v[6:7], off offset:16
	s_nop 0
	;; [unrolled: 2-line block ×3, first 2 shown]
	global_load_dword v13, v[8:9], off offset:16
	v_mad_u64_u32 v[10:11], s[0:1], v70, s5, v[2:3]
	v_add_u32_e32 v108, 0x800, v63
	v_lshl_add_u64 v[14:15], v[10:11], 0, v[50:51]
	s_lshl_b32 s17, s14, 3
	v_add_u32_e32 v149, s17, v90
	s_mov_b32 s19, 0
	s_waitcnt vmcnt(17)
	v_lshrrev_b32_e32 v5, 4, v98
	v_and_b32_e32 v4, 0xf0f0f0f, v98
	v_and_b32_e32 v5, 0xf0f0f0f, v5
	s_waitcnt vmcnt(16)
	v_ashrrev_i32_e32 v7, v59, v99
	v_ashrrev_i32_e32 v8, v61, v99
	s_waitcnt vmcnt(15)
	v_and_b32_e32 v9, 0xf0f0f0f, v100
	v_lshrrev_b32_e32 v98, 4, v100
	s_waitcnt vmcnt(14)
	v_ashrrev_i32_e32 v99, v59, v101
	v_ashrrev_i32_e32 v100, v61, v101
	v_lshlrev_b32_e32 v7, 4, v7
	v_lshlrev_b32_e32 v8, 4, v8
	v_and_b32_e32 v98, 0xf0f0f0f, v98
	v_lshlrev_b32_e32 v99, 4, v99
	v_lshlrev_b32_e32 v100, 4, v100
	v_and_or_b32 v4, v7, s15, v4
	v_and_or_b32 v5, v8, s15, v5
	;; [unrolled: 1-line block ×4, first 2 shown]
	ds_write2_b32 v63, v4, v5 offset1:8
	ds_write2_b32 v108, v7, v8 offset0:8 offset1:16
	v_lshl_add_u64 v[4:5], v[10:11], 0, v[52:53]
	global_load_dword v14, v[14:15], off offset:48
	s_nop 0
	global_load_dword v15, v[4:5], off offset:16
	s_waitcnt vmcnt(15)
	v_and_b32_e32 v101, 0xf0f0f0f, v102
	v_lshrrev_b32_e32 v102, 4, v102
	s_waitcnt vmcnt(14)
	v_ashrrev_i32_e32 v114, v59, v103
	v_ashrrev_i32_e32 v103, v61, v103
	v_and_b32_e32 v102, 0xf0f0f0f, v102
	v_lshlrev_b32_e32 v114, 4, v114
	v_lshlrev_b32_e32 v4, 4, v103
	v_and_or_b32 v5, v114, s15, v101
	v_and_or_b32 v4, v4, s15, v102
	v_add_u32_e32 v7, 0x1000, v63
	ds_write2_b32 v7, v5, v4 offset0:16 offset1:24
	s_waitcnt vmcnt(13)
	v_lshrrev_b32_e32 v5, 4, v104
	s_waitcnt vmcnt(12)
	v_ashrrev_i32_e32 v7, v59, v105
	v_ashrrev_i32_e32 v8, v61, v105
	v_and_b32_e32 v4, 0xf0f0f0f, v104
	v_and_b32_e32 v5, 0xf0f0f0f, v5
	v_lshlrev_b32_e32 v7, 4, v7
	v_lshlrev_b32_e32 v8, 4, v8
	v_and_or_b32 v4, v7, s15, v4
	v_and_or_b32 v5, v8, s15, v5
	v_add_u32_e32 v7, 0x1800, v63
	ds_write2_b32 v7, v4, v5 offset0:24 offset1:32
	s_waitcnt vmcnt(11)
	v_lshrrev_b32_e32 v5, 4, v106
	s_waitcnt vmcnt(10)
	v_ashrrev_i32_e32 v7, v59, v107
	v_ashrrev_i32_e32 v8, v61, v107
	v_and_b32_e32 v4, 0xf0f0f0f, v106
	;; [unrolled: 13-line block ×5, first 2 shown]
	v_and_b32_e32 v5, 0xf0f0f0f, v5
	v_lshlrev_b32_e32 v7, 4, v7
	v_lshlrev_b32_e32 v6, 4, v6
	v_and_or_b32 v4, v7, s15, v4
	v_and_or_b32 v5, v6, s15, v5
	v_add_u32_e32 v6, 0x3800, v63
	ds_write2_b32 v6, v4, v5 offset0:56 offset1:64
	v_mad_u64_u32 v[4:5], s[0:1], v72, s5, v[2:3]
	v_lshl_add_u64 v[6:7], v[4:5], 0, v[50:51]
	v_mad_u64_u32 v[8:9], s[0:1], v74, s5, v[2:3]
	v_lshl_add_u64 v[4:5], v[4:5], 0, v[52:53]
	v_lshl_add_u64 v[10:11], v[8:9], 0, v[50:51]
	;; [unrolled: 1-line block ×3, first 2 shown]
	global_load_dword v100, v[6:7], off offset:48
	global_load_dword v101, v[4:5], off offset:16
	;; [unrolled: 1-line block ×4, first 2 shown]
	s_waitcnt vmcnt(7)
	v_lshrrev_b32_e32 v5, 4, v12
	s_waitcnt vmcnt(6)
	v_ashrrev_i32_e32 v6, v59, v13
	v_ashrrev_i32_e32 v7, v61, v13
	v_and_b32_e32 v4, 0xf0f0f0f, v12
	v_and_b32_e32 v5, 0xf0f0f0f, v5
	v_lshlrev_b32_e32 v6, 4, v6
	v_lshlrev_b32_e32 v7, 4, v7
	v_and_or_b32 v4, v6, s15, v4
	v_and_or_b32 v5, v7, s15, v5
	v_add_u32_e32 v6, 0x4000, v63
	ds_write2_b32 v6, v4, v5 offset0:64 offset1:72
	s_waitcnt vmcnt(5)
	v_lshrrev_b32_e32 v5, 4, v14
	s_waitcnt vmcnt(4)
	v_ashrrev_i32_e32 v6, v59, v15
	v_ashrrev_i32_e32 v7, v61, v15
	v_and_b32_e32 v4, 0xf0f0f0f, v14
	v_and_b32_e32 v5, 0xf0f0f0f, v5
	v_lshlrev_b32_e32 v6, 4, v6
	v_lshlrev_b32_e32 v7, 4, v7
	v_and_or_b32 v4, v6, s15, v4
	v_and_or_b32 v5, v7, s15, v5
	v_add_u32_e32 v6, 0x4800, v63
	ds_write2_b32 v6, v4, v5 offset0:72 offset1:80
	v_mad_u64_u32 v[4:5], s[0:1], v76, s5, v[2:3]
	v_mad_u64_u32 v[8:9], s[0:1], v78, s5, v[2:3]
	;; [unrolled: 1-line block ×4, first 2 shown]
	v_lshl_add_u64 v[6:7], v[4:5], 0, v[50:51]
	v_lshl_add_u64 v[98:99], v[2:3], 0, v[50:51]
	;; [unrolled: 1-line block ×8, first 2 shown]
	global_load_dword v104, v[6:7], off offset:48
	global_load_dword v105, v[4:5], off offset:16
	;; [unrolled: 1-line block ×6, first 2 shown]
	s_nop 0
	global_load_dword v98, v[98:99], off offset:48
	s_nop 0
	global_load_dword v99, v[2:3], off offset:16
	v_mad_u64_u32 v[2:3], s[0:1], v84, s5, v[0:1]
	v_mad_u64_u32 v[4:5], s[0:1], v86, s5, v[0:1]
	;; [unrolled: 1-line block ×3, first 2 shown]
	v_lshl_add_u64 v[6:7], v[4:5], 0, v[94:95]
	v_lshl_add_u64 v[4:5], v[4:5], 0, v[96:97]
	;; [unrolled: 1-line block ×4, first 2 shown]
	global_load_dword v110, v[2:3], off
	global_load_dword v111, v[6:7], off offset:4
	global_load_dword v112, v[4:5], off offset:4
	;; [unrolled: 1-line block ×4, first 2 shown]
	v_add_u32_e32 v14, s17, v79
	v_add_u32_e32 v0, v14, v81
	;; [unrolled: 1-line block ×6, first 2 shown]
	v_mad_i64_i32 v[0:1], s[0:1], v0, 36, v[92:93]
	v_mad_i64_i32 v[2:3], s[0:1], v2, 36, v[92:93]
	;; [unrolled: 1-line block ×5, first 2 shown]
	v_add_u32_e32 v10, v14, v91
	v_add_u32_e32 v12, v14, v115
	;; [unrolled: 1-line block ×3, first 2 shown]
	v_mad_i64_i32 v[10:11], s[0:1], v10, 36, v[92:93]
	v_mad_i64_i32 v[12:13], s[0:1], v12, 36, v[92:93]
	;; [unrolled: 1-line block ×3, first 2 shown]
	global_load_dword v116, v[0:1], off offset:4
	s_nop 0
	global_load_dword v2, v[2:3], off offset:4
	s_nop 0
	;; [unrolled: 2-line block ×3, first 2 shown]
	global_load_dword v4, v[6:7], off offset:4
	global_load_dword v5, v[8:9], off offset:4
	s_nop 0
	global_load_dword v6, v[10:11], off offset:4
	global_load_dword v7, v[12:13], off offset:4
	;; [unrolled: 1-line block ×3, first 2 shown]
	v_mad_u64_u32 v[0:1], s[0:1], v149, 36, s[2:3]
	global_load_dword v0, v[0:1], off
	s_waitcnt vmcnt(25)
	v_lshrrev_b32_e32 v9, 4, v100
	s_waitcnt vmcnt(24)
	v_ashrrev_i32_e32 v10, v59, v101
	v_ashrrev_i32_e32 v11, v61, v101
	v_and_b32_e32 v1, 0xf0f0f0f, v100
	v_and_b32_e32 v9, 0xf0f0f0f, v9
	v_lshlrev_b32_e32 v10, 4, v10
	v_lshlrev_b32_e32 v11, 4, v11
	v_and_or_b32 v1, v10, s15, v1
	v_and_or_b32 v9, v11, s15, v9
	v_add_u32_e32 v10, 0x5000, v63
	ds_write2_b32 v10, v1, v9 offset0:80 offset1:88
	s_waitcnt vmcnt(23)
	v_lshrrev_b32_e32 v9, 4, v102
	s_waitcnt vmcnt(22)
	v_ashrrev_i32_e32 v10, v59, v103
	v_ashrrev_i32_e32 v11, v61, v103
	v_and_b32_e32 v1, 0xf0f0f0f, v102
	v_and_b32_e32 v9, 0xf0f0f0f, v9
	v_lshlrev_b32_e32 v10, 4, v10
	v_lshlrev_b32_e32 v11, 4, v11
	v_and_or_b32 v1, v10, s15, v1
	v_and_or_b32 v9, v11, s15, v9
	ds_write2_b32 v224, v1, v9 offset0:88 offset1:96
	s_mov_b64 s[0:1], -1
	s_waitcnt vmcnt(21)
	v_lshrrev_b32_e32 v9, 4, v104
	s_waitcnt vmcnt(20)
	v_ashrrev_i32_e32 v10, v59, v105
	v_ashrrev_i32_e32 v11, v61, v105
	v_and_b32_e32 v1, 0xf0f0f0f, v104
	v_and_b32_e32 v9, 0xf0f0f0f, v9
	v_lshlrev_b32_e32 v10, 4, v10
	v_lshlrev_b32_e32 v11, 4, v11
	v_and_or_b32 v1, v10, s15, v1
	v_and_or_b32 v9, v11, s15, v9
	ds_write2_b32 v225, v1, v9 offset0:96 offset1:104
	s_waitcnt vmcnt(19)
	v_lshrrev_b32_e32 v9, 4, v106
	s_waitcnt vmcnt(18)
	v_ashrrev_i32_e32 v10, v59, v107
	v_ashrrev_i32_e32 v11, v61, v107
	v_and_b32_e32 v1, 0xf0f0f0f, v106
	v_and_b32_e32 v9, 0xf0f0f0f, v9
	v_lshlrev_b32_e32 v10, 4, v10
	v_lshlrev_b32_e32 v11, 4, v11
	v_and_or_b32 v1, v10, s15, v1
	v_and_or_b32 v9, v11, s15, v9
	ds_write2_b32 v226, v1, v9 offset0:104 offset1:112
	;; [unrolled: 12-line block ×4, first 2 shown]
	s_waitcnt vmcnt(13)
	ds_write_b32 v67, v110
	s_waitcnt vmcnt(12)
	v_ashrrev_i32_e32 v1, v69, v111
	v_and_b32_e32 v1, 0xf0f0f0f, v1
	s_waitcnt vmcnt(11)
	v_ashrrev_i32_e32 v9, v71, v112
	v_and_or_b32 v1, v9, s16, v1
	ds_write_b32 v73, v1
	s_waitcnt vmcnt(10)
	v_ashrrev_i32_e32 v1, v69, v113
	v_and_b32_e32 v1, 0xf0f0f0f, v1
	s_waitcnt vmcnt(9)
	v_ashrrev_i32_e32 v9, v71, v114
	v_and_or_b32 v1, v9, s16, v1
	ds_write_b32 v75, v1
	s_waitcnt vmcnt(8)
	ds_write_b32 v216, v116
	s_waitcnt vmcnt(7)
	;; [unrolled: 2-line block ×9, first 2 shown]
	ds_write_b32 v77, v0
	s_waitcnt lgkmcnt(0)
	s_barrier
	ds_read_b32 v0, v139
	ds_read_b32 v1, v202 offset:128
	ds_read_b32 v2, v203 offset:256
	;; [unrolled: 1-line block ×3, first 2 shown]
	s_waitcnt lgkmcnt(3)
	v_cvt_f32_f16_e32 v98, v0
	v_cvt_f32_f16_sdwa v100, v0 dst_sel:DWORD dst_unused:UNUSED_PAD src0_sel:WORD_1
	s_waitcnt lgkmcnt(2)
	v_cvt_f32_f16_e32 v102, v1
	v_cvt_f32_f16_sdwa v104, v1 dst_sel:DWORD dst_unused:UNUSED_PAD src0_sel:WORD_1
	;; [unrolled: 3-line block ×4, first 2 shown]
	v_mov_b32_e32 v99, v98
	v_mov_b32_e32 v101, v100
	;; [unrolled: 1-line block ×8, first 2 shown]
.LBB173_6:                              ;   Parent Loop BB173_5 Depth=1
                                        ; =>  This Inner Loop Header: Depth=2
	s_lshr_b32 s20, s19, 2
	s_lshl_b32 s18, s19, 1
	s_add_i32 s20, s20, 0xa200
	v_or_b32_e32 v0, s18, v65
	s_lshl_b32 s19, s19, 3
	v_lshlrev_b32_e32 v1, 2, v0
	v_add3_u32 v114, s20, v229, v230
	v_add_u32_e32 v116, s19, v212
	v_lshrrev_b32_e32 v194, 1, v0
	ds_read_b128 v[12:15], v1 offset:33280
	ds_read_b128 v[8:11], v1 offset:33296
	;; [unrolled: 1-line block ×4, first 2 shown]
	ds_read2_b32 v[178:179], v116 offset1:1
	ds_read2_b32 v[180:181], v116 offset0:2 offset1:3
	ds_read2_b32 v[182:183], v116 offset0:4 offset1:5
	ds_read2_b32 v[184:185], v116 offset0:6 offset1:7
	ds_read_u16 v118, v114
	ds_read_u16 v114, v114 offset:8
	ds_read2_b32 v[186:187], v116 offset0:8 offset1:9
	ds_read2_b32 v[188:189], v116 offset0:10 offset1:11
	;; [unrolled: 1-line block ×4, first 2 shown]
	s_waitcnt lgkmcnt(4)
	v_cvt_f32_ubyte0_e32 v170, v114
	v_cvt_f32_ubyte1_e32 v176, v114
	v_add3_u32 v114, s20, v231, v232
	v_add_u32_e32 v116, s19, v213
	v_and_b32_e32 v240, 0xff, v118
	v_lshrrev_b16_e32 v241, 8, v118
	ds_read2_b32 v[134:135], v116 offset1:1
	ds_read2_b32 v[142:143], v116 offset0:2 offset1:3
	ds_read2_b32 v[144:145], v116 offset0:4 offset1:5
	;; [unrolled: 1-line block ×3, first 2 shown]
	ds_read_u16 v118, v114
	ds_read_u16 v114, v114 offset:8
	ds_read2_b32 v[152:153], v116 offset0:8 offset1:9
	ds_read2_b32 v[160:161], v116 offset0:10 offset1:11
	;; [unrolled: 1-line block ×4, first 2 shown]
	s_waitcnt lgkmcnt(4)
	v_cvt_f32_ubyte0_e32 v138, v114
	v_cvt_f32_ubyte1_e32 v148, v114
	v_add3_u32 v114, s20, v233, v234
	v_add_u32_e32 v116, s19, v214
	v_and_b32_e32 v177, 0xff, v118
	v_lshrrev_b16_e32 v238, 8, v118
	ds_read2_b32 v[136:137], v116 offset1:1
	ds_read2_b32 v[150:151], v116 offset0:2 offset1:3
	ds_read2_b32 v[154:155], v116 offset0:4 offset1:5
	;; [unrolled: 1-line block ×3, first 2 shown]
	ds_read_u16 v118, v114
	ds_read_u16 v114, v114 offset:8
	v_mov_b32_e32 v248, 0
	v_mov_b32_e32 v244, 0
	;; [unrolled: 1-line block ×3, first 2 shown]
	s_waitcnt lgkmcnt(1)
	v_and_b32_e32 v237, 0xff, v118
	v_lshrrev_b16_e32 v239, 8, v118
	v_add_u32_e32 v118, s19, v215
	ds_read2_b32 v[126:127], v118 offset1:1
	ds_read2_b32 v[128:129], v118 offset0:2 offset1:3
	ds_read2_b32 v[130:131], v118 offset0:4 offset1:5
	;; [unrolled: 1-line block ×3, first 2 shown]
	v_mov_b32_e32 v242, 0
	v_dot4c_i32_i8_e32 v248, v178, v12
	v_dot4c_i32_i8_e32 v244, v134, v12
	;; [unrolled: 1-line block ×3, first 2 shown]
	s_waitcnt lgkmcnt(3)
	v_dot4c_i32_i8_e32 v242, v126, v12
	v_dot4c_i32_i8_e32 v248, v179, v13
	;; [unrolled: 1-line block ×8, first 2 shown]
	s_waitcnt lgkmcnt(2)
	v_dot4c_i32_i8_e32 v242, v128, v14
	v_dot4c_i32_i8_e32 v248, v181, v15
	;; [unrolled: 1-line block ×8, first 2 shown]
	v_cvt_f32_ubyte0_e32 v140, v114
	v_cvt_f32_ubyte1_e32 v158, v114
	v_add3_u32 v114, s20, v235, v236
	s_waitcnt lgkmcnt(1)
	v_dot4c_i32_i8_e32 v242, v130, v8
	v_dot4c_i32_i8_e32 v248, v183, v9
	;; [unrolled: 1-line block ×4, first 2 shown]
	ds_read2_b32 v[166:167], v116 offset0:8 offset1:9
	ds_read2_b32 v[168:169], v116 offset0:10 offset1:11
	;; [unrolled: 1-line block ×4, first 2 shown]
	v_dot4c_i32_i8_e32 v242, v131, v9
	ds_read_u16 v8, v114
	ds_read_u16 v9, v114 offset:8
	ds_read2_b32 v[124:125], v118 offset0:8 offset1:9
	ds_read2_b32 v[122:123], v118 offset0:10 offset1:11
	;; [unrolled: 1-line block ×3, first 2 shown]
	v_mov_b32_e32 v249, 0
	v_mov_b32_e32 v247, 0
	;; [unrolled: 1-line block ×4, first 2 shown]
	v_dot4c_i32_i8_e32 v249, v186, v4
	v_dot4c_i32_i8_e32 v247, v152, v4
	s_waitcnt lgkmcnt(8)
	v_dot4c_i32_i8_e32 v246, v166, v4
	s_waitcnt lgkmcnt(2)
	v_dot4c_i32_i8_e32 v245, v124, v4
	v_dot4c_i32_i8_e32 v249, v187, v5
	v_dot4c_i32_i8_e32 v247, v153, v5
	v_dot4c_i32_i8_e32 v246, v167, v5
	v_dot4c_i32_i8_e32 v245, v125, v5
	ds_read2_b32 v[118:119], v118 offset0:14 offset1:15
	v_dot4c_i32_i8_e32 v249, v188, v6
	v_dot4c_i32_i8_e32 v247, v160, v6
	;; [unrolled: 1-line block ×3, first 2 shown]
	s_waitcnt lgkmcnt(2)
	v_dot4c_i32_i8_e32 v245, v122, v6
	v_dot4c_i32_i8_e32 v249, v189, v7
	;; [unrolled: 1-line block ×8, first 2 shown]
	s_waitcnt lgkmcnt(1)
	v_dot4c_i32_i8_e32 v245, v120, v0
	v_dot4c_i32_i8_e32 v249, v191, v1
	;; [unrolled: 1-line block ×5, first 2 shown]
	v_or_b32_e32 v0, s18, v205
	v_dot4c_i32_i8_e32 v248, v184, v10
	v_dot4c_i32_i8_e32 v249, v192, v2
	;; [unrolled: 1-line block ×7, first 2 shown]
	s_waitcnt lgkmcnt(0)
	v_dot4c_i32_i8_e32 v245, v118, v2
	v_lshlrev_b32_e32 v1, 2, v0
	v_dot4c_i32_i8_e32 v248, v185, v11
	v_dot4c_i32_i8_e32 v249, v193, v3
	;; [unrolled: 1-line block ×7, first 2 shown]
	v_and_b32_e32 v171, 0xff, v8
	v_cvt_f32_ubyte0_e32 v116, v9
	v_dot4c_i32_i8_e32 v245, v119, v3
	v_lshrrev_b16_e32 v159, 8, v8
	v_cvt_f32_ubyte1_e32 v114, v9
	v_lshrrev_b32_e32 v195, 1, v0
	ds_read_b128 v[12:15], v1 offset:33280
	ds_read_b128 v[8:11], v1 offset:33296
	;; [unrolled: 1-line block ×4, first 2 shown]
	v_mov_b32_e32 v252, 0
	s_waitcnt lgkmcnt(3)
	v_dot4c_i32_i8_e32 v252, v178, v12
	v_mov_b32_e32 v254, 0
	v_dot4c_i32_i8_e32 v252, v179, v13
	s_waitcnt lgkmcnt(1)
	v_dot4c_i32_i8_e32 v254, v186, v4
	v_dot4c_i32_i8_e32 v252, v180, v14
	;; [unrolled: 1-line block ×7, first 2 shown]
	ds_read_b64 v[250:251], v194 offset:43584
	ds_read_b64 v[196:197], v195 offset:43584
	v_dot4c_i32_i8_e32 v252, v183, v9
	s_waitcnt lgkmcnt(2)
	v_dot4c_i32_i8_e32 v254, v190, v0
	v_dot4c_i32_i8_e32 v252, v184, v10
	v_dot4c_i32_i8_e32 v254, v191, v1
	v_dot4c_i32_i8_e32 v252, v185, v11
	v_dot4c_i32_i8_e32 v254, v192, v2
	v_dot4c_i32_i8_e32 v254, v193, v3
	s_waitcnt lgkmcnt(1)
	v_cvt_f32_f16_e32 v198, v250
	v_cvt_f32_f16_sdwa v200, v250 dst_sel:DWORD dst_unused:UNUSED_PAD src0_sel:WORD_1
	v_mul_lo_u32 v248, v248, v240
	v_mul_lo_u32 v250, v252, v240
	s_waitcnt lgkmcnt(0)
	v_cvt_f32_f16_e32 v199, v196
	v_cvt_f32_f16_sdwa v201, v196 dst_sel:DWORD dst_unused:UNUSED_PAD src0_sel:WORD_1
	v_cvt_f32_f16_e32 v194, v251
	v_cvt_f32_f16_sdwa v196, v251 dst_sel:DWORD dst_unused:UNUSED_PAD src0_sel:WORD_1
	v_cvt_f32_i32_e32 v251, v250
	v_cvt_f32_i32_e32 v250, v248
	v_mul_lo_u32 v248, v249, v241
	v_mul_lo_u32 v249, v254, v241
	v_cvt_f32_f16_e32 v195, v197
	v_cvt_f32_f16_sdwa v197, v197 dst_sel:DWORD dst_unused:UNUSED_PAD src0_sel:WORD_1
	v_cvt_f32_i32_e32 v249, v249
	v_cvt_f32_i32_e32 v248, v248
	v_pk_fma_f32 v[250:251], v[198:199], v[250:251], 0 op_sel_hi:[1,1,0]
	v_pk_fma_f32 v[252:253], v[170:171], v[200:201], 0 op_sel_hi:[0,1,0]
	v_mul_lo_u32 v244, v244, v177
	v_pk_fma_f32 v[248:249], v[194:195], v[248:249], v[250:251]
	v_pk_fma_f32 v[250:251], v[176:177], v[196:197], v[252:253] op_sel_hi:[0,1,1]
	v_pk_mul_f32 v[250:251], v[250:251], v[100:101]
	v_mov_b32_e32 v252, 0
	v_pk_fma_f32 v[248:249], v[248:249], v[98:99], v[250:251] neg_lo:[0,0,1] neg_hi:[0,0,1]
	v_dot4c_i32_i8_e32 v252, v152, v4
	v_pk_add_f32 v[44:45], v[44:45], v[248:249]
	v_mov_b32_e32 v248, 0
	v_dot4c_i32_i8_e32 v248, v134, v12
	v_dot4c_i32_i8_e32 v248, v135, v13
	;; [unrolled: 1-line block ×15, first 2 shown]
	v_pk_fma_f32 v[250:251], v[138:139], v[200:201], 0 op_sel_hi:[0,1,0]
	v_mul_lo_u32 v248, v248, v177
	v_cvt_f32_i32_e32 v249, v248
	v_cvt_f32_i32_e32 v248, v244
	v_mul_lo_u32 v244, v247, v238
	v_mul_lo_u32 v247, v252, v238
	v_cvt_f32_i32_e32 v253, v247
	v_cvt_f32_i32_e32 v252, v244
	v_pk_fma_f32 v[248:249], v[198:199], v[248:249], 0 op_sel_hi:[1,1,0]
	v_pk_fma_f32 v[250:251], v[148:149], v[196:197], v[250:251] op_sel_hi:[0,1,1]
	v_pk_mul_f32 v[250:251], v[250:251], v[104:105]
	v_pk_fma_f32 v[248:249], v[194:195], v[252:253], v[248:249]
	v_mul_lo_u32 v243, v243, v237
	v_pk_fma_f32 v[248:249], v[248:249], v[102:103], v[250:251] neg_lo:[0,0,1] neg_hi:[0,0,1]
	v_mov_b32_e32 v244, 0
	v_pk_add_f32 v[46:47], v[46:47], v[248:249]
	v_cvt_f32_i32_e32 v248, v243
	v_mul_lo_u32 v243, v246, v239
	v_cvt_f32_i32_e32 v246, v243
	v_mov_b32_e32 v243, 0
	v_dot4c_i32_i8_e32 v244, v136, v12
	v_dot4c_i32_i8_e32 v243, v126, v12
	v_dot4c_i32_i8_e32 v244, v137, v13
	v_dot4c_i32_i8_e32 v243, v127, v13
	v_dot4c_i32_i8_e32 v244, v150, v14
	v_dot4c_i32_i8_e32 v243, v128, v14
	v_dot4c_i32_i8_e32 v244, v151, v15
	v_dot4c_i32_i8_e32 v243, v129, v15
	v_dot4c_i32_i8_e32 v244, v154, v8
	v_dot4c_i32_i8_e32 v243, v130, v8
	v_mov_b32_e32 v8, 0
	v_dot4c_i32_i8_e32 v8, v124, v4
	v_mov_b32_e32 v247, 0
	v_dot4c_i32_i8_e32 v8, v125, v5
	v_dot4c_i32_i8_e32 v247, v166, v4
	;; [unrolled: 1-line block ×16, first 2 shown]
	v_mul_lo_u32 v0, v242, v171
	v_mul_lo_u32 v1, v243, v171
	v_dot4c_i32_i8_e32 v244, v155, v9
	v_cvt_f32_i32_e32 v1, v1
	v_cvt_f32_i32_e32 v0, v0
	v_mul_lo_u32 v4, v245, v159
	v_mul_lo_u32 v5, v8, v159
	v_dot4c_i32_i8_e32 v244, v156, v10
	v_cvt_f32_i32_e32 v5, v5
	v_cvt_f32_i32_e32 v4, v4
	v_dot4c_i32_i8_e32 v244, v157, v11
	v_dot4c_i32_i8_e32 v247, v174, v2
	v_dot4c_i32_i8_e32 v247, v175, v3
	v_pk_fma_f32 v[2:3], v[116:117], v[200:201], 0 op_sel_hi:[0,1,0]
	v_mul_lo_u32 v244, v244, v237
	v_cvt_f32_i32_e32 v249, v244
	v_mul_lo_u32 v244, v247, v239
	v_pk_fma_f32 v[0:1], v[198:199], v[0:1], 0 op_sel_hi:[1,1,0]
	v_pk_fma_f32 v[2:3], v[114:115], v[196:197], v[2:3] op_sel_hi:[0,1,1]
	v_cvt_f32_i32_e32 v247, v244
	v_pk_fma_f32 v[0:1], v[194:195], v[4:5], v[0:1]
	v_pk_mul_f32 v[2:3], v[2:3], v[112:113]
	v_pk_fma_f32 v[248:249], v[198:199], v[248:249], 0 op_sel_hi:[1,1,0]
	v_pk_fma_f32 v[0:1], v[0:1], v[110:111], v[2:3] neg_lo:[0,0,1] neg_hi:[0,0,1]
	v_pk_fma_f32 v[250:251], v[140:141], v[200:201], 0 op_sel_hi:[0,1,0]
	v_pk_add_f32 v[40:41], v[40:41], v[0:1]
	v_or_b32_e32 v0, s18, v206
	v_lshlrev_b32_e32 v1, 2, v0
	v_pk_fma_f32 v[246:247], v[194:195], v[246:247], v[248:249]
	v_pk_fma_f32 v[248:249], v[158:159], v[196:197], v[250:251] op_sel_hi:[0,1,1]
	v_lshrrev_b32_e32 v194, 1, v0
	ds_read_b128 v[12:15], v1 offset:33280
	ds_read_b128 v[8:11], v1 offset:33296
	;; [unrolled: 1-line block ×4, first 2 shown]
	v_pk_mul_f32 v[248:249], v[248:249], v[108:109]
	v_mov_b32_e32 v250, 0
	v_pk_fma_f32 v[246:247], v[246:247], v[106:107], v[248:249] neg_lo:[0,0,1] neg_hi:[0,0,1]
	v_mov_b32_e32 v252, 0
	v_pk_add_f32 v[42:43], v[42:43], v[246:247]
	v_mov_b32_e32 v246, 0
	v_mov_b32_e32 v247, 0
	;; [unrolled: 1-line block ×6, first 2 shown]
	s_waitcnt lgkmcnt(3)
	v_dot4c_i32_i8_e32 v250, v178, v12
	s_waitcnt lgkmcnt(1)
	v_dot4c_i32_i8_e32 v252, v186, v4
	v_dot4c_i32_i8_e32 v246, v134, v12
	;; [unrolled: 1-line block ×32, first 2 shown]
	s_waitcnt lgkmcnt(0)
	v_dot4c_i32_i8_e32 v252, v190, v0
	v_dot4c_i32_i8_e32 v246, v144, v8
	;; [unrolled: 1-line block ×15, first 2 shown]
	v_or_b32_e32 v0, s18, v207
	v_dot4c_i32_i8_e32 v250, v184, v10
	v_dot4c_i32_i8_e32 v252, v192, v2
	;; [unrolled: 1-line block ×8, first 2 shown]
	v_lshlrev_b32_e32 v1, 2, v0
	v_dot4c_i32_i8_e32 v250, v185, v11
	v_dot4c_i32_i8_e32 v252, v193, v3
	;; [unrolled: 1-line block ×8, first 2 shown]
	v_lshrrev_b32_e32 v195, 1, v0
	ds_read_b128 v[12:15], v1 offset:33280
	ds_read_b128 v[8:11], v1 offset:33296
	;; [unrolled: 1-line block ×4, first 2 shown]
	v_mov_b32_e32 v251, 0
	s_waitcnt lgkmcnt(3)
	v_dot4c_i32_i8_e32 v251, v178, v12
	v_mov_b32_e32 v253, 0
	v_dot4c_i32_i8_e32 v251, v179, v13
	s_waitcnt lgkmcnt(1)
	v_dot4c_i32_i8_e32 v253, v186, v4
	v_dot4c_i32_i8_e32 v251, v180, v14
	;; [unrolled: 1-line block ×5, first 2 shown]
	ds_read_b64 v[248:249], v194 offset:43584
	ds_read_b64 v[196:197], v195 offset:43584
	v_dot4c_i32_i8_e32 v251, v182, v8
	v_dot4c_i32_i8_e32 v253, v189, v7
	;; [unrolled: 1-line block ×3, first 2 shown]
	s_waitcnt lgkmcnt(2)
	v_dot4c_i32_i8_e32 v253, v190, v0
	v_dot4c_i32_i8_e32 v251, v184, v10
	;; [unrolled: 1-line block ×6, first 2 shown]
	s_waitcnt lgkmcnt(0)
	v_cvt_f32_f16_e32 v199, v196
	v_cvt_f32_f16_e32 v198, v248
	v_cvt_f32_f16_sdwa v201, v196 dst_sel:DWORD dst_unused:UNUSED_PAD src0_sel:WORD_1
	v_cvt_f32_f16_sdwa v200, v248 dst_sel:DWORD dst_unused:UNUSED_PAD src0_sel:WORD_1
	v_cvt_f32_f16_e32 v194, v249
	v_cvt_f32_f16_sdwa v196, v249 dst_sel:DWORD dst_unused:UNUSED_PAD src0_sel:WORD_1
	v_mul_lo_u32 v248, v250, v240
	v_mul_lo_u32 v249, v251, v240
	v_cvt_f32_f16_e32 v195, v197
	v_cvt_f32_f16_sdwa v197, v197 dst_sel:DWORD dst_unused:UNUSED_PAD src0_sel:WORD_1
	v_cvt_f32_i32_e32 v249, v249
	v_cvt_f32_i32_e32 v248, v248
	v_mul_lo_u32 v252, v252, v241
	v_mul_lo_u32 v253, v253, v241
	v_cvt_f32_i32_e32 v253, v253
	v_cvt_f32_i32_e32 v252, v252
	v_pk_fma_f32 v[250:251], v[170:171], v[200:201], 0 op_sel_hi:[0,1,0]
	v_pk_fma_f32 v[248:249], v[248:249], v[198:199], 0 op_sel_hi:[1,1,0]
	;; [unrolled: 1-line block ×3, first 2 shown]
	v_pk_fma_f32 v[248:249], v[252:253], v[194:195], v[248:249]
	v_pk_mul_f32 v[250:251], v[250:251], v[100:101]
	v_mov_b32_e32 v252, 0
	v_pk_fma_f32 v[248:249], v[248:249], v[98:99], v[250:251] neg_lo:[0,0,1] neg_hi:[0,0,1]
	v_dot4c_i32_i8_e32 v252, v152, v4
	v_pk_add_f32 v[38:39], v[38:39], v[248:249]
	v_mov_b32_e32 v248, 0
	v_dot4c_i32_i8_e32 v248, v134, v12
	v_dot4c_i32_i8_e32 v248, v135, v13
	;; [unrolled: 1-line block ×15, first 2 shown]
	v_mul_lo_u32 v246, v246, v177
	v_mul_lo_u32 v248, v248, v177
	v_cvt_f32_i32_e32 v249, v248
	v_cvt_f32_i32_e32 v248, v246
	v_mul_lo_u32 v246, v247, v238
	v_mul_lo_u32 v247, v252, v238
	v_cvt_f32_i32_e32 v247, v247
	v_cvt_f32_i32_e32 v246, v246
	v_pk_fma_f32 v[248:249], v[248:249], v[198:199], 0 op_sel_hi:[1,1,0]
	v_pk_fma_f32 v[250:251], v[138:139], v[200:201], 0 op_sel_hi:[0,1,0]
	v_mul_lo_u32 v244, v244, v237
	v_pk_fma_f32 v[246:247], v[246:247], v[194:195], v[248:249]
	v_pk_fma_f32 v[248:249], v[148:149], v[196:197], v[250:251] op_sel_hi:[0,1,1]
	v_pk_mul_f32 v[248:249], v[248:249], v[104:105]
	v_mov_b32_e32 v250, 0
	v_pk_fma_f32 v[246:247], v[246:247], v[102:103], v[248:249] neg_lo:[0,0,1] neg_hi:[0,0,1]
	v_dot4c_i32_i8_e32 v250, v166, v4
	v_pk_add_f32 v[36:37], v[36:37], v[246:247]
	v_mov_b32_e32 v246, 0
	v_dot4c_i32_i8_e32 v246, v136, v12
	v_dot4c_i32_i8_e32 v246, v137, v13
	;; [unrolled: 1-line block ×15, first 2 shown]
	v_pk_fma_f32 v[248:249], v[140:141], v[200:201], 0 op_sel_hi:[0,1,0]
	v_mul_lo_u32 v246, v246, v237
	v_cvt_f32_i32_e32 v247, v246
	v_cvt_f32_i32_e32 v246, v244
	v_mul_lo_u32 v244, v245, v239
	v_mul_lo_u32 v245, v250, v239
	v_cvt_f32_i32_e32 v245, v245
	v_cvt_f32_i32_e32 v244, v244
	v_pk_fma_f32 v[246:247], v[246:247], v[198:199], 0 op_sel_hi:[1,1,0]
	v_mov_b32_e32 v250, 0
	v_mov_b32_e32 v252, 0
	v_pk_fma_f32 v[244:245], v[244:245], v[194:195], v[246:247]
	v_pk_fma_f32 v[246:247], v[158:159], v[196:197], v[248:249] op_sel_hi:[0,1,1]
	v_pk_mul_f32 v[246:247], v[246:247], v[108:109]
	v_mov_b32_e32 v251, 0
	v_pk_fma_f32 v[244:245], v[244:245], v[106:107], v[246:247] neg_lo:[0,0,1] neg_hi:[0,0,1]
	v_mov_b32_e32 v246, 0
	v_pk_add_f32 v[34:35], v[34:35], v[244:245]
	v_mov_b32_e32 v244, 0
	v_dot4c_i32_i8_e32 v244, v126, v12
	v_dot4c_i32_i8_e32 v244, v127, v13
	;; [unrolled: 1-line block ×5, first 2 shown]
	v_mov_b32_e32 v8, 0
	v_dot4c_i32_i8_e32 v8, v124, v4
	v_dot4c_i32_i8_e32 v8, v125, v5
	v_dot4c_i32_i8_e32 v8, v122, v6
	v_dot4c_i32_i8_e32 v8, v123, v7
	v_dot4c_i32_i8_e32 v244, v131, v9
	v_dot4c_i32_i8_e32 v8, v120, v0
	v_dot4c_i32_i8_e32 v244, v132, v10
	v_dot4c_i32_i8_e32 v8, v121, v1
	v_dot4c_i32_i8_e32 v244, v133, v11
	v_dot4c_i32_i8_e32 v8, v118, v2
	v_dot4c_i32_i8_e32 v8, v119, v3
	v_mul_lo_u32 v0, v242, v171
	v_mul_lo_u32 v1, v244, v171
	v_cvt_f32_i32_e32 v1, v1
	v_cvt_f32_i32_e32 v0, v0
	v_mul_lo_u32 v4, v243, v159
	v_mul_lo_u32 v5, v8, v159
	v_cvt_f32_i32_e32 v5, v5
	v_cvt_f32_i32_e32 v4, v4
	v_pk_fma_f32 v[2:3], v[116:117], v[200:201], 0 op_sel_hi:[0,1,0]
	v_pk_fma_f32 v[0:1], v[0:1], v[198:199], 0 op_sel_hi:[1,1,0]
	;; [unrolled: 1-line block ×3, first 2 shown]
	v_pk_fma_f32 v[0:1], v[4:5], v[194:195], v[0:1]
	v_pk_mul_f32 v[2:3], v[2:3], v[112:113]
	v_mov_b32_e32 v247, 0
	v_pk_fma_f32 v[0:1], v[0:1], v[110:111], v[2:3] neg_lo:[0,0,1] neg_hi:[0,0,1]
	v_mov_b32_e32 v244, 0
	v_pk_add_f32 v[32:33], v[32:33], v[0:1]
	v_or_b32_e32 v0, s18, v208
	v_lshlrev_b32_e32 v1, 2, v0
	v_lshrrev_b32_e32 v194, 1, v0
	ds_read_b128 v[12:15], v1 offset:33280
	ds_read_b128 v[8:11], v1 offset:33296
	ds_read_b128 v[4:7], v1 offset:33312
	ds_read_b128 v[0:3], v1 offset:33328
	v_mov_b32_e32 v245, 0
	v_mov_b32_e32 v242, 0
	;; [unrolled: 1-line block ×3, first 2 shown]
	s_waitcnt lgkmcnt(3)
	v_dot4c_i32_i8_e32 v250, v178, v12
	s_waitcnt lgkmcnt(1)
	v_dot4c_i32_i8_e32 v252, v186, v4
	v_dot4c_i32_i8_e32 v246, v134, v12
	;; [unrolled: 1-line block ×32, first 2 shown]
	s_waitcnt lgkmcnt(0)
	v_dot4c_i32_i8_e32 v252, v190, v0
	v_dot4c_i32_i8_e32 v246, v144, v8
	;; [unrolled: 1-line block ×15, first 2 shown]
	v_or_b32_e32 v0, s18, v209
	v_dot4c_i32_i8_e32 v250, v184, v10
	v_dot4c_i32_i8_e32 v252, v192, v2
	;; [unrolled: 1-line block ×8, first 2 shown]
	v_lshlrev_b32_e32 v1, 2, v0
	v_dot4c_i32_i8_e32 v250, v185, v11
	v_dot4c_i32_i8_e32 v252, v193, v3
	;; [unrolled: 1-line block ×8, first 2 shown]
	v_lshrrev_b32_e32 v195, 1, v0
	ds_read_b128 v[12:15], v1 offset:33280
	ds_read_b128 v[8:11], v1 offset:33296
	;; [unrolled: 1-line block ×4, first 2 shown]
	v_mov_b32_e32 v253, 0
	s_waitcnt lgkmcnt(3)
	v_dot4c_i32_i8_e32 v251, v178, v12
	v_dot4c_i32_i8_e32 v251, v179, v13
	s_waitcnt lgkmcnt(1)
	v_dot4c_i32_i8_e32 v253, v186, v4
	v_dot4c_i32_i8_e32 v251, v180, v14
	;; [unrolled: 1-line block ×5, first 2 shown]
	ds_read_b64 v[248:249], v194 offset:43584
	ds_read_b64 v[196:197], v195 offset:43584
	v_dot4c_i32_i8_e32 v251, v182, v8
	v_dot4c_i32_i8_e32 v253, v189, v7
	;; [unrolled: 1-line block ×3, first 2 shown]
	s_waitcnt lgkmcnt(2)
	v_dot4c_i32_i8_e32 v253, v190, v0
	v_dot4c_i32_i8_e32 v251, v184, v10
	;; [unrolled: 1-line block ×6, first 2 shown]
	s_waitcnt lgkmcnt(0)
	v_cvt_f32_f16_e32 v199, v196
	v_cvt_f32_f16_e32 v198, v248
	v_cvt_f32_f16_sdwa v201, v196 dst_sel:DWORD dst_unused:UNUSED_PAD src0_sel:WORD_1
	v_cvt_f32_f16_sdwa v200, v248 dst_sel:DWORD dst_unused:UNUSED_PAD src0_sel:WORD_1
	v_cvt_f32_f16_e32 v194, v249
	v_cvt_f32_f16_sdwa v196, v249 dst_sel:DWORD dst_unused:UNUSED_PAD src0_sel:WORD_1
	v_mul_lo_u32 v248, v250, v240
	v_mul_lo_u32 v249, v251, v240
	v_cvt_f32_f16_e32 v195, v197
	v_cvt_f32_f16_sdwa v197, v197 dst_sel:DWORD dst_unused:UNUSED_PAD src0_sel:WORD_1
	v_cvt_f32_i32_e32 v249, v249
	v_cvt_f32_i32_e32 v248, v248
	v_mul_lo_u32 v252, v252, v241
	v_mul_lo_u32 v253, v253, v241
	v_cvt_f32_i32_e32 v253, v253
	v_cvt_f32_i32_e32 v252, v252
	v_pk_fma_f32 v[250:251], v[170:171], v[200:201], 0 op_sel_hi:[0,1,0]
	v_pk_fma_f32 v[248:249], v[248:249], v[198:199], 0 op_sel_hi:[1,1,0]
	;; [unrolled: 1-line block ×3, first 2 shown]
	v_pk_fma_f32 v[248:249], v[252:253], v[194:195], v[248:249]
	v_pk_mul_f32 v[250:251], v[250:251], v[100:101]
	v_mov_b32_e32 v252, 0
	v_pk_fma_f32 v[248:249], v[248:249], v[98:99], v[250:251] neg_lo:[0,0,1] neg_hi:[0,0,1]
	v_dot4c_i32_i8_e32 v252, v152, v4
	v_pk_add_f32 v[30:31], v[30:31], v[248:249]
	v_mov_b32_e32 v248, 0
	v_dot4c_i32_i8_e32 v248, v134, v12
	v_dot4c_i32_i8_e32 v248, v135, v13
	;; [unrolled: 1-line block ×15, first 2 shown]
	v_mul_lo_u32 v246, v246, v177
	v_mul_lo_u32 v248, v248, v177
	v_cvt_f32_i32_e32 v249, v248
	v_cvt_f32_i32_e32 v248, v246
	v_mul_lo_u32 v246, v247, v238
	v_mul_lo_u32 v247, v252, v238
	v_cvt_f32_i32_e32 v247, v247
	v_cvt_f32_i32_e32 v246, v246
	v_pk_fma_f32 v[248:249], v[248:249], v[198:199], 0 op_sel_hi:[1,1,0]
	v_pk_fma_f32 v[250:251], v[138:139], v[200:201], 0 op_sel_hi:[0,1,0]
	v_mul_lo_u32 v244, v244, v237
	v_pk_fma_f32 v[246:247], v[246:247], v[194:195], v[248:249]
	v_pk_fma_f32 v[248:249], v[148:149], v[196:197], v[250:251] op_sel_hi:[0,1,1]
	v_pk_mul_f32 v[248:249], v[248:249], v[104:105]
	v_mov_b32_e32 v250, 0
	v_pk_fma_f32 v[246:247], v[246:247], v[102:103], v[248:249] neg_lo:[0,0,1] neg_hi:[0,0,1]
	v_dot4c_i32_i8_e32 v250, v166, v4
	v_pk_add_f32 v[28:29], v[28:29], v[246:247]
	v_mov_b32_e32 v246, 0
	v_dot4c_i32_i8_e32 v246, v136, v12
	v_dot4c_i32_i8_e32 v246, v137, v13
	;; [unrolled: 1-line block ×15, first 2 shown]
	v_pk_fma_f32 v[248:249], v[140:141], v[200:201], 0 op_sel_hi:[0,1,0]
	v_mul_lo_u32 v246, v246, v237
	v_cvt_f32_i32_e32 v247, v246
	v_cvt_f32_i32_e32 v246, v244
	v_mul_lo_u32 v244, v245, v239
	v_mul_lo_u32 v245, v250, v239
	v_cvt_f32_i32_e32 v245, v245
	v_cvt_f32_i32_e32 v244, v244
	v_pk_fma_f32 v[246:247], v[246:247], v[198:199], 0 op_sel_hi:[1,1,0]
	s_mov_b32 s19, 8
	s_and_b64 vcc, exec, s[0:1]
	v_pk_fma_f32 v[244:245], v[244:245], v[194:195], v[246:247]
	v_pk_fma_f32 v[246:247], v[158:159], v[196:197], v[248:249] op_sel_hi:[0,1,1]
	v_pk_mul_f32 v[246:247], v[246:247], v[108:109]
	s_mov_b64 s[0:1], 0
	v_pk_fma_f32 v[244:245], v[244:245], v[106:107], v[246:247] neg_lo:[0,0,1] neg_hi:[0,0,1]
	s_nop 0
	v_pk_add_f32 v[26:27], v[26:27], v[244:245]
	v_mov_b32_e32 v244, 0
	v_dot4c_i32_i8_e32 v244, v126, v12
	v_dot4c_i32_i8_e32 v244, v127, v13
	v_dot4c_i32_i8_e32 v244, v128, v14
	v_dot4c_i32_i8_e32 v244, v129, v15
	v_dot4c_i32_i8_e32 v244, v130, v8
	v_mov_b32_e32 v8, 0
	v_dot4c_i32_i8_e32 v8, v124, v4
	v_dot4c_i32_i8_e32 v8, v125, v5
	;; [unrolled: 1-line block ×11, first 2 shown]
	v_mul_lo_u32 v0, v242, v171
	v_mul_lo_u32 v1, v244, v171
	v_cvt_f32_i32_e32 v1, v1
	v_cvt_f32_i32_e32 v0, v0
	v_mul_lo_u32 v4, v243, v159
	v_mul_lo_u32 v5, v8, v159
	v_cvt_f32_i32_e32 v5, v5
	v_cvt_f32_i32_e32 v4, v4
	v_pk_fma_f32 v[2:3], v[116:117], v[200:201], 0 op_sel_hi:[0,1,0]
	v_pk_fma_f32 v[0:1], v[0:1], v[198:199], 0 op_sel_hi:[1,1,0]
	;; [unrolled: 1-line block ×3, first 2 shown]
	v_pk_fma_f32 v[0:1], v[4:5], v[194:195], v[0:1]
	v_pk_mul_f32 v[2:3], v[2:3], v[112:113]
	v_mov_b32_e32 v201, 0
	v_pk_fma_f32 v[0:1], v[0:1], v[110:111], v[2:3] neg_lo:[0,0,1] neg_hi:[0,0,1]
	v_mov_b32_e32 v242, 0
	v_pk_add_f32 v[24:25], v[24:25], v[0:1]
	v_or_b32_e32 v0, s18, v210
	v_lshlrev_b32_e32 v1, 2, v0
	v_lshrrev_b32_e32 v197, 1, v0
	ds_read_b128 v[12:15], v1 offset:33280
	ds_read_b128 v[8:11], v1 offset:33296
	;; [unrolled: 1-line block ×4, first 2 shown]
	v_mov_b32_e32 v199, 0
	v_mov_b32_e32 v200, 0
	;; [unrolled: 1-line block ×6, first 2 shown]
	s_waitcnt lgkmcnt(3)
	v_dot4c_i32_i8_e32 v201, v178, v12
	s_waitcnt lgkmcnt(1)
	v_dot4c_i32_i8_e32 v242, v186, v4
	v_dot4c_i32_i8_e32 v199, v134, v12
	;; [unrolled: 1-line block ×32, first 2 shown]
	s_waitcnt lgkmcnt(0)
	v_dot4c_i32_i8_e32 v242, v190, v0
	v_dot4c_i32_i8_e32 v199, v144, v8
	;; [unrolled: 1-line block ×15, first 2 shown]
	v_or_b32_e32 v0, s18, v211
	v_dot4c_i32_i8_e32 v201, v184, v10
	v_dot4c_i32_i8_e32 v242, v192, v2
	;; [unrolled: 1-line block ×8, first 2 shown]
	v_lshlrev_b32_e32 v1, 2, v0
	v_dot4c_i32_i8_e32 v201, v185, v11
	v_dot4c_i32_i8_e32 v242, v193, v3
	;; [unrolled: 1-line block ×8, first 2 shown]
	v_lshrrev_b32_e32 v243, 1, v0
	ds_read_b128 v[12:15], v1 offset:33280
	ds_read_b128 v[8:11], v1 offset:33296
	;; [unrolled: 1-line block ×4, first 2 shown]
	v_mov_b32_e32 v244, 0
	v_mov_b32_e32 v245, 0
	s_waitcnt lgkmcnt(3)
	v_dot4c_i32_i8_e32 v244, v178, v12
	s_waitcnt lgkmcnt(1)
	v_dot4c_i32_i8_e32 v245, v186, v4
	v_dot4c_i32_i8_e32 v244, v179, v13
	v_dot4c_i32_i8_e32 v245, v187, v5
	ds_read_b64 v[186:187], v197 offset:43584
	ds_read_b64 v[178:179], v243 offset:43584
	v_dot4c_i32_i8_e32 v244, v180, v14
	v_dot4c_i32_i8_e32 v244, v181, v15
	;; [unrolled: 1-line block ×6, first 2 shown]
	s_waitcnt lgkmcnt(2)
	v_dot4c_i32_i8_e32 v245, v190, v0
	s_waitcnt lgkmcnt(0)
	v_cvt_f32_f16_sdwa v183, v178 dst_sel:DWORD dst_unused:UNUSED_PAD src0_sel:WORD_1
	v_cvt_f32_f16_sdwa v182, v186 dst_sel:DWORD dst_unused:UNUSED_PAD src0_sel:WORD_1
	v_dot4c_i32_i8_e32 v245, v191, v1
	v_dot4c_i32_i8_e32 v245, v192, v2
	;; [unrolled: 1-line block ×3, first 2 shown]
	v_pk_fma_f32 v[188:189], v[170:171], v[182:183], 0 op_sel_hi:[0,1,0]
	v_mul_lo_u32 v170, v242, v241
	v_dot4c_i32_i8_e32 v244, v184, v10
	v_mul_lo_u32 v190, v245, v241
	v_cvt_f32_i32_e32 v191, v190
	v_cvt_f32_i32_e32 v190, v170
	v_mov_b32_e32 v170, 0
	v_dot4c_i32_i8_e32 v170, v134, v12
	v_dot4c_i32_i8_e32 v170, v135, v13
	;; [unrolled: 1-line block ×5, first 2 shown]
	v_mov_b32_e32 v144, 0
	v_dot4c_i32_i8_e32 v144, v152, v4
	v_dot4c_i32_i8_e32 v144, v153, v5
	;; [unrolled: 1-line block ×11, first 2 shown]
	v_mul_lo_u32 v134, v199, v177
	v_mul_lo_u32 v135, v170, v177
	v_dot4c_i32_i8_e32 v244, v185, v11
	v_cvt_f32_f16_e32 v185, v178
	v_cvt_f32_f16_e32 v184, v186
	;; [unrolled: 1-line block ×3, first 2 shown]
	v_cvt_f32_f16_sdwa v179, v179 dst_sel:DWORD dst_unused:UNUSED_PAD src0_sel:WORD_1
	v_cvt_f32_f16_sdwa v178, v187 dst_sel:DWORD dst_unused:UNUSED_PAD src0_sel:WORD_1
	v_cvt_f32_i32_e32 v135, v135
	v_cvt_f32_i32_e32 v134, v134
	v_pk_fma_f32 v[142:143], v[138:139], v[182:183], 0 op_sel_hi:[0,1,0]
	v_mul_lo_u32 v138, v200, v238
	v_mul_lo_u32 v144, v144, v238
	v_cvt_f32_f16_e32 v180, v187
	v_cvt_f32_i32_e32 v145, v144
	v_cvt_f32_i32_e32 v144, v138
	v_pk_fma_f32 v[134:135], v[134:135], v[184:185], 0 op_sel_hi:[1,1,0]
	v_pk_fma_f32 v[142:143], v[148:149], v[178:179], v[142:143] op_sel_hi:[0,1,1]
	v_pk_mul_f32 v[142:143], v[142:143], v[104:105]
	v_pk_fma_f32 v[134:135], v[144:145], v[180:181], v[134:135]
	v_mov_b32_e32 v138, 0
	v_pk_fma_f32 v[134:135], v[134:135], v[102:103], v[142:143] neg_lo:[0,0,1] neg_hi:[0,0,1]
	v_dot4c_i32_i8_e32 v138, v166, v4
	v_pk_add_f32 v[20:21], v[20:21], v[134:135]
	v_mov_b32_e32 v134, 0
	v_dot4c_i32_i8_e32 v134, v136, v12
	v_dot4c_i32_i8_e32 v134, v137, v13
	;; [unrolled: 1-line block ×15, first 2 shown]
	v_mul_lo_u32 v136, v196, v237
	v_mul_lo_u32 v134, v134, v237
	v_cvt_f32_i32_e32 v135, v134
	v_cvt_f32_i32_e32 v134, v136
	v_pk_fma_f32 v[136:137], v[140:141], v[182:183], 0 op_sel_hi:[0,1,0]
	v_mul_lo_u32 v140, v198, v239
	v_mul_lo_u32 v138, v138, v239
	v_cvt_f32_i32_e32 v143, v138
	v_cvt_f32_i32_e32 v142, v140
	v_pk_fma_f32 v[134:135], v[134:135], v[184:185], 0 op_sel_hi:[1,1,0]
	v_pk_fma_f32 v[136:137], v[158:159], v[178:179], v[136:137] op_sel_hi:[0,1,1]
	v_pk_mul_f32 v[136:137], v[136:137], v[108:109]
	v_pk_fma_f32 v[134:135], v[142:143], v[180:181], v[134:135]
	v_mul_lo_u32 v186, v201, v240
	v_pk_fma_f32 v[134:135], v[134:135], v[106:107], v[136:137] neg_lo:[0,0,1] neg_hi:[0,0,1]
	v_mul_lo_u32 v187, v244, v240
	v_pk_add_f32 v[18:19], v[18:19], v[134:135]
	v_mov_b32_e32 v134, 0
	v_dot4c_i32_i8_e32 v134, v126, v12
	v_dot4c_i32_i8_e32 v134, v127, v13
	;; [unrolled: 1-line block ×5, first 2 shown]
	v_mov_b32_e32 v8, 0
	v_dot4c_i32_i8_e32 v8, v124, v4
	v_dot4c_i32_i8_e32 v8, v125, v5
	;; [unrolled: 1-line block ×11, first 2 shown]
	v_mul_lo_u32 v0, v195, v171
	v_mul_lo_u32 v1, v134, v171
	v_cvt_f32_i32_e32 v187, v187
	v_cvt_f32_i32_e32 v186, v186
	;; [unrolled: 1-line block ×4, first 2 shown]
	v_mul_lo_u32 v4, v194, v159
	v_mul_lo_u32 v5, v8, v159
	v_cvt_f32_i32_e32 v5, v5
	v_cvt_f32_i32_e32 v4, v4
	v_pk_fma_f32 v[2:3], v[116:117], v[182:183], 0 op_sel_hi:[0,1,0]
	v_pk_fma_f32 v[186:187], v[186:187], v[184:185], 0 op_sel_hi:[1,1,0]
	;; [unrolled: 1-line block ×5, first 2 shown]
	v_pk_fma_f32 v[186:187], v[190:191], v[180:181], v[186:187]
	v_pk_mul_f32 v[188:189], v[188:189], v[100:101]
	v_pk_fma_f32 v[0:1], v[4:5], v[180:181], v[0:1]
	v_pk_mul_f32 v[2:3], v[2:3], v[112:113]
	v_pk_fma_f32 v[186:187], v[186:187], v[98:99], v[188:189] neg_lo:[0,0,1] neg_hi:[0,0,1]
	v_pk_fma_f32 v[0:1], v[0:1], v[110:111], v[2:3] neg_lo:[0,0,1] neg_hi:[0,0,1]
	v_pk_add_f32 v[22:23], v[22:23], v[186:187]
	v_pk_add_f32 v[16:17], v[16:17], v[0:1]
	s_cbranch_vccnz .LBB173_6
; %bb.7:                                ;   in Loop: Header=BB173_5 Depth=1
	v_add_u32_e32 v14, s17, v141
	v_add_u32_e32 v0, v14, v81
	;; [unrolled: 1-line block ×6, first 2 shown]
	v_mad_i64_i32 v[0:1], s[0:1], v0, 36, v[92:93]
	v_mad_i64_i32 v[2:3], s[0:1], v2, 36, v[92:93]
	;; [unrolled: 1-line block ×4, first 2 shown]
	v_add_u32_e32 v8, v14, v89
	v_add_u32_e32 v10, v14, v91
	;; [unrolled: 1-line block ×4, first 2 shown]
	v_mad_u64_u32 v[98:99], s[0:1], v98, 36, s[2:3]
	s_barrier
	v_mad_i64_i32 v[8:9], s[0:1], v8, 36, v[92:93]
	v_mad_i64_i32 v[10:11], s[0:1], v10, 36, v[92:93]
	;; [unrolled: 1-line block ×4, first 2 shown]
	global_load_dword v98, v[98:99], off
	s_nop 0
	global_load_dword v0, v[0:1], off offset:4
	s_nop 0
	global_load_dword v1, v[2:3], off offset:4
	;; [unrolled: 2-line block ×3, first 2 shown]
	global_load_dword v3, v[6:7], off offset:4
	s_nop 0
	global_load_dword v4, v[8:9], off offset:4
	global_load_dword v5, v[10:11], off offset:4
	;; [unrolled: 1-line block ×4, first 2 shown]
	s_mov_b32 s0, 16
	s_waitcnt vmcnt(8)
	ds_write_b32 v77, v98
	s_waitcnt vmcnt(7)
	ds_write_b32 v216, v0
	;; [unrolled: 2-line block ×9, first 2 shown]
	s_waitcnt lgkmcnt(0)
	s_barrier
	ds_read_b32 v0, v139
	ds_read_b32 v1, v202 offset:128
	ds_read_b32 v2, v203 offset:256
	;; [unrolled: 1-line block ×3, first 2 shown]
	s_waitcnt lgkmcnt(2)
	v_cvt_f32_f16_e32 v102, v1
	v_cvt_f32_f16_e32 v98, v0
	v_cvt_f32_f16_sdwa v100, v0 dst_sel:DWORD dst_unused:UNUSED_PAD src0_sel:WORD_1
	v_cvt_f32_f16_sdwa v104, v1 dst_sel:DWORD dst_unused:UNUSED_PAD src0_sel:WORD_1
	s_waitcnt lgkmcnt(1)
	v_cvt_f32_f16_e32 v106, v2
	v_cvt_f32_f16_sdwa v108, v2 dst_sel:DWORD dst_unused:UNUSED_PAD src0_sel:WORD_1
	s_waitcnt lgkmcnt(0)
	v_cvt_f32_f16_e32 v110, v3
	v_cvt_f32_f16_sdwa v112, v3 dst_sel:DWORD dst_unused:UNUSED_PAD src0_sel:WORD_1
	v_mov_b32_e32 v99, v98
	v_mov_b32_e32 v101, v100
	;; [unrolled: 1-line block ×8, first 2 shown]
.LBB173_8:                              ;   Parent Loop BB173_5 Depth=1
                                        ; =>  This Inner Loop Header: Depth=2
	s_lshr_b32 s1, s0, 2
	s_and_b32 s17, s1, 0x3ffffffe
	s_lshl_b32 s1, s0, 1
	s_and_b32 s1, s1, 16
	v_or_b32_e32 v0, s1, v65
	s_add_i32 s17, s17, 0xa200
	s_lshl_b32 s18, s0, 3
	v_lshlrev_b32_e32 v1, 2, v0
	v_add3_u32 v114, s17, v229, v230
	v_add_u32_e32 v116, s18, v212
	v_lshrrev_b32_e32 v194, 1, v0
	ds_read_b128 v[12:15], v1 offset:33280
	ds_read_b128 v[8:11], v1 offset:33296
	ds_read_b128 v[4:7], v1 offset:33312
	ds_read_b128 v[0:3], v1 offset:33328
	ds_read2_b32 v[178:179], v116 offset1:1
	ds_read2_b32 v[180:181], v116 offset0:2 offset1:3
	ds_read2_b32 v[182:183], v116 offset0:4 offset1:5
	;; [unrolled: 1-line block ×3, first 2 shown]
	ds_read_u16 v118, v114
	ds_read_u16 v114, v114 offset:8
	ds_read2_b32 v[160:161], v116 offset0:8 offset1:9
	ds_read2_b32 v[188:189], v116 offset0:10 offset1:11
	;; [unrolled: 1-line block ×4, first 2 shown]
	s_waitcnt lgkmcnt(4)
	v_cvt_f32_ubyte0_e32 v152, v114
	v_cvt_f32_ubyte1_e32 v186, v114
	v_add3_u32 v114, s17, v231, v232
	v_add_u32_e32 v116, s18, v213
	v_and_b32_e32 v237, 0xff, v118
	v_lshrrev_b16_e32 v240, 8, v118
	ds_read2_b32 v[134:135], v116 offset1:1
	ds_read2_b32 v[146:147], v116 offset0:2 offset1:3
	ds_read2_b32 v[148:149], v116 offset0:4 offset1:5
	;; [unrolled: 1-line block ×3, first 2 shown]
	ds_read_u16 v118, v114
	ds_read_u16 v114, v114 offset:8
	ds_read2_b32 v[142:143], v116 offset0:8 offset1:9
	ds_read2_b32 v[166:167], v116 offset0:10 offset1:11
	;; [unrolled: 1-line block ×4, first 2 shown]
	s_waitcnt lgkmcnt(4)
	v_cvt_f32_ubyte0_e32 v138, v114
	v_cvt_f32_ubyte1_e32 v162, v114
	v_add3_u32 v114, s17, v233, v234
	v_add_u32_e32 v116, s18, v214
	v_add_u32_e32 v122, s18, v215
	v_and_b32_e32 v165, 0xff, v118
	v_lshrrev_b16_e32 v238, 8, v118
	ds_read2_b32 v[136:137], v116 offset1:1
	ds_read2_b32 v[150:151], v116 offset0:2 offset1:3
	ds_read2_b32 v[156:157], v116 offset0:4 offset1:5
	;; [unrolled: 1-line block ×3, first 2 shown]
	ds_read_u16 v118, v114
	ds_read_u16 v114, v114 offset:8
	ds_read2_b32 v[126:127], v122 offset1:1
	ds_read2_b32 v[128:129], v122 offset0:2 offset1:3
	ds_read2_b32 v[130:131], v122 offset0:4 offset1:5
	;; [unrolled: 1-line block ×3, first 2 shown]
	v_mov_b32_e32 v244, 0
	v_mov_b32_e32 v243, 0
	;; [unrolled: 1-line block ×4, first 2 shown]
	v_dot4c_i32_i8_e32 v244, v178, v12
	v_dot4c_i32_i8_e32 v243, v134, v12
	s_waitcnt lgkmcnt(9)
	v_dot4c_i32_i8_e32 v242, v136, v12
	s_waitcnt lgkmcnt(3)
	v_dot4c_i32_i8_e32 v241, v126, v12
	v_dot4c_i32_i8_e32 v244, v179, v13
	;; [unrolled: 1-line block ×8, first 2 shown]
	s_waitcnt lgkmcnt(2)
	v_dot4c_i32_i8_e32 v241, v128, v14
	v_dot4c_i32_i8_e32 v244, v181, v15
	;; [unrolled: 1-line block ×8, first 2 shown]
	v_cvt_f32_ubyte0_e32 v140, v114
	v_cvt_f32_ubyte1_e32 v164, v114
	v_add3_u32 v114, s17, v235, v236
	s_waitcnt lgkmcnt(1)
	v_dot4c_i32_i8_e32 v241, v130, v8
	v_dot4c_i32_i8_e32 v244, v183, v9
	;; [unrolled: 1-line block ×4, first 2 shown]
	ds_read2_b32 v[144:145], v116 offset0:8 offset1:9
	ds_read2_b32 v[170:171], v116 offset0:10 offset1:11
	;; [unrolled: 1-line block ×4, first 2 shown]
	v_dot4c_i32_i8_e32 v241, v131, v9
	ds_read_u16 v8, v114
	ds_read_u16 v9, v114 offset:8
	ds_read2_b32 v[124:125], v122 offset0:8 offset1:9
	ds_read2_b32 v[120:121], v122 offset0:12 offset1:13
	v_and_b32_e32 v187, 0xff, v118
	v_lshrrev_b16_e32 v239, 8, v118
	ds_read2_b32 v[118:119], v122 offset0:10 offset1:11
	v_mov_b32_e32 v248, 0
	v_mov_b32_e32 v247, 0
	;; [unrolled: 1-line block ×4, first 2 shown]
	v_dot4c_i32_i8_e32 v248, v160, v4
	v_dot4c_i32_i8_e32 v247, v142, v4
	s_waitcnt lgkmcnt(8)
	v_dot4c_i32_i8_e32 v246, v144, v4
	s_waitcnt lgkmcnt(2)
	v_dot4c_i32_i8_e32 v245, v124, v4
	v_dot4c_i32_i8_e32 v248, v161, v5
	;; [unrolled: 1-line block ×5, first 2 shown]
	ds_read2_b32 v[122:123], v122 offset0:14 offset1:15
	v_dot4c_i32_i8_e32 v248, v188, v6
	v_dot4c_i32_i8_e32 v247, v166, v6
	;; [unrolled: 1-line block ×3, first 2 shown]
	s_waitcnt lgkmcnt(1)
	v_dot4c_i32_i8_e32 v245, v118, v6
	v_dot4c_i32_i8_e32 v248, v189, v7
	;; [unrolled: 1-line block ×13, first 2 shown]
	v_or_b32_e32 v0, s1, v205
	v_dot4c_i32_i8_e32 v244, v184, v10
	v_dot4c_i32_i8_e32 v248, v192, v2
	;; [unrolled: 1-line block ×7, first 2 shown]
	s_waitcnt lgkmcnt(0)
	v_dot4c_i32_i8_e32 v245, v122, v2
	v_lshlrev_b32_e32 v1, 2, v0
	v_dot4c_i32_i8_e32 v244, v185, v11
	v_dot4c_i32_i8_e32 v248, v193, v3
	;; [unrolled: 1-line block ×7, first 2 shown]
	v_and_b32_e32 v163, 0xff, v8
	v_cvt_f32_ubyte0_e32 v116, v9
	v_dot4c_i32_i8_e32 v245, v123, v3
	v_lshrrev_b16_e32 v153, 8, v8
	v_cvt_f32_ubyte1_e32 v114, v9
	v_lshrrev_b32_e32 v195, 1, v0
	ds_read_b128 v[12:15], v1 offset:33280
	ds_read_b128 v[8:11], v1 offset:33296
	;; [unrolled: 1-line block ×4, first 2 shown]
	v_mov_b32_e32 v249, 0
	s_waitcnt lgkmcnt(3)
	v_dot4c_i32_i8_e32 v249, v178, v12
	v_mov_b32_e32 v254, 0
	v_dot4c_i32_i8_e32 v249, v179, v13
	s_waitcnt lgkmcnt(1)
	v_dot4c_i32_i8_e32 v254, v160, v4
	v_dot4c_i32_i8_e32 v249, v180, v14
	;; [unrolled: 1-line block ×7, first 2 shown]
	ds_read_b64 v[250:251], v194 offset:43584
	ds_read_b64 v[196:197], v195 offset:43584
	v_dot4c_i32_i8_e32 v249, v183, v9
	s_waitcnt lgkmcnt(2)
	v_dot4c_i32_i8_e32 v254, v190, v0
	v_dot4c_i32_i8_e32 v249, v184, v10
	;; [unrolled: 1-line block ×6, first 2 shown]
	v_mul_lo_u32 v244, v244, v237
	v_mul_lo_u32 v249, v249, v237
	s_waitcnt lgkmcnt(0)
	v_cvt_f32_f16_e32 v199, v196
	v_cvt_f32_f16_e32 v198, v250
	v_cvt_f32_f16_sdwa v201, v196 dst_sel:DWORD dst_unused:UNUSED_PAD src0_sel:WORD_1
	v_cvt_f32_f16_sdwa v200, v250 dst_sel:DWORD dst_unused:UNUSED_PAD src0_sel:WORD_1
	v_cvt_f32_f16_e32 v194, v251
	v_cvt_f32_f16_sdwa v196, v251 dst_sel:DWORD dst_unused:UNUSED_PAD src0_sel:WORD_1
	v_cvt_f32_i32_e32 v251, v249
	v_cvt_f32_i32_e32 v250, v244
	v_mul_lo_u32 v244, v248, v240
	v_mul_lo_u32 v248, v254, v240
	v_cvt_f32_f16_e32 v195, v197
	v_cvt_f32_f16_sdwa v197, v197 dst_sel:DWORD dst_unused:UNUSED_PAD src0_sel:WORD_1
	v_cvt_f32_i32_e32 v249, v248
	v_cvt_f32_i32_e32 v248, v244
	v_pk_fma_f32 v[250:251], v[198:199], v[250:251], 0 op_sel_hi:[1,1,0]
	v_pk_fma_f32 v[252:253], v[152:153], v[200:201], 0 op_sel_hi:[0,1,0]
	v_mov_b32_e32 v244, 0
	v_pk_fma_f32 v[248:249], v[194:195], v[248:249], v[250:251]
	v_pk_fma_f32 v[250:251], v[186:187], v[196:197], v[252:253] op_sel_hi:[0,1,1]
	v_dot4c_i32_i8_e32 v244, v134, v12
	v_mov_b32_e32 v252, 0
	v_dot4c_i32_i8_e32 v244, v135, v13
	v_dot4c_i32_i8_e32 v252, v142, v4
	;; [unrolled: 1-line block ×10, first 2 shown]
	v_pk_mul_f32 v[250:251], v[250:251], v[100:101]
	v_dot4c_i32_i8_e32 v244, v154, v10
	v_dot4c_i32_i8_e32 v252, v169, v1
	v_pk_fma_f32 v[248:249], v[248:249], v[98:99], v[250:251] neg_lo:[0,0,1] neg_hi:[0,0,1]
	v_dot4c_i32_i8_e32 v244, v155, v11
	v_dot4c_i32_i8_e32 v252, v172, v2
	v_mul_lo_u32 v243, v243, v165
	v_pk_add_f32 v[44:45], v[44:45], v[248:249]
	v_dot4c_i32_i8_e32 v252, v173, v3
	v_mul_lo_u32 v244, v244, v165
	v_cvt_f32_i32_e32 v248, v243
	v_mul_lo_u32 v243, v247, v238
	v_cvt_f32_i32_e32 v249, v244
	;; [unrolled: 2-line block ×3, first 2 shown]
	v_mov_b32_e32 v243, 0
	v_cvt_f32_i32_e32 v253, v244
	v_dot4c_i32_i8_e32 v243, v136, v12
	v_mov_b32_e32 v244, 0
	v_dot4c_i32_i8_e32 v243, v137, v13
	v_dot4c_i32_i8_e32 v244, v144, v4
	;; [unrolled: 1-line block ×15, first 2 shown]
	v_mul_lo_u32 v242, v242, v187
	v_mul_lo_u32 v243, v243, v187
	v_pk_fma_f32 v[250:251], v[138:139], v[200:201], 0 op_sel_hi:[0,1,0]
	v_cvt_f32_i32_e32 v243, v243
	v_cvt_f32_i32_e32 v242, v242
	v_mul_lo_u32 v246, v246, v239
	v_mul_lo_u32 v244, v244, v239
	v_pk_fma_f32 v[248:249], v[198:199], v[248:249], 0 op_sel_hi:[1,1,0]
	v_pk_fma_f32 v[250:251], v[162:163], v[196:197], v[250:251] op_sel_hi:[0,1,1]
	v_cvt_f32_i32_e32 v247, v244
	v_cvt_f32_i32_e32 v246, v246
	v_pk_fma_f32 v[248:249], v[194:195], v[252:253], v[248:249]
	v_pk_mul_f32 v[250:251], v[250:251], v[104:105]
	v_pk_fma_f32 v[242:243], v[198:199], v[242:243], 0 op_sel_hi:[1,1,0]
	v_pk_fma_f32 v[248:249], v[248:249], v[102:103], v[250:251] neg_lo:[0,0,1] neg_hi:[0,0,1]
	v_pk_fma_f32 v[242:243], v[194:195], v[246:247], v[242:243]
	v_pk_add_f32 v[46:47], v[46:47], v[248:249]
	v_pk_fma_f32 v[248:249], v[140:141], v[200:201], 0 op_sel_hi:[0,1,0]
	v_pk_fma_f32 v[246:247], v[164:165], v[196:197], v[248:249] op_sel_hi:[0,1,1]
	v_pk_mul_f32 v[246:247], v[246:247], v[108:109]
	v_mov_b32_e32 v252, 0
	v_pk_fma_f32 v[242:243], v[242:243], v[106:107], v[246:247] neg_lo:[0,0,1] neg_hi:[0,0,1]
	v_mov_b32_e32 v247, 0
	v_pk_add_f32 v[42:43], v[42:43], v[242:243]
	v_mov_b32_e32 v242, 0
	v_dot4c_i32_i8_e32 v242, v126, v12
	v_dot4c_i32_i8_e32 v242, v127, v13
	;; [unrolled: 1-line block ×5, first 2 shown]
	v_mov_b32_e32 v8, 0
	v_dot4c_i32_i8_e32 v8, v124, v4
	v_dot4c_i32_i8_e32 v8, v125, v5
	;; [unrolled: 1-line block ×11, first 2 shown]
	v_mul_lo_u32 v0, v241, v163
	v_mul_lo_u32 v1, v242, v163
	v_cvt_f32_i32_e32 v1, v1
	v_cvt_f32_i32_e32 v0, v0
	v_mul_lo_u32 v4, v245, v153
	v_mul_lo_u32 v5, v8, v153
	v_cvt_f32_i32_e32 v5, v5
	v_cvt_f32_i32_e32 v4, v4
	v_pk_fma_f32 v[2:3], v[116:117], v[200:201], 0 op_sel_hi:[0,1,0]
	v_pk_fma_f32 v[0:1], v[198:199], v[0:1], 0 op_sel_hi:[1,1,0]
	;; [unrolled: 1-line block ×3, first 2 shown]
	v_pk_fma_f32 v[0:1], v[194:195], v[4:5], v[0:1]
	v_pk_mul_f32 v[2:3], v[2:3], v[112:113]
	v_mov_b32_e32 v245, 0
	v_pk_fma_f32 v[0:1], v[0:1], v[110:111], v[2:3] neg_lo:[0,0,1] neg_hi:[0,0,1]
	v_mov_b32_e32 v246, 0
	v_pk_add_f32 v[40:41], v[40:41], v[0:1]
	v_or_b32_e32 v0, s1, v206
	v_lshlrev_b32_e32 v1, 2, v0
	v_lshrrev_b32_e32 v194, 1, v0
	ds_read_b128 v[12:15], v1 offset:33280
	ds_read_b128 v[8:11], v1 offset:33296
	;; [unrolled: 1-line block ×4, first 2 shown]
	v_mov_b32_e32 v243, 0
	v_mov_b32_e32 v244, 0
	;; [unrolled: 1-line block ×4, first 2 shown]
	s_waitcnt lgkmcnt(3)
	v_dot4c_i32_i8_e32 v247, v178, v12
	s_waitcnt lgkmcnt(1)
	v_dot4c_i32_i8_e32 v252, v160, v4
	v_dot4c_i32_i8_e32 v245, v134, v12
	;; [unrolled: 1-line block ×32, first 2 shown]
	s_waitcnt lgkmcnt(0)
	v_dot4c_i32_i8_e32 v252, v190, v0
	v_dot4c_i32_i8_e32 v245, v148, v8
	;; [unrolled: 1-line block ×15, first 2 shown]
	v_or_b32_e32 v0, s1, v207
	v_dot4c_i32_i8_e32 v247, v184, v10
	v_dot4c_i32_i8_e32 v252, v192, v2
	;; [unrolled: 1-line block ×8, first 2 shown]
	v_lshlrev_b32_e32 v1, 2, v0
	v_dot4c_i32_i8_e32 v247, v185, v11
	v_dot4c_i32_i8_e32 v252, v193, v3
	;; [unrolled: 1-line block ×8, first 2 shown]
	v_lshrrev_b32_e32 v195, 1, v0
	ds_read_b128 v[12:15], v1 offset:33280
	ds_read_b128 v[8:11], v1 offset:33296
	;; [unrolled: 1-line block ×4, first 2 shown]
	v_mov_b32_e32 v250, 0
	s_waitcnt lgkmcnt(3)
	v_dot4c_i32_i8_e32 v250, v178, v12
	v_mov_b32_e32 v253, 0
	v_dot4c_i32_i8_e32 v250, v179, v13
	s_waitcnt lgkmcnt(1)
	v_dot4c_i32_i8_e32 v253, v160, v4
	v_dot4c_i32_i8_e32 v250, v180, v14
	;; [unrolled: 1-line block ×7, first 2 shown]
	ds_read_b64 v[248:249], v194 offset:43584
	ds_read_b64 v[196:197], v195 offset:43584
	v_dot4c_i32_i8_e32 v250, v183, v9
	s_waitcnt lgkmcnt(2)
	v_dot4c_i32_i8_e32 v253, v190, v0
	v_dot4c_i32_i8_e32 v250, v184, v10
	;; [unrolled: 1-line block ×6, first 2 shown]
	s_waitcnt lgkmcnt(1)
	v_cvt_f32_f16_e32 v198, v248
	v_cvt_f32_f16_sdwa v200, v248 dst_sel:DWORD dst_unused:UNUSED_PAD src0_sel:WORD_1
	v_mul_lo_u32 v247, v247, v237
	v_mul_lo_u32 v248, v250, v237
	s_waitcnt lgkmcnt(0)
	v_cvt_f32_f16_e32 v199, v196
	v_cvt_f32_f16_sdwa v201, v196 dst_sel:DWORD dst_unused:UNUSED_PAD src0_sel:WORD_1
	v_cvt_f32_f16_e32 v194, v249
	v_cvt_f32_f16_sdwa v196, v249 dst_sel:DWORD dst_unused:UNUSED_PAD src0_sel:WORD_1
	v_cvt_f32_i32_e32 v249, v248
	v_cvt_f32_i32_e32 v248, v247
	v_mul_lo_u32 v247, v252, v240
	v_mul_lo_u32 v252, v253, v240
	v_cvt_f32_f16_e32 v195, v197
	v_cvt_f32_i32_e32 v253, v252
	v_cvt_f32_i32_e32 v252, v247
	v_pk_fma_f32 v[248:249], v[248:249], v[198:199], 0 op_sel_hi:[1,1,0]
	v_mov_b32_e32 v247, 0
	v_dot4c_i32_i8_e32 v247, v134, v12
	v_pk_fma_f32 v[248:249], v[252:253], v[194:195], v[248:249]
	v_mov_b32_e32 v252, 0
	v_dot4c_i32_i8_e32 v247, v135, v13
	v_dot4c_i32_i8_e32 v252, v142, v4
	v_cvt_f32_f16_sdwa v197, v197 dst_sel:DWORD dst_unused:UNUSED_PAD src0_sel:WORD_1
	v_dot4c_i32_i8_e32 v247, v146, v14
	v_dot4c_i32_i8_e32 v252, v143, v5
	v_dot4c_i32_i8_e32 v247, v147, v15
	v_dot4c_i32_i8_e32 v252, v166, v6
	v_dot4c_i32_i8_e32 v247, v148, v8
	v_dot4c_i32_i8_e32 v252, v167, v7
	v_pk_fma_f32 v[250:251], v[152:153], v[200:201], 0 op_sel_hi:[0,1,0]
	v_dot4c_i32_i8_e32 v247, v149, v9
	v_dot4c_i32_i8_e32 v252, v168, v0
	v_pk_fma_f32 v[250:251], v[186:187], v[196:197], v[250:251] op_sel_hi:[0,1,1]
	v_dot4c_i32_i8_e32 v247, v154, v10
	v_dot4c_i32_i8_e32 v252, v169, v1
	v_pk_mul_f32 v[250:251], v[250:251], v[100:101]
	v_dot4c_i32_i8_e32 v247, v155, v11
	v_dot4c_i32_i8_e32 v252, v172, v2
	v_pk_fma_f32 v[248:249], v[248:249], v[98:99], v[250:251] neg_lo:[0,0,1] neg_hi:[0,0,1]
	v_dot4c_i32_i8_e32 v252, v173, v3
	v_mul_lo_u32 v245, v245, v165
	v_mul_lo_u32 v247, v247, v165
	v_pk_add_f32 v[38:39], v[38:39], v[248:249]
	v_cvt_f32_i32_e32 v249, v247
	v_cvt_f32_i32_e32 v248, v245
	v_mul_lo_u32 v245, v246, v238
	v_mul_lo_u32 v246, v252, v238
	v_cvt_f32_i32_e32 v247, v246
	v_cvt_f32_i32_e32 v246, v245
	v_pk_fma_f32 v[248:249], v[248:249], v[198:199], 0 op_sel_hi:[1,1,0]
	v_pk_fma_f32 v[250:251], v[138:139], v[200:201], 0 op_sel_hi:[0,1,0]
	v_mov_b32_e32 v245, 0
	v_pk_fma_f32 v[246:247], v[246:247], v[194:195], v[248:249]
	v_pk_fma_f32 v[248:249], v[162:163], v[196:197], v[250:251] op_sel_hi:[0,1,1]
	v_mov_b32_e32 v250, 0
	v_dot4c_i32_i8_e32 v245, v136, v12
	v_dot4c_i32_i8_e32 v250, v144, v4
	;; [unrolled: 1-line block ×12, first 2 shown]
	v_pk_mul_f32 v[248:249], v[248:249], v[104:105]
	v_dot4c_i32_i8_e32 v245, v158, v10
	v_dot4c_i32_i8_e32 v250, v176, v2
	v_pk_fma_f32 v[246:247], v[246:247], v[102:103], v[248:249] neg_lo:[0,0,1] neg_hi:[0,0,1]
	v_dot4c_i32_i8_e32 v245, v159, v11
	v_dot4c_i32_i8_e32 v250, v177, v3
	v_mul_lo_u32 v243, v243, v187
	v_pk_add_f32 v[36:37], v[36:37], v[246:247]
	v_mul_lo_u32 v245, v245, v187
	v_cvt_f32_i32_e32 v246, v243
	v_mul_lo_u32 v243, v244, v239
	v_mul_lo_u32 v244, v250, v239
	v_cvt_f32_i32_e32 v247, v245
	v_cvt_f32_i32_e32 v245, v244
	;; [unrolled: 1-line block ×3, first 2 shown]
	v_mov_b32_e32 v243, 0
	v_dot4c_i32_i8_e32 v243, v126, v12
	v_dot4c_i32_i8_e32 v243, v127, v13
	;; [unrolled: 1-line block ×5, first 2 shown]
	v_mov_b32_e32 v8, 0
	v_dot4c_i32_i8_e32 v8, v124, v4
	v_dot4c_i32_i8_e32 v8, v125, v5
	;; [unrolled: 1-line block ×11, first 2 shown]
	v_mul_lo_u32 v0, v241, v163
	v_mul_lo_u32 v1, v243, v163
	v_cvt_f32_i32_e32 v1, v1
	v_cvt_f32_i32_e32 v0, v0
	v_mul_lo_u32 v4, v242, v153
	v_mul_lo_u32 v5, v8, v153
	v_cvt_f32_i32_e32 v5, v5
	v_cvt_f32_i32_e32 v4, v4
	v_pk_fma_f32 v[2:3], v[116:117], v[200:201], 0 op_sel_hi:[0,1,0]
	v_pk_fma_f32 v[0:1], v[0:1], v[198:199], 0 op_sel_hi:[1,1,0]
	;; [unrolled: 1-line block ×3, first 2 shown]
	v_pk_fma_f32 v[0:1], v[4:5], v[194:195], v[0:1]
	v_pk_mul_f32 v[2:3], v[2:3], v[112:113]
	v_pk_fma_f32 v[246:247], v[246:247], v[198:199], 0 op_sel_hi:[1,1,0]
	v_pk_fma_f32 v[0:1], v[0:1], v[110:111], v[2:3] neg_lo:[0,0,1] neg_hi:[0,0,1]
	v_pk_fma_f32 v[248:249], v[140:141], v[200:201], 0 op_sel_hi:[0,1,0]
	v_pk_add_f32 v[32:33], v[32:33], v[0:1]
	v_or_b32_e32 v0, s1, v208
	v_lshlrev_b32_e32 v1, 2, v0
	v_pk_fma_f32 v[244:245], v[244:245], v[194:195], v[246:247]
	v_pk_fma_f32 v[246:247], v[164:165], v[196:197], v[248:249] op_sel_hi:[0,1,1]
	v_lshrrev_b32_e32 v194, 1, v0
	ds_read_b128 v[12:15], v1 offset:33280
	ds_read_b128 v[8:11], v1 offset:33296
	;; [unrolled: 1-line block ×4, first 2 shown]
	v_pk_mul_f32 v[246:247], v[246:247], v[108:109]
	v_mov_b32_e32 v252, 0
	v_pk_fma_f32 v[244:245], v[244:245], v[106:107], v[246:247] neg_lo:[0,0,1] neg_hi:[0,0,1]
	v_mov_b32_e32 v247, 0
	v_pk_add_f32 v[34:35], v[34:35], v[244:245]
	v_mov_b32_e32 v245, 0
	v_mov_b32_e32 v246, 0
	;; [unrolled: 1-line block ×6, first 2 shown]
	s_waitcnt lgkmcnt(3)
	v_dot4c_i32_i8_e32 v247, v178, v12
	s_waitcnt lgkmcnt(1)
	v_dot4c_i32_i8_e32 v252, v160, v4
	v_dot4c_i32_i8_e32 v245, v134, v12
	v_dot4c_i32_i8_e32 v246, v142, v4
	v_dot4c_i32_i8_e32 v243, v136, v12
	v_dot4c_i32_i8_e32 v244, v144, v4
	v_dot4c_i32_i8_e32 v241, v126, v12
	v_dot4c_i32_i8_e32 v242, v124, v4
	v_dot4c_i32_i8_e32 v247, v179, v13
	v_dot4c_i32_i8_e32 v252, v161, v5
	v_dot4c_i32_i8_e32 v245, v135, v13
	v_dot4c_i32_i8_e32 v246, v143, v5
	v_dot4c_i32_i8_e32 v243, v137, v13
	v_dot4c_i32_i8_e32 v244, v145, v5
	v_dot4c_i32_i8_e32 v241, v127, v13
	v_dot4c_i32_i8_e32 v242, v125, v5
	v_dot4c_i32_i8_e32 v247, v180, v14
	v_dot4c_i32_i8_e32 v252, v188, v6
	v_dot4c_i32_i8_e32 v245, v146, v14
	v_dot4c_i32_i8_e32 v246, v166, v6
	v_dot4c_i32_i8_e32 v243, v150, v14
	v_dot4c_i32_i8_e32 v244, v170, v6
	v_dot4c_i32_i8_e32 v241, v128, v14
	v_dot4c_i32_i8_e32 v242, v118, v6
	v_dot4c_i32_i8_e32 v247, v181, v15
	v_dot4c_i32_i8_e32 v252, v189, v7
	v_dot4c_i32_i8_e32 v245, v147, v15
	v_dot4c_i32_i8_e32 v246, v167, v7
	v_dot4c_i32_i8_e32 v243, v151, v15
	v_dot4c_i32_i8_e32 v244, v171, v7
	v_dot4c_i32_i8_e32 v241, v129, v15
	v_dot4c_i32_i8_e32 v242, v119, v7
	v_dot4c_i32_i8_e32 v247, v182, v8
	s_waitcnt lgkmcnt(0)
	v_dot4c_i32_i8_e32 v252, v190, v0
	v_dot4c_i32_i8_e32 v245, v148, v8
	;; [unrolled: 1-line block ×15, first 2 shown]
	v_or_b32_e32 v0, s1, v209
	v_dot4c_i32_i8_e32 v247, v184, v10
	v_dot4c_i32_i8_e32 v252, v192, v2
	;; [unrolled: 1-line block ×8, first 2 shown]
	v_lshlrev_b32_e32 v1, 2, v0
	v_dot4c_i32_i8_e32 v247, v185, v11
	v_dot4c_i32_i8_e32 v252, v193, v3
	v_dot4c_i32_i8_e32 v245, v155, v11
	v_dot4c_i32_i8_e32 v246, v173, v3
	v_dot4c_i32_i8_e32 v243, v159, v11
	v_dot4c_i32_i8_e32 v244, v177, v3
	v_dot4c_i32_i8_e32 v241, v133, v11
	v_dot4c_i32_i8_e32 v242, v123, v3
	v_lshrrev_b32_e32 v195, 1, v0
	ds_read_b128 v[12:15], v1 offset:33280
	ds_read_b128 v[8:11], v1 offset:33296
	;; [unrolled: 1-line block ×4, first 2 shown]
	v_mov_b32_e32 v250, 0
	s_waitcnt lgkmcnt(3)
	v_dot4c_i32_i8_e32 v250, v178, v12
	v_mov_b32_e32 v253, 0
	v_dot4c_i32_i8_e32 v250, v179, v13
	s_waitcnt lgkmcnt(1)
	v_dot4c_i32_i8_e32 v253, v160, v4
	v_dot4c_i32_i8_e32 v250, v180, v14
	v_dot4c_i32_i8_e32 v253, v161, v5
	v_dot4c_i32_i8_e32 v250, v181, v15
	v_dot4c_i32_i8_e32 v253, v188, v6
	v_dot4c_i32_i8_e32 v250, v182, v8
	v_dot4c_i32_i8_e32 v253, v189, v7
	ds_read_b64 v[248:249], v194 offset:43584
	ds_read_b64 v[196:197], v195 offset:43584
	v_dot4c_i32_i8_e32 v250, v183, v9
	s_waitcnt lgkmcnt(2)
	v_dot4c_i32_i8_e32 v253, v190, v0
	v_dot4c_i32_i8_e32 v250, v184, v10
	;; [unrolled: 1-line block ×6, first 2 shown]
	s_waitcnt lgkmcnt(1)
	v_cvt_f32_f16_e32 v198, v248
	v_cvt_f32_f16_sdwa v200, v248 dst_sel:DWORD dst_unused:UNUSED_PAD src0_sel:WORD_1
	v_mul_lo_u32 v247, v247, v237
	v_mul_lo_u32 v248, v250, v237
	s_waitcnt lgkmcnt(0)
	v_cvt_f32_f16_e32 v199, v196
	v_cvt_f32_f16_sdwa v201, v196 dst_sel:DWORD dst_unused:UNUSED_PAD src0_sel:WORD_1
	v_cvt_f32_f16_e32 v194, v249
	v_cvt_f32_f16_sdwa v196, v249 dst_sel:DWORD dst_unused:UNUSED_PAD src0_sel:WORD_1
	v_cvt_f32_i32_e32 v249, v248
	v_cvt_f32_i32_e32 v248, v247
	v_mul_lo_u32 v247, v252, v240
	v_mul_lo_u32 v252, v253, v240
	v_cvt_f32_f16_e32 v195, v197
	v_cvt_f32_i32_e32 v253, v252
	v_cvt_f32_i32_e32 v252, v247
	v_pk_fma_f32 v[248:249], v[248:249], v[198:199], 0 op_sel_hi:[1,1,0]
	v_mov_b32_e32 v247, 0
	v_dot4c_i32_i8_e32 v247, v134, v12
	v_pk_fma_f32 v[248:249], v[252:253], v[194:195], v[248:249]
	v_mov_b32_e32 v252, 0
	v_dot4c_i32_i8_e32 v247, v135, v13
	v_dot4c_i32_i8_e32 v252, v142, v4
	v_cvt_f32_f16_sdwa v197, v197 dst_sel:DWORD dst_unused:UNUSED_PAD src0_sel:WORD_1
	v_dot4c_i32_i8_e32 v247, v146, v14
	v_dot4c_i32_i8_e32 v252, v143, v5
	;; [unrolled: 1-line block ×6, first 2 shown]
	v_pk_fma_f32 v[250:251], v[152:153], v[200:201], 0 op_sel_hi:[0,1,0]
	v_dot4c_i32_i8_e32 v247, v149, v9
	v_dot4c_i32_i8_e32 v252, v168, v0
	v_pk_fma_f32 v[250:251], v[186:187], v[196:197], v[250:251] op_sel_hi:[0,1,1]
	v_dot4c_i32_i8_e32 v247, v154, v10
	v_dot4c_i32_i8_e32 v252, v169, v1
	v_pk_mul_f32 v[250:251], v[250:251], v[100:101]
	v_dot4c_i32_i8_e32 v247, v155, v11
	v_dot4c_i32_i8_e32 v252, v172, v2
	v_pk_fma_f32 v[248:249], v[248:249], v[98:99], v[250:251] neg_lo:[0,0,1] neg_hi:[0,0,1]
	v_dot4c_i32_i8_e32 v252, v173, v3
	v_mul_lo_u32 v245, v245, v165
	v_mul_lo_u32 v247, v247, v165
	v_pk_add_f32 v[30:31], v[30:31], v[248:249]
	v_cvt_f32_i32_e32 v249, v247
	v_cvt_f32_i32_e32 v248, v245
	v_mul_lo_u32 v245, v246, v238
	v_mul_lo_u32 v246, v252, v238
	v_cvt_f32_i32_e32 v247, v246
	v_cvt_f32_i32_e32 v246, v245
	v_pk_fma_f32 v[248:249], v[248:249], v[198:199], 0 op_sel_hi:[1,1,0]
	v_pk_fma_f32 v[250:251], v[138:139], v[200:201], 0 op_sel_hi:[0,1,0]
	v_mov_b32_e32 v245, 0
	v_pk_fma_f32 v[246:247], v[246:247], v[194:195], v[248:249]
	v_pk_fma_f32 v[248:249], v[162:163], v[196:197], v[250:251] op_sel_hi:[0,1,1]
	v_mov_b32_e32 v250, 0
	v_dot4c_i32_i8_e32 v245, v136, v12
	v_dot4c_i32_i8_e32 v250, v144, v4
	;; [unrolled: 1-line block ×12, first 2 shown]
	v_pk_mul_f32 v[248:249], v[248:249], v[104:105]
	v_dot4c_i32_i8_e32 v245, v158, v10
	v_dot4c_i32_i8_e32 v250, v176, v2
	v_pk_fma_f32 v[246:247], v[246:247], v[102:103], v[248:249] neg_lo:[0,0,1] neg_hi:[0,0,1]
	v_dot4c_i32_i8_e32 v245, v159, v11
	v_dot4c_i32_i8_e32 v250, v177, v3
	v_mul_lo_u32 v243, v243, v187
	v_pk_add_f32 v[28:29], v[28:29], v[246:247]
	v_mul_lo_u32 v245, v245, v187
	v_cvt_f32_i32_e32 v246, v243
	v_mul_lo_u32 v243, v244, v239
	v_mul_lo_u32 v244, v250, v239
	v_cvt_f32_i32_e32 v247, v245
	v_cvt_f32_i32_e32 v245, v244
	;; [unrolled: 1-line block ×3, first 2 shown]
	v_mov_b32_e32 v243, 0
	v_dot4c_i32_i8_e32 v243, v126, v12
	v_dot4c_i32_i8_e32 v243, v127, v13
	;; [unrolled: 1-line block ×5, first 2 shown]
	v_mov_b32_e32 v8, 0
	v_dot4c_i32_i8_e32 v8, v124, v4
	v_dot4c_i32_i8_e32 v8, v125, v5
	;; [unrolled: 1-line block ×11, first 2 shown]
	v_mul_lo_u32 v0, v241, v163
	v_mul_lo_u32 v1, v243, v163
	v_cvt_f32_i32_e32 v1, v1
	v_cvt_f32_i32_e32 v0, v0
	v_mul_lo_u32 v4, v242, v153
	v_mul_lo_u32 v5, v8, v153
	v_cvt_f32_i32_e32 v5, v5
	v_cvt_f32_i32_e32 v4, v4
	v_pk_fma_f32 v[2:3], v[116:117], v[200:201], 0 op_sel_hi:[0,1,0]
	v_pk_fma_f32 v[0:1], v[0:1], v[198:199], 0 op_sel_hi:[1,1,0]
	;; [unrolled: 1-line block ×3, first 2 shown]
	v_pk_fma_f32 v[0:1], v[4:5], v[194:195], v[0:1]
	v_pk_mul_f32 v[2:3], v[2:3], v[112:113]
	v_pk_fma_f32 v[246:247], v[246:247], v[198:199], 0 op_sel_hi:[1,1,0]
	v_pk_fma_f32 v[0:1], v[0:1], v[110:111], v[2:3] neg_lo:[0,0,1] neg_hi:[0,0,1]
	v_pk_fma_f32 v[248:249], v[140:141], v[200:201], 0 op_sel_hi:[0,1,0]
	v_pk_add_f32 v[24:25], v[24:25], v[0:1]
	v_or_b32_e32 v0, s1, v210
	v_lshlrev_b32_e32 v1, 2, v0
	v_lshrrev_b32_e32 v199, 1, v0
	ds_read_b128 v[12:15], v1 offset:33280
	ds_read_b128 v[8:11], v1 offset:33296
	;; [unrolled: 1-line block ×4, first 2 shown]
	v_pk_fma_f32 v[244:245], v[244:245], v[194:195], v[246:247]
	v_pk_fma_f32 v[246:247], v[164:165], v[196:197], v[248:249] op_sel_hi:[0,1,1]
	v_mov_b32_e32 v201, 0
	v_mov_b32_e32 v241, 0
	;; [unrolled: 1-line block ×8, first 2 shown]
	s_waitcnt lgkmcnt(3)
	v_dot4c_i32_i8_e32 v201, v178, v12
	s_waitcnt lgkmcnt(1)
	v_dot4c_i32_i8_e32 v241, v160, v4
	v_dot4c_i32_i8_e32 v198, v134, v12
	;; [unrolled: 1-line block ×32, first 2 shown]
	s_waitcnt lgkmcnt(0)
	v_dot4c_i32_i8_e32 v241, v190, v0
	v_dot4c_i32_i8_e32 v198, v148, v8
	;; [unrolled: 1-line block ×15, first 2 shown]
	v_or_b32_e32 v0, s1, v211
	v_dot4c_i32_i8_e32 v201, v184, v10
	v_dot4c_i32_i8_e32 v241, v192, v2
	;; [unrolled: 1-line block ×8, first 2 shown]
	v_lshlrev_b32_e32 v1, 2, v0
	v_dot4c_i32_i8_e32 v201, v185, v11
	v_dot4c_i32_i8_e32 v241, v193, v3
	;; [unrolled: 1-line block ×8, first 2 shown]
	v_lshrrev_b32_e32 v242, 1, v0
	ds_read_b128 v[12:15], v1 offset:33280
	ds_read_b128 v[8:11], v1 offset:33296
	;; [unrolled: 1-line block ×4, first 2 shown]
	v_mov_b32_e32 v243, 0
	s_waitcnt lgkmcnt(3)
	v_dot4c_i32_i8_e32 v243, v178, v12
	v_dot4c_i32_i8_e32 v243, v179, v13
	;; [unrolled: 1-line block ×3, first 2 shown]
	v_pk_mul_f32 v[246:247], v[246:247], v[108:109]
	v_dot4c_i32_i8_e32 v243, v181, v15
	v_pk_fma_f32 v[244:245], v[244:245], v[106:107], v[246:247] neg_lo:[0,0,1] neg_hi:[0,0,1]
	s_waitcnt lgkmcnt(2)
	v_dot4c_i32_i8_e32 v243, v182, v8
	v_pk_add_f32 v[26:27], v[26:27], v[244:245]
	v_dot4c_i32_i8_e32 v243, v183, v9
	v_mov_b32_e32 v244, 0
	v_dot4c_i32_i8_e32 v243, v184, v10
	s_waitcnt lgkmcnt(1)
	v_dot4c_i32_i8_e32 v244, v160, v4
	v_dot4c_i32_i8_e32 v243, v185, v11
	;; [unrolled: 1-line block ×3, first 2 shown]
	ds_read_b64 v[184:185], v199 offset:43584
	ds_read_b64 v[160:161], v242 offset:43584
	v_dot4c_i32_i8_e32 v244, v188, v6
	v_dot4c_i32_i8_e32 v244, v189, v7
	s_waitcnt lgkmcnt(2)
	v_dot4c_i32_i8_e32 v244, v190, v0
	s_waitcnt lgkmcnt(1)
	v_cvt_f32_f16_sdwa v180, v184 dst_sel:DWORD dst_unused:UNUSED_PAD src0_sel:WORD_1
	s_waitcnt lgkmcnt(0)
	v_cvt_f32_f16_sdwa v181, v160 dst_sel:DWORD dst_unused:UNUSED_PAD src0_sel:WORD_1
	v_dot4c_i32_i8_e32 v244, v191, v1
	v_dot4c_i32_i8_e32 v244, v192, v2
	;; [unrolled: 1-line block ×3, first 2 shown]
	v_pk_fma_f32 v[188:189], v[152:153], v[180:181], 0 op_sel_hi:[0,1,0]
	v_mul_lo_u32 v152, v241, v240
	v_cvt_f32_f16_e32 v183, v160
	v_mul_lo_u32 v190, v244, v240
	v_cvt_f32_i32_e32 v191, v190
	v_cvt_f32_i32_e32 v190, v152
	v_mov_b32_e32 v152, 0
	v_dot4c_i32_i8_e32 v152, v134, v12
	v_dot4c_i32_i8_e32 v152, v135, v13
	;; [unrolled: 1-line block ×3, first 2 shown]
	v_mov_b32_e32 v146, 0
	v_dot4c_i32_i8_e32 v146, v142, v4
	v_dot4c_i32_i8_e32 v146, v143, v5
	;; [unrolled: 1-line block ×13, first 2 shown]
	v_mul_lo_u32 v134, v198, v165
	v_mul_lo_u32 v135, v152, v165
	v_cvt_f32_f16_e32 v182, v184
	v_cvt_f32_f16_e32 v179, v161
	v_cvt_f32_f16_sdwa v161, v161 dst_sel:DWORD dst_unused:UNUSED_PAD src0_sel:WORD_1
	v_cvt_f32_f16_sdwa v160, v185 dst_sel:DWORD dst_unused:UNUSED_PAD src0_sel:WORD_1
	v_cvt_f32_i32_e32 v135, v135
	v_cvt_f32_i32_e32 v134, v134
	v_pk_fma_f32 v[142:143], v[138:139], v[180:181], 0 op_sel_hi:[0,1,0]
	v_mul_lo_u32 v138, v200, v238
	v_mul_lo_u32 v146, v146, v238
	v_cvt_f32_f16_e32 v178, v185
	v_cvt_f32_i32_e32 v147, v146
	v_cvt_f32_i32_e32 v146, v138
	v_pk_fma_f32 v[134:135], v[134:135], v[182:183], 0 op_sel_hi:[1,1,0]
	v_pk_fma_f32 v[142:143], v[162:163], v[160:161], v[142:143] op_sel_hi:[0,1,1]
	v_pk_mul_f32 v[142:143], v[142:143], v[104:105]
	v_pk_fma_f32 v[134:135], v[146:147], v[178:179], v[134:135]
	v_mov_b32_e32 v138, 0
	v_pk_fma_f32 v[134:135], v[134:135], v[102:103], v[142:143] neg_lo:[0,0,1] neg_hi:[0,0,1]
	v_dot4c_i32_i8_e32 v138, v144, v4
	v_pk_add_f32 v[20:21], v[20:21], v[134:135]
	v_mov_b32_e32 v134, 0
	v_dot4c_i32_i8_e32 v134, v136, v12
	v_dot4c_i32_i8_e32 v134, v137, v13
	;; [unrolled: 1-line block ×15, first 2 shown]
	v_mul_lo_u32 v136, v196, v187
	v_mul_lo_u32 v134, v134, v187
	v_cvt_f32_i32_e32 v135, v134
	v_cvt_f32_i32_e32 v134, v136
	v_pk_fma_f32 v[136:137], v[140:141], v[180:181], 0 op_sel_hi:[0,1,0]
	v_mul_lo_u32 v140, v197, v239
	v_mul_lo_u32 v138, v138, v239
	v_cvt_f32_i32_e32 v143, v138
	v_cvt_f32_i32_e32 v142, v140
	v_pk_fma_f32 v[134:135], v[134:135], v[182:183], 0 op_sel_hi:[1,1,0]
	v_pk_fma_f32 v[136:137], v[164:165], v[160:161], v[136:137] op_sel_hi:[0,1,1]
	v_pk_mul_f32 v[136:137], v[136:137], v[108:109]
	v_pk_fma_f32 v[134:135], v[142:143], v[178:179], v[134:135]
	v_mul_lo_u32 v184, v201, v237
	v_pk_fma_f32 v[134:135], v[134:135], v[106:107], v[136:137] neg_lo:[0,0,1] neg_hi:[0,0,1]
	v_mul_lo_u32 v185, v243, v237
	v_pk_add_f32 v[18:19], v[18:19], v[134:135]
	v_mov_b32_e32 v134, 0
	v_dot4c_i32_i8_e32 v134, v126, v12
	v_dot4c_i32_i8_e32 v134, v127, v13
	;; [unrolled: 1-line block ×5, first 2 shown]
	v_mov_b32_e32 v8, 0
	v_dot4c_i32_i8_e32 v8, v124, v4
	v_dot4c_i32_i8_e32 v8, v125, v5
	;; [unrolled: 1-line block ×11, first 2 shown]
	v_mul_lo_u32 v0, v195, v163
	v_mul_lo_u32 v1, v134, v163
	v_cvt_f32_i32_e32 v185, v185
	v_cvt_f32_i32_e32 v184, v184
	;; [unrolled: 1-line block ×4, first 2 shown]
	v_mul_lo_u32 v4, v194, v153
	v_mul_lo_u32 v5, v8, v153
	v_cvt_f32_i32_e32 v5, v5
	v_cvt_f32_i32_e32 v4, v4
	v_pk_fma_f32 v[2:3], v[116:117], v[180:181], 0 op_sel_hi:[0,1,0]
	v_pk_fma_f32 v[184:185], v[184:185], v[182:183], 0 op_sel_hi:[1,1,0]
	;; [unrolled: 1-line block ×5, first 2 shown]
	v_pk_fma_f32 v[184:185], v[190:191], v[178:179], v[184:185]
	v_pk_mul_f32 v[188:189], v[188:189], v[100:101]
	v_pk_fma_f32 v[0:1], v[4:5], v[178:179], v[0:1]
	v_pk_mul_f32 v[2:3], v[2:3], v[112:113]
	v_pk_fma_f32 v[184:185], v[184:185], v[98:99], v[188:189] neg_lo:[0,0,1] neg_hi:[0,0,1]
	v_pk_fma_f32 v[0:1], v[0:1], v[110:111], v[2:3] neg_lo:[0,0,1] neg_hi:[0,0,1]
	s_add_i32 s1, s0, 8
	v_pk_add_f32 v[22:23], v[22:23], v[184:185]
	v_pk_add_f32 v[16:17], v[16:17], v[0:1]
	s_cmp_lt_u32 s0, 24
	s_mov_b32 s0, s1
	s_cbranch_scc1 .LBB173_8
; %bb.9:                                ;   in Loop: Header=BB173_5 Depth=1
	s_add_i32 s14, s14, 1
	s_cmp_eq_u32 s14, s4
	s_barrier
	s_cbranch_scc0 .LBB173_5
; %bb.10:
	v_mov_b32_e32 v1, v55
.LBB173_11:
	v_cmp_gt_u32_e32 vcc, s8, v57
	s_and_saveexec_b64 s[0:1], vcc
	s_cbranch_execz .LBB173_62
; %bb.12:
	v_add_u32_e32 v0, s6, v49
	v_mul_lo_u32 v5, v57, s10
	v_cmp_gt_u32_e64 s[0:1], s10, v0
	s_and_saveexec_b64 s[2:3], s[0:1]
	s_cbranch_execz .LBB173_14
; %bb.13:
	v_bfe_u32 v2, v44, 16, 1
	s_movk_i32 s4, 0x7fff
	v_add3_u32 v2, v44, v2, s4
	v_cmp_o_f32_e32 vcc, v44, v44
	v_mov_b32_e32 v3, 0x7fc0
	s_nop 0
	v_cndmask_b32_sdwa v4, v3, v2, vcc dst_sel:DWORD dst_unused:UNUSED_PAD src0_sel:DWORD src1_sel:WORD_1
	v_add_u32_e32 v2, v0, v5
	v_mov_b32_e32 v3, 0
	s_waitcnt lgkmcnt(0)
	v_lshl_add_u64 v[2:3], v[2:3], 1, s[12:13]
	global_store_short v[2:3], v4, off
.LBB173_14:
	s_or_b64 exec, exec, s[2:3]
	v_add_u32_e32 v2, 32, v0
	v_cmp_gt_u32_e64 s[2:3], s10, v2
	s_and_saveexec_b64 s[4:5], s[2:3]
	s_cbranch_execz .LBB173_16
; %bb.15:
	v_bfe_u32 v3, v46, 16, 1
	s_movk_i32 s6, 0x7fff
	v_add3_u32 v3, v46, v3, s6
	v_cmp_o_f32_e32 vcc, v46, v46
	v_mov_b32_e32 v4, 0x7fc0
	v_add_u32_e32 v6, v2, v5
	v_mov_b32_e32 v7, 0
	v_cndmask_b32_sdwa v3, v4, v3, vcc dst_sel:DWORD dst_unused:UNUSED_PAD src0_sel:DWORD src1_sel:WORD_1
	s_waitcnt lgkmcnt(0)
	v_lshl_add_u64 v[6:7], v[6:7], 1, s[12:13]
	global_store_short v[6:7], v3, off
.LBB173_16:
	s_or_b64 exec, exec, s[4:5]
	v_add_u32_e32 v3, 64, v0
	v_cmp_gt_u32_e64 s[4:5], s10, v3
	s_and_saveexec_b64 s[6:7], s[4:5]
	s_cbranch_execz .LBB173_18
; %bb.17:
	v_bfe_u32 v4, v42, 16, 1
	s_movk_i32 s9, 0x7fff
	v_add3_u32 v4, v42, v4, s9
	v_cmp_o_f32_e32 vcc, v42, v42
	v_mov_b32_e32 v6, 0x7fc0
	v_mov_b32_e32 v7, 0
	v_cndmask_b32_sdwa v4, v6, v4, vcc dst_sel:DWORD dst_unused:UNUSED_PAD src0_sel:DWORD src1_sel:WORD_1
	v_add_u32_e32 v6, v3, v5
	s_waitcnt lgkmcnt(0)
	v_lshl_add_u64 v[6:7], v[6:7], 1, s[12:13]
	global_store_short v[6:7], v4, off
.LBB173_18:
	s_or_b64 exec, exec, s[6:7]
	v_add_u32_e32 v4, 0x60, v0
	v_cmp_gt_u32_e64 s[6:7], s10, v4
	s_and_saveexec_b64 s[14:15], s[6:7]
	s_cbranch_execz .LBB173_20
; %bb.19:
	v_bfe_u32 v6, v40, 16, 1
	s_movk_i32 s9, 0x7fff
	v_add3_u32 v6, v40, v6, s9
	v_cmp_o_f32_e32 vcc, v40, v40
	v_mov_b32_e32 v7, 0x7fc0
	s_nop 0
	v_cndmask_b32_sdwa v8, v7, v6, vcc dst_sel:DWORD dst_unused:UNUSED_PAD src0_sel:DWORD src1_sel:WORD_1
	v_add_u32_e32 v6, v4, v5
	v_mov_b32_e32 v7, 0
	s_waitcnt lgkmcnt(0)
	v_lshl_add_u64 v[6:7], v[6:7], 1, s[12:13]
	global_store_short v[6:7], v8, off
.LBB173_20:
	s_or_b64 exec, exec, s[14:15]
	v_add3_u32 v5, v1, s11, 8
	v_cmp_gt_u32_e32 vcc, s8, v5
	s_and_b64 exec, exec, vcc
	s_cbranch_execz .LBB173_62
; %bb.21:
	v_mul_lo_u32 v5, v5, s10
	s_and_saveexec_b64 s[14:15], s[0:1]
	s_cbranch_execnz .LBB173_63
; %bb.22:
	s_or_b64 exec, exec, s[14:15]
	s_and_saveexec_b64 s[14:15], s[2:3]
	s_cbranch_execnz .LBB173_64
.LBB173_23:
	s_or_b64 exec, exec, s[14:15]
	s_and_saveexec_b64 s[14:15], s[4:5]
	s_cbranch_execnz .LBB173_65
.LBB173_24:
	s_or_b64 exec, exec, s[14:15]
	s_and_saveexec_b64 s[14:15], s[6:7]
	s_cbranch_execz .LBB173_26
.LBB173_25:
	v_bfe_u32 v6, v41, 16, 1
	s_movk_i32 s9, 0x7fff
	v_add3_u32 v6, v41, v6, s9
	v_cmp_o_f32_e32 vcc, v41, v41
	v_mov_b32_e32 v7, 0x7fc0
	s_nop 0
	v_cndmask_b32_sdwa v8, v7, v6, vcc dst_sel:DWORD dst_unused:UNUSED_PAD src0_sel:DWORD src1_sel:WORD_1
	v_add_u32_e32 v6, v5, v4
	v_mov_b32_e32 v7, 0
	s_waitcnt lgkmcnt(0)
	v_lshl_add_u64 v[6:7], v[6:7], 1, s[12:13]
	global_store_short v[6:7], v8, off
.LBB173_26:
	s_or_b64 exec, exec, s[14:15]
	v_add3_u32 v5, v1, s11, 16
	v_cmp_gt_u32_e32 vcc, s8, v5
	s_and_b64 exec, exec, vcc
	s_cbranch_execz .LBB173_62
; %bb.27:
	v_mul_lo_u32 v5, v5, s10
	s_and_saveexec_b64 s[14:15], s[0:1]
	s_cbranch_execnz .LBB173_66
; %bb.28:
	s_or_b64 exec, exec, s[14:15]
	s_and_saveexec_b64 s[14:15], s[2:3]
	s_cbranch_execnz .LBB173_67
.LBB173_29:
	s_or_b64 exec, exec, s[14:15]
	s_and_saveexec_b64 s[14:15], s[4:5]
	s_cbranch_execnz .LBB173_68
.LBB173_30:
	s_or_b64 exec, exec, s[14:15]
	s_and_saveexec_b64 s[14:15], s[6:7]
	s_cbranch_execz .LBB173_32
.LBB173_31:
	v_bfe_u32 v6, v32, 16, 1
	s_movk_i32 s9, 0x7fff
	v_add3_u32 v6, v32, v6, s9
	v_cmp_o_f32_e32 vcc, v32, v32
	v_mov_b32_e32 v7, 0x7fc0
	s_nop 0
	v_cndmask_b32_sdwa v8, v7, v6, vcc dst_sel:DWORD dst_unused:UNUSED_PAD src0_sel:DWORD src1_sel:WORD_1
	v_add_u32_e32 v6, v5, v4
	v_mov_b32_e32 v7, 0
	s_waitcnt lgkmcnt(0)
	v_lshl_add_u64 v[6:7], v[6:7], 1, s[12:13]
	global_store_short v[6:7], v8, off
.LBB173_32:
	s_or_b64 exec, exec, s[14:15]
	v_add3_u32 v5, v1, s11, 24
	v_cmp_gt_u32_e32 vcc, s8, v5
	s_and_b64 exec, exec, vcc
	s_cbranch_execz .LBB173_62
; %bb.33:
	v_mul_lo_u32 v5, v5, s10
	s_and_saveexec_b64 s[14:15], s[0:1]
	s_cbranch_execnz .LBB173_69
; %bb.34:
	s_or_b64 exec, exec, s[14:15]
	s_and_saveexec_b64 s[14:15], s[2:3]
	s_cbranch_execnz .LBB173_70
.LBB173_35:
	s_or_b64 exec, exec, s[14:15]
	s_and_saveexec_b64 s[14:15], s[4:5]
	s_cbranch_execnz .LBB173_71
.LBB173_36:
	s_or_b64 exec, exec, s[14:15]
	s_and_saveexec_b64 s[14:15], s[6:7]
	s_cbranch_execz .LBB173_38
.LBB173_37:
	v_bfe_u32 v6, v33, 16, 1
	s_movk_i32 s9, 0x7fff
	v_add3_u32 v6, v33, v6, s9
	v_cmp_o_f32_e32 vcc, v33, v33
	v_mov_b32_e32 v7, 0x7fc0
	s_nop 0
	v_cndmask_b32_sdwa v8, v7, v6, vcc dst_sel:DWORD dst_unused:UNUSED_PAD src0_sel:DWORD src1_sel:WORD_1
	v_add_u32_e32 v6, v5, v4
	v_mov_b32_e32 v7, 0
	s_waitcnt lgkmcnt(0)
	v_lshl_add_u64 v[6:7], v[6:7], 1, s[12:13]
	global_store_short v[6:7], v8, off
.LBB173_38:
	s_or_b64 exec, exec, s[14:15]
	v_add3_u32 v5, v1, s11, 32
	v_cmp_gt_u32_e32 vcc, s8, v5
	s_and_b64 exec, exec, vcc
	s_cbranch_execz .LBB173_62
; %bb.39:
	v_mul_lo_u32 v5, v5, s10
	s_and_saveexec_b64 s[14:15], s[0:1]
	s_cbranch_execnz .LBB173_72
; %bb.40:
	s_or_b64 exec, exec, s[14:15]
	s_and_saveexec_b64 s[14:15], s[2:3]
	s_cbranch_execnz .LBB173_73
.LBB173_41:
	s_or_b64 exec, exec, s[14:15]
	s_and_saveexec_b64 s[14:15], s[4:5]
	s_cbranch_execnz .LBB173_74
.LBB173_42:
	s_or_b64 exec, exec, s[14:15]
	s_and_saveexec_b64 s[14:15], s[6:7]
	s_cbranch_execz .LBB173_44
.LBB173_43:
	v_bfe_u32 v6, v24, 16, 1
	s_movk_i32 s9, 0x7fff
	v_add3_u32 v6, v24, v6, s9
	v_cmp_o_f32_e32 vcc, v24, v24
	v_mov_b32_e32 v7, 0x7fc0
	s_nop 0
	v_cndmask_b32_sdwa v8, v7, v6, vcc dst_sel:DWORD dst_unused:UNUSED_PAD src0_sel:DWORD src1_sel:WORD_1
	v_add_u32_e32 v6, v5, v4
	v_mov_b32_e32 v7, 0
	s_waitcnt lgkmcnt(0)
	v_lshl_add_u64 v[6:7], v[6:7], 1, s[12:13]
	global_store_short v[6:7], v8, off
.LBB173_44:
	s_or_b64 exec, exec, s[14:15]
	v_add3_u32 v5, v1, s11, 40
	v_cmp_gt_u32_e32 vcc, s8, v5
	s_and_b64 exec, exec, vcc
	s_cbranch_execz .LBB173_62
; %bb.45:
	v_mul_lo_u32 v5, v5, s10
	s_and_saveexec_b64 s[14:15], s[0:1]
	s_cbranch_execnz .LBB173_75
; %bb.46:
	s_or_b64 exec, exec, s[14:15]
	s_and_saveexec_b64 s[14:15], s[2:3]
	s_cbranch_execnz .LBB173_76
.LBB173_47:
	s_or_b64 exec, exec, s[14:15]
	s_and_saveexec_b64 s[14:15], s[4:5]
	s_cbranch_execnz .LBB173_77
.LBB173_48:
	s_or_b64 exec, exec, s[14:15]
	s_and_saveexec_b64 s[14:15], s[6:7]
	s_cbranch_execz .LBB173_50
.LBB173_49:
	v_bfe_u32 v6, v25, 16, 1
	s_movk_i32 s9, 0x7fff
	v_add3_u32 v6, v25, v6, s9
	v_cmp_o_f32_e32 vcc, v25, v25
	v_mov_b32_e32 v7, 0x7fc0
	s_nop 0
	v_cndmask_b32_sdwa v8, v7, v6, vcc dst_sel:DWORD dst_unused:UNUSED_PAD src0_sel:DWORD src1_sel:WORD_1
	v_add_u32_e32 v6, v5, v4
	v_mov_b32_e32 v7, 0
	s_waitcnt lgkmcnt(0)
	v_lshl_add_u64 v[6:7], v[6:7], 1, s[12:13]
	global_store_short v[6:7], v8, off
.LBB173_50:
	s_or_b64 exec, exec, s[14:15]
	v_add3_u32 v5, v1, s11, 48
	v_cmp_gt_u32_e32 vcc, s8, v5
	s_and_b64 exec, exec, vcc
	s_cbranch_execz .LBB173_62
; %bb.51:
	v_mul_lo_u32 v5, v5, s10
	s_and_saveexec_b64 s[14:15], s[0:1]
	s_cbranch_execnz .LBB173_78
; %bb.52:
	s_or_b64 exec, exec, s[14:15]
	s_and_saveexec_b64 s[14:15], s[2:3]
	s_cbranch_execnz .LBB173_79
.LBB173_53:
	s_or_b64 exec, exec, s[14:15]
	s_and_saveexec_b64 s[14:15], s[4:5]
	s_cbranch_execnz .LBB173_80
.LBB173_54:
	s_or_b64 exec, exec, s[14:15]
	s_and_saveexec_b64 s[14:15], s[6:7]
	s_cbranch_execz .LBB173_56
.LBB173_55:
	v_bfe_u32 v6, v16, 16, 1
	s_movk_i32 s9, 0x7fff
	v_add3_u32 v6, v16, v6, s9
	v_cmp_o_f32_e32 vcc, v16, v16
	v_mov_b32_e32 v7, 0x7fc0
	s_nop 0
	v_cndmask_b32_sdwa v8, v7, v6, vcc dst_sel:DWORD dst_unused:UNUSED_PAD src0_sel:DWORD src1_sel:WORD_1
	v_add_u32_e32 v6, v5, v4
	v_mov_b32_e32 v7, 0
	s_waitcnt lgkmcnt(0)
	v_lshl_add_u64 v[6:7], v[6:7], 1, s[12:13]
	global_store_short v[6:7], v8, off
.LBB173_56:
	s_or_b64 exec, exec, s[14:15]
	v_add3_u32 v1, v1, s11, 56
	v_cmp_gt_u32_e32 vcc, s8, v1
	s_and_b64 exec, exec, vcc
	s_cbranch_execz .LBB173_62
; %bb.57:
	v_mul_lo_u32 v1, v1, s10
	s_and_saveexec_b64 s[8:9], s[0:1]
	s_cbranch_execnz .LBB173_81
; %bb.58:
	s_or_b64 exec, exec, s[8:9]
	s_and_saveexec_b64 s[0:1], s[2:3]
	s_cbranch_execnz .LBB173_82
.LBB173_59:
	s_or_b64 exec, exec, s[0:1]
	s_and_saveexec_b64 s[0:1], s[4:5]
	s_cbranch_execnz .LBB173_83
.LBB173_60:
	s_or_b64 exec, exec, s[0:1]
	s_and_b64 exec, exec, s[6:7]
	s_cbranch_execz .LBB173_62
.LBB173_61:
	v_bfe_u32 v0, v17, 16, 1
	s_movk_i32 s0, 0x7fff
	v_add3_u32 v0, v17, v0, s0
	v_cmp_o_f32_e32 vcc, v17, v17
	v_mov_b32_e32 v2, 0x7fc0
	s_nop 0
	v_cndmask_b32_sdwa v2, v2, v0, vcc dst_sel:DWORD dst_unused:UNUSED_PAD src0_sel:DWORD src1_sel:WORD_1
	v_add_u32_e32 v0, v1, v4
	v_mov_b32_e32 v1, 0
	s_waitcnt lgkmcnt(0)
	v_lshl_add_u64 v[0:1], v[0:1], 1, s[12:13]
	global_store_short v[0:1], v2, off
.LBB173_62:
	s_endpgm
.LBB173_63:
	v_bfe_u32 v6, v45, 16, 1
	s_movk_i32 s9, 0x7fff
	v_add3_u32 v6, v45, v6, s9
	v_cmp_o_f32_e32 vcc, v45, v45
	v_mov_b32_e32 v7, 0x7fc0
	s_nop 0
	v_cndmask_b32_sdwa v8, v7, v6, vcc dst_sel:DWORD dst_unused:UNUSED_PAD src0_sel:DWORD src1_sel:WORD_1
	v_add_u32_e32 v6, v5, v0
	v_mov_b32_e32 v7, 0
	s_waitcnt lgkmcnt(0)
	v_lshl_add_u64 v[6:7], v[6:7], 1, s[12:13]
	global_store_short v[6:7], v8, off
	s_or_b64 exec, exec, s[14:15]
	s_and_saveexec_b64 s[14:15], s[2:3]
	s_cbranch_execz .LBB173_23
.LBB173_64:
	v_bfe_u32 v6, v47, 16, 1
	s_movk_i32 s9, 0x7fff
	v_add3_u32 v6, v47, v6, s9
	v_cmp_o_f32_e32 vcc, v47, v47
	v_mov_b32_e32 v7, 0x7fc0
	s_nop 0
	v_cndmask_b32_sdwa v8, v7, v6, vcc dst_sel:DWORD dst_unused:UNUSED_PAD src0_sel:DWORD src1_sel:WORD_1
	v_add_u32_e32 v6, v5, v2
	v_mov_b32_e32 v7, 0
	s_waitcnt lgkmcnt(0)
	v_lshl_add_u64 v[6:7], v[6:7], 1, s[12:13]
	global_store_short v[6:7], v8, off
	s_or_b64 exec, exec, s[14:15]
	s_and_saveexec_b64 s[14:15], s[4:5]
	s_cbranch_execz .LBB173_24
.LBB173_65:
	v_bfe_u32 v6, v43, 16, 1
	s_movk_i32 s9, 0x7fff
	v_add3_u32 v6, v43, v6, s9
	v_cmp_o_f32_e32 vcc, v43, v43
	v_mov_b32_e32 v7, 0x7fc0
	s_nop 0
	v_cndmask_b32_sdwa v8, v7, v6, vcc dst_sel:DWORD dst_unused:UNUSED_PAD src0_sel:DWORD src1_sel:WORD_1
	v_add_u32_e32 v6, v5, v3
	v_mov_b32_e32 v7, 0
	s_waitcnt lgkmcnt(0)
	v_lshl_add_u64 v[6:7], v[6:7], 1, s[12:13]
	global_store_short v[6:7], v8, off
	s_or_b64 exec, exec, s[14:15]
	s_and_saveexec_b64 s[14:15], s[6:7]
	s_cbranch_execnz .LBB173_25
	s_branch .LBB173_26
.LBB173_66:
	v_bfe_u32 v6, v38, 16, 1
	s_movk_i32 s9, 0x7fff
	v_add3_u32 v6, v38, v6, s9
	v_cmp_o_f32_e32 vcc, v38, v38
	v_mov_b32_e32 v7, 0x7fc0
	s_nop 0
	v_cndmask_b32_sdwa v8, v7, v6, vcc dst_sel:DWORD dst_unused:UNUSED_PAD src0_sel:DWORD src1_sel:WORD_1
	v_add_u32_e32 v6, v5, v0
	v_mov_b32_e32 v7, 0
	s_waitcnt lgkmcnt(0)
	v_lshl_add_u64 v[6:7], v[6:7], 1, s[12:13]
	global_store_short v[6:7], v8, off
	s_or_b64 exec, exec, s[14:15]
	s_and_saveexec_b64 s[14:15], s[2:3]
	s_cbranch_execz .LBB173_29
.LBB173_67:
	v_bfe_u32 v6, v36, 16, 1
	s_movk_i32 s9, 0x7fff
	v_add3_u32 v6, v36, v6, s9
	v_cmp_o_f32_e32 vcc, v36, v36
	v_mov_b32_e32 v7, 0x7fc0
	s_nop 0
	v_cndmask_b32_sdwa v8, v7, v6, vcc dst_sel:DWORD dst_unused:UNUSED_PAD src0_sel:DWORD src1_sel:WORD_1
	v_add_u32_e32 v6, v5, v2
	v_mov_b32_e32 v7, 0
	s_waitcnt lgkmcnt(0)
	v_lshl_add_u64 v[6:7], v[6:7], 1, s[12:13]
	global_store_short v[6:7], v8, off
	s_or_b64 exec, exec, s[14:15]
	s_and_saveexec_b64 s[14:15], s[4:5]
	s_cbranch_execz .LBB173_30
.LBB173_68:
	v_bfe_u32 v6, v34, 16, 1
	s_movk_i32 s9, 0x7fff
	v_add3_u32 v6, v34, v6, s9
	v_cmp_o_f32_e32 vcc, v34, v34
	v_mov_b32_e32 v7, 0x7fc0
	s_nop 0
	v_cndmask_b32_sdwa v8, v7, v6, vcc dst_sel:DWORD dst_unused:UNUSED_PAD src0_sel:DWORD src1_sel:WORD_1
	v_add_u32_e32 v6, v5, v3
	v_mov_b32_e32 v7, 0
	s_waitcnt lgkmcnt(0)
	v_lshl_add_u64 v[6:7], v[6:7], 1, s[12:13]
	global_store_short v[6:7], v8, off
	s_or_b64 exec, exec, s[14:15]
	s_and_saveexec_b64 s[14:15], s[6:7]
	s_cbranch_execnz .LBB173_31
	s_branch .LBB173_32
.LBB173_69:
	v_bfe_u32 v6, v39, 16, 1
	s_movk_i32 s9, 0x7fff
	v_add3_u32 v6, v39, v6, s9
	v_cmp_o_f32_e32 vcc, v39, v39
	v_mov_b32_e32 v7, 0x7fc0
	s_nop 0
	v_cndmask_b32_sdwa v8, v7, v6, vcc dst_sel:DWORD dst_unused:UNUSED_PAD src0_sel:DWORD src1_sel:WORD_1
	v_add_u32_e32 v6, v5, v0
	v_mov_b32_e32 v7, 0
	s_waitcnt lgkmcnt(0)
	v_lshl_add_u64 v[6:7], v[6:7], 1, s[12:13]
	global_store_short v[6:7], v8, off
	s_or_b64 exec, exec, s[14:15]
	s_and_saveexec_b64 s[14:15], s[2:3]
	s_cbranch_execz .LBB173_35
.LBB173_70:
	v_bfe_u32 v6, v37, 16, 1
	s_movk_i32 s9, 0x7fff
	v_add3_u32 v6, v37, v6, s9
	v_cmp_o_f32_e32 vcc, v37, v37
	v_mov_b32_e32 v7, 0x7fc0
	s_nop 0
	v_cndmask_b32_sdwa v8, v7, v6, vcc dst_sel:DWORD dst_unused:UNUSED_PAD src0_sel:DWORD src1_sel:WORD_1
	v_add_u32_e32 v6, v5, v2
	v_mov_b32_e32 v7, 0
	s_waitcnt lgkmcnt(0)
	v_lshl_add_u64 v[6:7], v[6:7], 1, s[12:13]
	global_store_short v[6:7], v8, off
	s_or_b64 exec, exec, s[14:15]
	s_and_saveexec_b64 s[14:15], s[4:5]
	s_cbranch_execz .LBB173_36
.LBB173_71:
	v_bfe_u32 v6, v35, 16, 1
	s_movk_i32 s9, 0x7fff
	v_add3_u32 v6, v35, v6, s9
	v_cmp_o_f32_e32 vcc, v35, v35
	v_mov_b32_e32 v7, 0x7fc0
	s_nop 0
	v_cndmask_b32_sdwa v8, v7, v6, vcc dst_sel:DWORD dst_unused:UNUSED_PAD src0_sel:DWORD src1_sel:WORD_1
	v_add_u32_e32 v6, v5, v3
	v_mov_b32_e32 v7, 0
	s_waitcnt lgkmcnt(0)
	v_lshl_add_u64 v[6:7], v[6:7], 1, s[12:13]
	global_store_short v[6:7], v8, off
	s_or_b64 exec, exec, s[14:15]
	s_and_saveexec_b64 s[14:15], s[6:7]
	s_cbranch_execnz .LBB173_37
	s_branch .LBB173_38
.LBB173_72:
	v_bfe_u32 v6, v30, 16, 1
	s_movk_i32 s9, 0x7fff
	v_add3_u32 v6, v30, v6, s9
	v_cmp_o_f32_e32 vcc, v30, v30
	v_mov_b32_e32 v7, 0x7fc0
	s_nop 0
	v_cndmask_b32_sdwa v8, v7, v6, vcc dst_sel:DWORD dst_unused:UNUSED_PAD src0_sel:DWORD src1_sel:WORD_1
	v_add_u32_e32 v6, v5, v0
	v_mov_b32_e32 v7, 0
	s_waitcnt lgkmcnt(0)
	v_lshl_add_u64 v[6:7], v[6:7], 1, s[12:13]
	global_store_short v[6:7], v8, off
	s_or_b64 exec, exec, s[14:15]
	s_and_saveexec_b64 s[14:15], s[2:3]
	s_cbranch_execz .LBB173_41
.LBB173_73:
	v_bfe_u32 v6, v28, 16, 1
	s_movk_i32 s9, 0x7fff
	v_add3_u32 v6, v28, v6, s9
	v_cmp_o_f32_e32 vcc, v28, v28
	v_mov_b32_e32 v7, 0x7fc0
	s_nop 0
	v_cndmask_b32_sdwa v8, v7, v6, vcc dst_sel:DWORD dst_unused:UNUSED_PAD src0_sel:DWORD src1_sel:WORD_1
	v_add_u32_e32 v6, v5, v2
	v_mov_b32_e32 v7, 0
	s_waitcnt lgkmcnt(0)
	v_lshl_add_u64 v[6:7], v[6:7], 1, s[12:13]
	global_store_short v[6:7], v8, off
	s_or_b64 exec, exec, s[14:15]
	s_and_saveexec_b64 s[14:15], s[4:5]
	s_cbranch_execz .LBB173_42
.LBB173_74:
	v_bfe_u32 v6, v26, 16, 1
	s_movk_i32 s9, 0x7fff
	v_add3_u32 v6, v26, v6, s9
	v_cmp_o_f32_e32 vcc, v26, v26
	v_mov_b32_e32 v7, 0x7fc0
	s_nop 0
	v_cndmask_b32_sdwa v8, v7, v6, vcc dst_sel:DWORD dst_unused:UNUSED_PAD src0_sel:DWORD src1_sel:WORD_1
	v_add_u32_e32 v6, v5, v3
	v_mov_b32_e32 v7, 0
	s_waitcnt lgkmcnt(0)
	v_lshl_add_u64 v[6:7], v[6:7], 1, s[12:13]
	global_store_short v[6:7], v8, off
	s_or_b64 exec, exec, s[14:15]
	s_and_saveexec_b64 s[14:15], s[6:7]
	s_cbranch_execnz .LBB173_43
	s_branch .LBB173_44
.LBB173_75:
	v_bfe_u32 v6, v31, 16, 1
	s_movk_i32 s9, 0x7fff
	v_add3_u32 v6, v31, v6, s9
	v_cmp_o_f32_e32 vcc, v31, v31
	v_mov_b32_e32 v7, 0x7fc0
	s_nop 0
	v_cndmask_b32_sdwa v8, v7, v6, vcc dst_sel:DWORD dst_unused:UNUSED_PAD src0_sel:DWORD src1_sel:WORD_1
	v_add_u32_e32 v6, v5, v0
	v_mov_b32_e32 v7, 0
	s_waitcnt lgkmcnt(0)
	v_lshl_add_u64 v[6:7], v[6:7], 1, s[12:13]
	global_store_short v[6:7], v8, off
	s_or_b64 exec, exec, s[14:15]
	s_and_saveexec_b64 s[14:15], s[2:3]
	s_cbranch_execz .LBB173_47
.LBB173_76:
	v_bfe_u32 v6, v29, 16, 1
	s_movk_i32 s9, 0x7fff
	v_add3_u32 v6, v29, v6, s9
	v_cmp_o_f32_e32 vcc, v29, v29
	v_mov_b32_e32 v7, 0x7fc0
	s_nop 0
	v_cndmask_b32_sdwa v8, v7, v6, vcc dst_sel:DWORD dst_unused:UNUSED_PAD src0_sel:DWORD src1_sel:WORD_1
	v_add_u32_e32 v6, v5, v2
	v_mov_b32_e32 v7, 0
	s_waitcnt lgkmcnt(0)
	v_lshl_add_u64 v[6:7], v[6:7], 1, s[12:13]
	global_store_short v[6:7], v8, off
	s_or_b64 exec, exec, s[14:15]
	s_and_saveexec_b64 s[14:15], s[4:5]
	s_cbranch_execz .LBB173_48
.LBB173_77:
	v_bfe_u32 v6, v27, 16, 1
	s_movk_i32 s9, 0x7fff
	v_add3_u32 v6, v27, v6, s9
	v_cmp_o_f32_e32 vcc, v27, v27
	v_mov_b32_e32 v7, 0x7fc0
	s_nop 0
	v_cndmask_b32_sdwa v8, v7, v6, vcc dst_sel:DWORD dst_unused:UNUSED_PAD src0_sel:DWORD src1_sel:WORD_1
	v_add_u32_e32 v6, v5, v3
	v_mov_b32_e32 v7, 0
	s_waitcnt lgkmcnt(0)
	v_lshl_add_u64 v[6:7], v[6:7], 1, s[12:13]
	global_store_short v[6:7], v8, off
	s_or_b64 exec, exec, s[14:15]
	s_and_saveexec_b64 s[14:15], s[6:7]
	s_cbranch_execnz .LBB173_49
	s_branch .LBB173_50
.LBB173_78:
	v_bfe_u32 v6, v22, 16, 1
	s_movk_i32 s9, 0x7fff
	v_add3_u32 v6, v22, v6, s9
	v_cmp_o_f32_e32 vcc, v22, v22
	v_mov_b32_e32 v7, 0x7fc0
	s_nop 0
	v_cndmask_b32_sdwa v8, v7, v6, vcc dst_sel:DWORD dst_unused:UNUSED_PAD src0_sel:DWORD src1_sel:WORD_1
	v_add_u32_e32 v6, v5, v0
	v_mov_b32_e32 v7, 0
	s_waitcnt lgkmcnt(0)
	v_lshl_add_u64 v[6:7], v[6:7], 1, s[12:13]
	global_store_short v[6:7], v8, off
	s_or_b64 exec, exec, s[14:15]
	s_and_saveexec_b64 s[14:15], s[2:3]
	s_cbranch_execz .LBB173_53
.LBB173_79:
	v_bfe_u32 v6, v20, 16, 1
	s_movk_i32 s9, 0x7fff
	v_add3_u32 v6, v20, v6, s9
	v_cmp_o_f32_e32 vcc, v20, v20
	v_mov_b32_e32 v7, 0x7fc0
	s_nop 0
	v_cndmask_b32_sdwa v8, v7, v6, vcc dst_sel:DWORD dst_unused:UNUSED_PAD src0_sel:DWORD src1_sel:WORD_1
	v_add_u32_e32 v6, v5, v2
	v_mov_b32_e32 v7, 0
	s_waitcnt lgkmcnt(0)
	v_lshl_add_u64 v[6:7], v[6:7], 1, s[12:13]
	global_store_short v[6:7], v8, off
	s_or_b64 exec, exec, s[14:15]
	s_and_saveexec_b64 s[14:15], s[4:5]
	s_cbranch_execz .LBB173_54
.LBB173_80:
	v_bfe_u32 v6, v18, 16, 1
	s_movk_i32 s9, 0x7fff
	v_add3_u32 v6, v18, v6, s9
	v_cmp_o_f32_e32 vcc, v18, v18
	v_mov_b32_e32 v7, 0x7fc0
	s_nop 0
	v_cndmask_b32_sdwa v8, v7, v6, vcc dst_sel:DWORD dst_unused:UNUSED_PAD src0_sel:DWORD src1_sel:WORD_1
	v_add_u32_e32 v6, v5, v3
	v_mov_b32_e32 v7, 0
	s_waitcnt lgkmcnt(0)
	v_lshl_add_u64 v[6:7], v[6:7], 1, s[12:13]
	global_store_short v[6:7], v8, off
	s_or_b64 exec, exec, s[14:15]
	s_and_saveexec_b64 s[14:15], s[6:7]
	s_cbranch_execnz .LBB173_55
	s_branch .LBB173_56
.LBB173_81:
	v_bfe_u32 v5, v23, 16, 1
	s_movk_i32 s0, 0x7fff
	v_add3_u32 v5, v23, v5, s0
	v_cmp_o_f32_e32 vcc, v23, v23
	v_mov_b32_e32 v6, 0x7fc0
	v_mov_b32_e32 v7, 0
	v_cndmask_b32_sdwa v5, v6, v5, vcc dst_sel:DWORD dst_unused:UNUSED_PAD src0_sel:DWORD src1_sel:WORD_1
	v_add_u32_e32 v6, v1, v0
	s_waitcnt lgkmcnt(0)
	v_lshl_add_u64 v[6:7], v[6:7], 1, s[12:13]
	global_store_short v[6:7], v5, off
	s_or_b64 exec, exec, s[8:9]
	s_and_saveexec_b64 s[0:1], s[2:3]
	s_cbranch_execz .LBB173_59
.LBB173_82:
	v_bfe_u32 v0, v21, 16, 1
	s_movk_i32 s2, 0x7fff
	v_add3_u32 v0, v21, v0, s2
	v_cmp_o_f32_e32 vcc, v21, v21
	v_mov_b32_e32 v5, 0x7fc0
	v_add_u32_e32 v6, v1, v2
	v_mov_b32_e32 v7, 0
	v_cndmask_b32_sdwa v0, v5, v0, vcc dst_sel:DWORD dst_unused:UNUSED_PAD src0_sel:DWORD src1_sel:WORD_1
	s_waitcnt lgkmcnt(0)
	v_lshl_add_u64 v[6:7], v[6:7], 1, s[12:13]
	global_store_short v[6:7], v0, off
	s_or_b64 exec, exec, s[0:1]
	s_and_saveexec_b64 s[0:1], s[4:5]
	s_cbranch_execz .LBB173_60
.LBB173_83:
	v_bfe_u32 v0, v19, 16, 1
	s_movk_i32 s2, 0x7fff
	v_add3_u32 v0, v19, v0, s2
	v_cmp_o_f32_e32 vcc, v19, v19
	v_mov_b32_e32 v2, 0x7fc0
	s_nop 0
	v_cndmask_b32_sdwa v0, v2, v0, vcc dst_sel:DWORD dst_unused:UNUSED_PAD src0_sel:DWORD src1_sel:WORD_1
	v_add_u32_e32 v2, v1, v3
	v_mov_b32_e32 v3, 0
	s_waitcnt lgkmcnt(0)
	v_lshl_add_u64 v[2:3], v[2:3], 1, s[12:13]
	global_store_short v[2:3], v0, off
	s_or_b64 exec, exec, s[0:1]
	s_and_b64 exec, exec, s[6:7]
	s_cbranch_execnz .LBB173_61
	s_branch .LBB173_62
	.section	.rodata,"a",@progbits
	.p2align	6, 0x0
	.amdhsa_kernel _ZL12mul_mat_q5_KIN3c108BFloat16ELb0EEvPKvS3_PT_iiiii
		.amdhsa_group_segment_fixed_size 45136
		.amdhsa_private_segment_fixed_size 0
		.amdhsa_kernarg_size 44
		.amdhsa_user_sgpr_count 2
		.amdhsa_user_sgpr_dispatch_ptr 0
		.amdhsa_user_sgpr_queue_ptr 0
		.amdhsa_user_sgpr_kernarg_segment_ptr 1
		.amdhsa_user_sgpr_dispatch_id 0
		.amdhsa_user_sgpr_kernarg_preload_length 0
		.amdhsa_user_sgpr_kernarg_preload_offset 0
		.amdhsa_user_sgpr_private_segment_size 0
		.amdhsa_uses_dynamic_stack 0
		.amdhsa_enable_private_segment 0
		.amdhsa_system_sgpr_workgroup_id_x 1
		.amdhsa_system_sgpr_workgroup_id_y 1
		.amdhsa_system_sgpr_workgroup_id_z 0
		.amdhsa_system_sgpr_workgroup_info 0
		.amdhsa_system_vgpr_workitem_id 1
		.amdhsa_next_free_vgpr 255
		.amdhsa_next_free_sgpr 96
		.amdhsa_accum_offset 256
		.amdhsa_reserve_vcc 1
		.amdhsa_float_round_mode_32 0
		.amdhsa_float_round_mode_16_64 0
		.amdhsa_float_denorm_mode_32 3
		.amdhsa_float_denorm_mode_16_64 3
		.amdhsa_dx10_clamp 1
		.amdhsa_ieee_mode 1
		.amdhsa_fp16_overflow 0
		.amdhsa_tg_split 0
		.amdhsa_exception_fp_ieee_invalid_op 0
		.amdhsa_exception_fp_denorm_src 0
		.amdhsa_exception_fp_ieee_div_zero 0
		.amdhsa_exception_fp_ieee_overflow 0
		.amdhsa_exception_fp_ieee_underflow 0
		.amdhsa_exception_fp_ieee_inexact 0
		.amdhsa_exception_int_div_zero 0
	.end_amdhsa_kernel
	.section	.text._ZL12mul_mat_q5_KIN3c108BFloat16ELb0EEvPKvS3_PT_iiiii,"axG",@progbits,_ZL12mul_mat_q5_KIN3c108BFloat16ELb0EEvPKvS3_PT_iiiii,comdat
.Lfunc_end173:
	.size	_ZL12mul_mat_q5_KIN3c108BFloat16ELb0EEvPKvS3_PT_iiiii, .Lfunc_end173-_ZL12mul_mat_q5_KIN3c108BFloat16ELb0EEvPKvS3_PT_iiiii
                                        ; -- End function
	.set _ZL12mul_mat_q5_KIN3c108BFloat16ELb0EEvPKvS3_PT_iiiii.num_vgpr, 255
	.set _ZL12mul_mat_q5_KIN3c108BFloat16ELb0EEvPKvS3_PT_iiiii.num_agpr, 0
	.set _ZL12mul_mat_q5_KIN3c108BFloat16ELb0EEvPKvS3_PT_iiiii.numbered_sgpr, 21
	.set _ZL12mul_mat_q5_KIN3c108BFloat16ELb0EEvPKvS3_PT_iiiii.num_named_barrier, 0
	.set _ZL12mul_mat_q5_KIN3c108BFloat16ELb0EEvPKvS3_PT_iiiii.private_seg_size, 0
	.set _ZL12mul_mat_q5_KIN3c108BFloat16ELb0EEvPKvS3_PT_iiiii.uses_vcc, 1
	.set _ZL12mul_mat_q5_KIN3c108BFloat16ELb0EEvPKvS3_PT_iiiii.uses_flat_scratch, 0
	.set _ZL12mul_mat_q5_KIN3c108BFloat16ELb0EEvPKvS3_PT_iiiii.has_dyn_sized_stack, 0
	.set _ZL12mul_mat_q5_KIN3c108BFloat16ELb0EEvPKvS3_PT_iiiii.has_recursion, 0
	.set _ZL12mul_mat_q5_KIN3c108BFloat16ELb0EEvPKvS3_PT_iiiii.has_indirect_call, 0
	.section	.AMDGPU.csdata,"",@progbits
; Kernel info:
; codeLenInByte = 18064
; TotalNumSgprs: 27
; NumVgprs: 255
; NumAgprs: 0
; TotalNumVgprs: 255
; ScratchSize: 0
; MemoryBound: 0
; FloatMode: 240
; IeeeMode: 1
; LDSByteSize: 45136 bytes/workgroup (compile time only)
; SGPRBlocks: 12
; VGPRBlocks: 31
; NumSGPRsForWavesPerEU: 102
; NumVGPRsForWavesPerEU: 255
; AccumOffset: 256
; Occupancy: 2
; WaveLimiterHint : 0
; COMPUTE_PGM_RSRC2:SCRATCH_EN: 0
; COMPUTE_PGM_RSRC2:USER_SGPR: 2
; COMPUTE_PGM_RSRC2:TRAP_HANDLER: 0
; COMPUTE_PGM_RSRC2:TGID_X_EN: 1
; COMPUTE_PGM_RSRC2:TGID_Y_EN: 1
; COMPUTE_PGM_RSRC2:TGID_Z_EN: 0
; COMPUTE_PGM_RSRC2:TIDIG_COMP_CNT: 1
; COMPUTE_PGM_RSRC3_GFX90A:ACCUM_OFFSET: 63
; COMPUTE_PGM_RSRC3_GFX90A:TG_SPLIT: 0
	.section	.text._ZL12mul_mat_q5_KIN3c108BFloat16ELb1EEvPKvS3_PT_iiiii,"axG",@progbits,_ZL12mul_mat_q5_KIN3c108BFloat16ELb1EEvPKvS3_PT_iiiii,comdat
	.globl	_ZL12mul_mat_q5_KIN3c108BFloat16ELb1EEvPKvS3_PT_iiiii ; -- Begin function _ZL12mul_mat_q5_KIN3c108BFloat16ELb1EEvPKvS3_PT_iiiii
	.p2align	8
	.type	_ZL12mul_mat_q5_KIN3c108BFloat16ELb1EEvPKvS3_PT_iiiii,@function
_ZL12mul_mat_q5_KIN3c108BFloat16ELb1EEvPKvS3_PT_iiiii: ; @_ZL12mul_mat_q5_KIN3c108BFloat16ELb1EEvPKvS3_PT_iiiii
; %bb.0:
	s_load_dwordx4 s[8:11], s[0:1], 0x18
	s_load_dword s14, s[0:1], 0x28
	s_lshl_b32 s15, s3, 6
	v_bfe_u32 v45, v0, 10, 10
	s_waitcnt lgkmcnt(0)
	s_cmpk_gt_i32 s8, 0xff
	s_cbranch_scc1 .LBB174_2
; %bb.1:
	v_bfe_u32 v1, v0, 10, 10
	v_and_b32_e32 v2, 0x3ff, v0
	v_add_u32_e32 v3, s15, v1
	s_mov_b64 s[4:5], 0
	s_branch .LBB174_3
.LBB174_2:
	s_mov_b64 s[4:5], -1
                                        ; implicit-def: $vgpr1
                                        ; implicit-def: $vgpr2
                                        ; implicit-def: $vgpr3
.LBB174_3:
	s_load_dwordx2 s[12:13], s[0:1], 0x10
	s_lshl_b32 s6, s2, 7
	v_mov_b32_e32 v17, 0
	s_andn2_b64 vcc, exec, s[4:5]
	v_mov_b32_e32 v16, 0
	v_mov_b32_e32 v25, 0
	;; [unrolled: 1-line block ×31, first 2 shown]
	s_cbranch_vccnz .LBB174_11
; %bb.4:
	s_ashr_i32 s4, s8, 31
	s_load_dwordx4 s[0:3], s[0:1], 0x0
	s_lshr_b32 s4, s4, 24
	s_add_i32 s4, s8, s4
	s_ashr_i32 s5, s11, 31
	s_ashr_i32 s4, s4, 8
	s_lshr_b32 s5, s5, 27
	s_add_i32 s5, s11, s5
	s_mul_i32 s7, s4, s6
	s_ashr_i32 s11, s5, 5
	s_mul_hi_i32 s8, s7, 0xb0
	s_mulk_i32 s7, 0xb0
	s_waitcnt lgkmcnt(0)
	s_add_u32 s7, s0, s7
	s_addc_u32 s8, s1, s8
	s_not_b32 s0, s6
	s_add_i32 s1, s9, s0
	v_lshlrev_b32_e32 v1, 1, v0
	v_and_b32_e32 v2, 7, v0
	v_min_i32_e32 v4, s1, v45
	v_bfe_u32 v3, v0, 2, 8
	v_and_or_b32 v1, v1, 48, v2
	v_mul_lo_u32 v2, v4, s4
	scratch_store_dwordx2 off, v[2:3], off  ; 8-byte Folded Spill
	v_lshlrev_b32_e32 v2, 2, v1
	s_movk_i32 s0, 0x104
	v_mad_u64_u32 v[4:5], s[16:17], v4, s0, v[2:3]
	scratch_store_dwordx2 off, v[4:5], off offset:8 ; 8-byte Folded Spill
	v_add_u32_e32 v5, 8, v45
	v_min_i32_e32 v1, s1, v5
	v_mad_u64_u32 v[6:7], s[16:17], v1, s0, v[2:3]
	scratch_store_dwordx2 off, v[6:7], off offset:24 ; 8-byte Folded Spill
	v_add_u32_e32 v7, 16, v45
	v_mul_lo_u32 v4, v1, s4
	v_min_i32_e32 v1, s1, v7
	v_add_u32_e32 v10, 24, v45
	scratch_store_dwordx2 off, v[4:5], off offset:16 ; 8-byte Folded Spill
	v_mul_lo_u32 v4, v1, s4
	v_mad_u64_u32 v[8:9], s[16:17], v1, s0, v[2:3]
	v_min_i32_e32 v1, s1, v10
	v_add_u32_e32 v11, 32, v45
	scratch_store_dwordx2 off, v[4:5], off offset:32 ; 8-byte Folded Spill
	scratch_store_dwordx2 off, v[8:9], off offset:40 ; 8-byte Folded Spill
	v_mul_lo_u32 v4, v1, s4
	v_mad_u64_u32 v[8:9], s[16:17], v1, s0, v[2:3]
	v_min_i32_e32 v1, s1, v11
	v_add_u32_e32 v12, 40, v45
	scratch_store_dwordx2 off, v[4:5], off offset:48 ; 8-byte Folded Spill
	;; [unrolled: 6-line block ×3, first 2 shown]
	scratch_store_dwordx2 off, v[8:9], off offset:72 ; 8-byte Folded Spill
	v_mul_lo_u32 v4, v1, s4
	v_mad_u64_u32 v[8:9], s[16:17], v1, s0, v[2:3]
	v_min_i32_e32 v1, s1, v13
	v_add_u32_e32 v14, 56, v45
	v_mul_lo_u32 v78, v1, s4
	v_mad_u64_u32 v[80:81], s[16:17], v1, s0, v[2:3]
	v_min_i32_e32 v1, s1, v14
	v_mul_lo_u32 v82, v1, s4
	v_mad_u64_u32 v[84:85], s[16:17], v1, s0, v[2:3]
	v_add_u32_e32 v1, 64, v45
	v_min_i32_e32 v1, s1, v1
	v_mul_lo_u32 v86, v1, s4
	v_mad_u64_u32 v[88:89], s[16:17], v1, s0, v[2:3]
	v_add_u32_e32 v1, 0x48, v45
	v_min_i32_e32 v1, s1, v1
	v_mul_lo_u32 v90, v1, s4
	v_mad_u64_u32 v[92:93], s[16:17], v1, s0, v[2:3]
	v_add_u32_e32 v1, 0x50, v45
	v_min_i32_e32 v1, s1, v1
	v_mul_lo_u32 v94, v1, s4
	v_mad_u64_u32 v[96:97], s[16:17], v1, s0, v[2:3]
	v_add_u32_e32 v1, 0x58, v45
	v_min_i32_e32 v1, s1, v1
	v_mul_lo_u32 v98, v1, s4
	v_mad_u64_u32 v[100:101], s[16:17], v1, s0, v[2:3]
	v_add_u32_e32 v1, 0x60, v45
	v_min_i32_e32 v1, s1, v1
	v_mul_lo_u32 v102, v1, s4
	v_mad_u64_u32 v[104:105], s[16:17], v1, s0, v[2:3]
	v_add_u32_e32 v1, 0x68, v45
	v_min_i32_e32 v1, s1, v1
	v_mul_lo_u32 v106, v1, s4
	v_mad_u64_u32 v[108:109], s[16:17], v1, s0, v[2:3]
	v_add_u32_e32 v1, 0x70, v45
	v_min_i32_e32 v1, s1, v1
	v_mul_lo_u32 v110, v1, s4
	v_mad_u64_u32 v[112:113], s[16:17], v1, s0, v[2:3]
	v_add_u32_e32 v1, 0x78, v45
	v_and_b32_e32 v26, 0x3ff, v0
	v_min_i32_e32 v1, s1, v1
	v_lshlrev_b32_e32 v61, 5, v45
	v_mul_lo_u32 v114, v1, s4
	v_mad_u64_u32 v[116:117], s[16:17], v1, s0, v[2:3]
	v_add_u32_e32 v1, v61, v26
	v_and_b32_e32 v1, 0x7f, v1
	v_min_i32_e32 v1, s1, v1
	v_ashrrev_i32_e32 v2, 31, v1
	v_lshrrev_b32_e32 v2, 27, v2
	v_add_u32_e32 v2, v1, v2
	v_ashrrev_i32_e32 v2, 5, v2
	v_mul_lo_u32 v118, v1, s4
	v_lshlrev_b32_e32 v2, 2, v2
	v_lshlrev_b32_e32 v1, 2, v1
	s_mov_b32 s18, 0xae40
	v_add3_u32 v66, v2, v1, s18
	v_and_b32_e32 v2, 3, v0
	v_and_b32_e32 v63, 6, v3
	v_lshl_add_u32 v1, v45, 3, v3
	v_add_u32_e32 v3, 0xfe, v2
	v_and_b32_e32 v3, 0xff, v3
	v_cmp_gt_u32_e32 vcc, 2, v2
	scratch_store_dwordx2 off, v[4:5], off offset:80 ; 8-byte Folded Spill
	scratch_store_dwordx2 off, v[8:9], off offset:88 ; 8-byte Folded Spill
	v_cndmask_b32_e32 v3, v3, v2, vcc
	v_cmp_ne_u32_e32 vcc, 0, v2
	v_lshlrev_b32_e32 v74, 1, v3
	v_lshlrev_b32_e32 v15, 2, v2
	v_addc_co_u32_e32 v4, vcc, 0, v3, vcc
	v_and_b32_e32 v3, 0x7f, v1
	v_min_i32_e32 v3, s1, v3
	v_ashrrev_i32_e32 v8, 31, v3
	v_lshrrev_b32_e32 v8, 29, v8
	v_add_u32_e32 v8, v3, v8
	v_ashrrev_i32_e32 v8, 3, v8
	v_lshlrev_b32_e32 v8, 2, v8
	s_mov_b32 s16, 0xa200
	v_add3_u32 v16, v8, v15, s16
	v_mov_b32_e32 v8, 0x7f
	v_bitop3_b32 v8, v1, 64, v8 bitop3:0x6c
	v_min_i32_e32 v8, s1, v8
	v_ashrrev_i32_e32 v9, 31, v8
	v_lshrrev_b32_e32 v9, 29, v9
	v_add_u32_e32 v9, v8, v9
	v_ashrrev_i32_e32 v9, 3, v9
	v_and_b32_e32 v19, 31, v0
	v_mov_b32_e32 v20, 0x8200
	v_and_b32_e32 v1, 63, v1
	v_lshlrev_b32_e32 v9, 2, v9
	v_add_u32_e32 v25, s15, v45
	s_add_i32 s1, s10, -1
	v_lshl_or_b32 v19, v19, 2, v20
	v_or_b32_e32 v20, s15, v1
	v_lshl_or_b32 v1, v1, 4, v15
	v_bfe_u32 v44, v0, 5, 5
	v_mul_lo_u32 v122, v8, s4
	v_add3_u32 v17, v9, v15, s16
	v_lshlrev_b32_e32 v18, 4, v8
	v_cvt_f64_i32_e32 v[8:9], s1
	v_add_u32_e32 v73, 0xaa40, v1
	v_bfe_u32 v75, v0, 3, 7
	v_cvt_f64_u32_e32 v[0:1], v25
	v_min_f64 v[0:1], v[0:1], v[8:9]
	v_cvt_i32_f64_e32 v0, v[0:1]
	v_mul_lo_u32 v77, s11, v0
	v_add_u32_e32 v0, 8, v25
	v_cvt_f64_u32_e32 v[0:1], v0
	v_min_f64 v[0:1], v[0:1], v[8:9]
	v_cvt_i32_f64_e32 v0, v[0:1]
	v_mul_lo_u32 v79, s11, v0
	v_add_u32_e32 v0, 16, v25
	v_cvt_f64_u32_e32 v[0:1], v0
	v_min_f64 v[0:1], v[0:1], v[8:9]
	v_cvt_i32_f64_e32 v0, v[0:1]
	v_mul_lo_u32 v81, s11, v0
	v_add_u32_e32 v0, 24, v25
	v_cvt_f64_u32_e32 v[0:1], v0
	v_min_f64 v[0:1], v[0:1], v[8:9]
	v_cvt_i32_f64_e32 v0, v[0:1]
	v_mul_lo_u32 v83, s11, v0
	v_add_u32_e32 v0, 32, v25
	v_cvt_f64_u32_e32 v[0:1], v0
	v_min_f64 v[0:1], v[0:1], v[8:9]
	v_cvt_i32_f64_e32 v0, v[0:1]
	v_mul_lo_u32 v85, s11, v0
	v_add_u32_e32 v0, 40, v25
	v_cvt_f64_u32_e32 v[0:1], v0
	v_min_f64 v[0:1], v[0:1], v[8:9]
	v_cvt_i32_f64_e32 v0, v[0:1]
	v_mul_lo_u32 v87, s11, v0
	v_add_u32_e32 v0, 48, v25
	v_cvt_f64_u32_e32 v[0:1], v0
	v_min_f64 v[0:1], v[0:1], v[8:9]
	v_cvt_i32_f64_e32 v0, v[0:1]
	v_mul_lo_u32 v89, s11, v0
	v_add_u32_e32 v0, 56, v25
	v_cvt_f64_u32_e32 v[0:1], v0
	v_min_f64 v[0:1], v[0:1], v[8:9]
	v_lshlrev_b32_e32 v59, 2, v26
	v_cvt_i32_f64_e32 v0, v[0:1]
	v_lshlrev_b32_e32 v1, 2, v44
	v_add3_u32 v93, v1, v59, s18
	v_add_u32_e32 v1, 32, v26
	v_lshrrev_b32_e32 v95, 3, v1
	v_lshlrev_b32_e32 v8, 2, v1
	v_and_b32_e32 v1, 60, v95
	v_add3_u32 v97, v59, v1, s18
	v_add_u32_e32 v1, 64, v26
	v_lshrrev_b32_e32 v99, 3, v1
	v_lshlrev_b32_e32 v9, 2, v1
	v_and_b32_e32 v1, 60, v99
	v_add3_u32 v101, v59, v1, s18
	v_add_u32_e32 v1, 0x60, v26
	v_lshrrev_b32_e32 v103, 3, v1
	scratch_store_dword off, v25, off offset:104 ; 4-byte Folded Spill
	v_lshlrev_b32_e32 v25, 2, v1
	v_and_b32_e32 v1, 60, v103
	v_mul_lo_u32 v120, v3, s4
	v_lshlrev_b32_e32 v3, 4, v3
	v_min_i32_e32 v20, s1, v20
	v_add3_u32 v105, v59, v1, s18
	v_mov_b32_e32 v1, 0x2080
	v_mov_b32_e32 v47, 0
	v_and_b32_e32 v6, 4, v59
	v_cmp_lt_u32_e32 vcc, 1, v2
	v_mad_u64_u32 v[124:125], s[16:17], v20, s11, v[2:3]
	v_mad_u32_u24 v123, v26, s0, v1
	v_mov_b32_e32 v1, 0x4100
	v_and_b32_e32 v48, 28, v59
	v_mov_b32_e32 v49, v47
	v_cndmask_b32_e32 v72, 0, v6, vcc
	v_cndmask_b32_e64 v6, 0, 1, vcc
	v_lshlrev_b32_e32 v2, 7, v45
	v_lshlrev_b32_e32 v15, 7, v5
	;; [unrolled: 1-line block ×7, first 2 shown]
	v_mul_lo_u32 v91, s11, v0
	v_lshlrev_b32_e32 v0, 7, v14
	v_mad_u32_u24 v125, v26, s0, v1
	v_mov_b32_e32 v1, 0x6180
	v_mov_b32_e32 v52, v47
	;; [unrolled: 1-line block ×3, first 2 shown]
	s_movk_i32 s5, 0xb0
	s_mov_b32 s9, 0
	v_and_b32_e32 v46, 0x7c, v59
	v_or_b32_e32 v67, 1, v63
	v_lshlrev_b32_e32 v107, 5, v5
	v_lshlrev_b32_e32 v109, 5, v7
	;; [unrolled: 1-line block ×7, first 2 shown]
	v_mul_u32_u24_e32 v121, 0x104, v26
	scratch_store_dword off, v26, off offset:96 ; 4-byte Folded Spill
	v_mad_u32_u24 v149, v26, s0, v1
	v_lshl_add_u64 v[126:127], s[2:3], 0, v[48:49]
	s_mov_b32 s11, 0x10101010
	v_lshlrev_b32_e32 v128, 2, v4
	v_mov_b32_e32 v129, v47
	v_lshlrev_b32_e32 v130, 2, v6
	v_mov_b32_e32 v131, v47
	s_mov_b32 s16, 0x30303030
	v_add_u32_e32 v151, v16, v3
	v_add_u32_e32 v221, v17, v18
	v_add_u32_e32 v236, v19, v2
	v_add_u32_e32 v237, v19, v15
	v_add_u32_e32 v238, v19, v20
	v_add_u32_e32 v239, v19, v21
	v_add_u32_e32 v240, v19, v22
	v_add_u32_e32 v241, v19, v23
	v_add_u32_e32 v242, v19, v24
	v_add_u32_e32 v243, v19, v0
	v_lshlrev_b32_e32 v244, 2, v8
	v_lshlrev_b32_e32 v245, 2, v9
	;; [unrolled: 1-line block ×3, first 2 shown]
	v_mov_b64_e32 v[38:39], v[52:53]
	v_mov_b64_e32 v[30:31], v[52:53]
	;; [unrolled: 1-line block ×15, first 2 shown]
	scratch_store_dword off, v45, off offset:100 ; 4-byte Folded Spill
.LBB174_5:                              ; =>This Loop Header: Depth=1
                                        ;     Child Loop BB174_6 Depth 2
                                        ;     Child Loop BB174_8 Depth 2
	scratch_load_dwordx2 v[4:5], off, off   ; 8-byte Folded Reload
	s_mul_i32 s0, s9, 0xb0
	s_mul_hi_u32 s1, s9, 0xb0
	s_add_u32 s0, s7, s0
	s_addc_u32 s1, s8, s1
	v_mov_b64_e32 v[0:1], s[0:1]
	v_mad_u64_u32 v[2:3], s[0:1], v44, s5, v[0:1]
	s_lshl_b32 s17, s9, 3
	v_add_u32_e32 v161, s17, v124
	s_mov_b32 s19, 0
	s_waitcnt vmcnt(0)
	v_mad_i64_i32 v[4:5], s[0:1], v4, s5, v[2:3]
	v_lshl_add_u64 v[6:7], v[4:5], 0, v[46:47]
	global_load_dword v12, v[6:7], off offset:48
	v_lshl_add_u64 v[4:5], v[4:5], 0, v[48:49]
	scratch_load_dwordx2 v[6:7], off, off offset:16 ; 8-byte Folded Reload
	s_waitcnt vmcnt(0)
	v_mad_i64_i32 v[6:7], s[0:1], v6, s5, v[2:3]
	v_lshl_add_u64 v[8:9], v[6:7], 0, v[46:47]
	v_lshl_add_u64 v[6:7], v[6:7], 0, v[48:49]
	global_load_dword v13, v[4:5], off offset:16
	global_load_dword v14, v[8:9], off offset:48
	;; [unrolled: 1-line block ×3, first 2 shown]
	s_nop 0
	scratch_load_dwordx2 v[4:5], off, off offset:32 ; 8-byte Folded Reload
	v_mad_i64_i32 v[8:9], s[0:1], v90, s5, v[2:3]
	s_waitcnt vmcnt(0)
	v_mad_i64_i32 v[4:5], s[0:1], v4, s5, v[2:3]
	v_lshl_add_u64 v[6:7], v[4:5], 0, v[46:47]
	v_lshl_add_u64 v[4:5], v[4:5], 0, v[48:49]
	global_load_dword v45, v[6:7], off offset:48
	global_load_dword v54, v[4:5], off offset:16
	s_nop 0
	scratch_load_dwordx2 v[4:5], off, off offset:48 ; 8-byte Folded Reload
	s_waitcnt vmcnt(0)
	v_mad_i64_i32 v[4:5], s[0:1], v4, s5, v[2:3]
	v_lshl_add_u64 v[6:7], v[4:5], 0, v[46:47]
	v_lshl_add_u64 v[4:5], v[4:5], 0, v[48:49]
	global_load_dword v55, v[6:7], off offset:48
	global_load_dword v56, v[4:5], off offset:16
	s_nop 0
	scratch_load_dwordx2 v[4:5], off, off offset:64 ; 8-byte Folded Reload
	;; [unrolled: 8-line block ×3, first 2 shown]
	s_waitcnt vmcnt(0)
	v_mad_i64_i32 v[4:5], s[0:1], v4, s5, v[2:3]
	v_lshl_add_u64 v[6:7], v[4:5], 0, v[46:47]
	v_lshl_add_u64 v[4:5], v[4:5], 0, v[48:49]
	global_load_dword v60, v[6:7], off offset:48
	global_load_dword v62, v[4:5], off offset:16
	v_mad_i64_i32 v[4:5], s[0:1], v78, s5, v[2:3]
	v_lshl_add_u64 v[6:7], v[4:5], 0, v[46:47]
	global_load_dword v64, v[6:7], off offset:48
	v_mad_i64_i32 v[6:7], s[0:1], v82, s5, v[2:3]
	v_lshl_add_u64 v[4:5], v[4:5], 0, v[48:49]
	v_lshl_add_u64 v[10:11], v[6:7], 0, v[46:47]
	;; [unrolled: 1-line block ×3, first 2 shown]
	global_load_dword v65, v[4:5], off offset:16
	global_load_dword v68, v[10:11], off offset:48
	;; [unrolled: 1-line block ×3, first 2 shown]
	v_mad_i64_i32 v[4:5], s[0:1], v86, s5, v[2:3]
	v_lshl_add_u64 v[10:11], v[4:5], 0, v[46:47]
	v_lshl_add_u64 v[4:5], v[4:5], 0, v[48:49]
	v_lshl_add_u64 v[6:7], v[8:9], 0, v[46:47]
	global_load_dword v70, v[10:11], off offset:48
	global_load_dword v71, v[4:5], off offset:16
	;; [unrolled: 1-line block ×3, first 2 shown]
	v_and_b32_e32 v4, 0xf0f0f0f, v12
	v_lshrrev_b32_e32 v5, 4, v12
	v_ashrrev_i32_e32 v6, v63, v13
	v_ashrrev_i32_e32 v7, v67, v13
	v_lshrrev_b32_e32 v11, 4, v14
	v_ashrrev_i32_e32 v12, v63, v15
	v_ashrrev_i32_e32 v13, v67, v15
	v_and_b32_e32 v10, 0xf0f0f0f, v14
	v_and_b32_e32 v5, 0xf0f0f0f, v5
	v_lshlrev_b32_e32 v6, 4, v6
	v_lshlrev_b32_e32 v7, 4, v7
	v_and_b32_e32 v11, 0xf0f0f0f, v11
	v_lshlrev_b32_e32 v12, 4, v12
	v_lshlrev_b32_e32 v13, 4, v13
	v_and_or_b32 v4, v6, s11, v4
	v_and_or_b32 v5, v7, s11, v5
	;; [unrolled: 1-line block ×4, first 2 shown]
	scratch_load_dwordx2 v[10:11], off, off offset:8 ; 8-byte Folded Reload
	v_and_b32_e32 v14, 0xf0f0f0f, v45
	v_lshrrev_b32_e32 v15, 4, v45
	v_ashrrev_i32_e32 v45, v63, v54
	v_ashrrev_i32_e32 v54, v67, v54
	v_and_b32_e32 v15, 0xf0f0f0f, v15
	v_lshlrev_b32_e32 v45, 4, v45
	s_waitcnt vmcnt(0)
	ds_write2_b32 v10, v4, v5 offset1:8
	scratch_load_dwordx2 v[4:5], off, off offset:24 ; 8-byte Folded Reload
	s_waitcnt vmcnt(0)
	ds_write2_b32 v4, v6, v7 offset1:8
	scratch_load_dwordx2 v[6:7], off, off offset:40 ; 8-byte Folded Reload
	v_lshl_add_u64 v[4:5], v[8:9], 0, v[48:49]
	global_load_dword v12, v[4:5], off offset:16
	v_lshlrev_b32_e32 v4, 4, v54
	v_and_or_b32 v5, v45, s11, v14
	v_and_or_b32 v4, v4, s11, v15
	s_waitcnt vmcnt(1)
	v_ashrrev_i32_e32 v7, v67, v56
	v_lshlrev_b32_e32 v7, 4, v7
	v_mad_i64_i32 v[8:9], s[0:1], v98, s5, v[2:3]
	v_lshl_add_u64 v[10:11], v[8:9], 0, v[46:47]
	v_lshl_add_u64 v[8:9], v[8:9], 0, v[48:49]
	ds_write2_b32 v6, v5, v4 offset1:8
	v_lshrrev_b32_e32 v5, 4, v55
	v_ashrrev_i32_e32 v6, v63, v56
	v_and_b32_e32 v4, 0xf0f0f0f, v55
	v_and_b32_e32 v5, 0xf0f0f0f, v5
	v_lshlrev_b32_e32 v6, 4, v6
	v_and_or_b32 v4, v6, s11, v4
	v_and_or_b32 v5, v7, s11, v5
	scratch_load_dwordx2 v[6:7], off, off offset:56 ; 8-byte Folded Reload
	s_waitcnt vmcnt(0)
	v_ashrrev_i32_e32 v7, v67, v58
	v_lshlrev_b32_e32 v7, 4, v7
	ds_write2_b32 v6, v4, v5 offset1:8
	v_lshrrev_b32_e32 v5, 4, v57
	v_ashrrev_i32_e32 v6, v63, v58
	v_and_b32_e32 v4, 0xf0f0f0f, v57
	v_and_b32_e32 v5, 0xf0f0f0f, v5
	v_lshlrev_b32_e32 v6, 4, v6
	v_and_or_b32 v4, v6, s11, v4
	v_and_or_b32 v5, v7, s11, v5
	scratch_load_dwordx2 v[6:7], off, off offset:72 ; 8-byte Folded Reload
	s_waitcnt vmcnt(0)
	v_ashrrev_i32_e32 v7, v67, v62
	v_lshlrev_b32_e32 v7, 4, v7
	;; [unrolled: 12-line block ×3, first 2 shown]
	ds_write2_b32 v6, v4, v5 offset1:8
	v_lshrrev_b32_e32 v5, 4, v64
	v_ashrrev_i32_e32 v6, v63, v65
	v_and_b32_e32 v4, 0xf0f0f0f, v64
	v_and_b32_e32 v5, 0xf0f0f0f, v5
	v_lshlrev_b32_e32 v6, 4, v6
	v_and_or_b32 v4, v6, s11, v4
	v_and_or_b32 v5, v7, s11, v5
	ds_write2_b32 v80, v4, v5 offset1:8
	v_lshrrev_b32_e32 v5, 4, v68
	v_ashrrev_i32_e32 v6, v63, v69
	v_ashrrev_i32_e32 v7, v67, v69
	v_and_b32_e32 v4, 0xf0f0f0f, v68
	v_and_b32_e32 v5, 0xf0f0f0f, v5
	v_lshlrev_b32_e32 v6, 4, v6
	v_lshlrev_b32_e32 v7, 4, v7
	v_and_or_b32 v4, v6, s11, v4
	v_and_or_b32 v5, v7, s11, v5
	ds_write2_b32 v84, v4, v5 offset1:8
	v_mad_i64_i32 v[4:5], s[0:1], v94, s5, v[2:3]
	v_lshl_add_u64 v[6:7], v[4:5], 0, v[46:47]
	v_lshl_add_u64 v[4:5], v[4:5], 0, v[48:49]
	global_load_dword v45, v[6:7], off offset:48
	global_load_dword v56, v[4:5], off offset:16
	;; [unrolled: 1-line block ×4, first 2 shown]
	v_lshrrev_b32_e32 v5, 4, v70
	v_ashrrev_i32_e32 v6, v63, v71
	v_ashrrev_i32_e32 v7, v67, v71
	v_and_b32_e32 v4, 0xf0f0f0f, v70
	v_and_b32_e32 v5, 0xf0f0f0f, v5
	v_lshlrev_b32_e32 v6, 4, v6
	v_lshlrev_b32_e32 v7, 4, v7
	v_and_or_b32 v4, v6, s11, v4
	v_and_or_b32 v5, v7, s11, v5
	ds_write2_b32 v88, v4, v5 offset1:8
	v_lshrrev_b32_e32 v5, 4, v132
	v_ashrrev_i32_e32 v6, v63, v12
	v_ashrrev_i32_e32 v7, v67, v12
	v_and_b32_e32 v4, 0xf0f0f0f, v132
	v_and_b32_e32 v5, 0xf0f0f0f, v5
	v_lshlrev_b32_e32 v6, 4, v6
	v_lshlrev_b32_e32 v7, 4, v7
	v_and_or_b32 v4, v6, s11, v4
	v_and_or_b32 v5, v7, s11, v5
	ds_write2_b32 v92, v4, v5 offset1:8
	v_mad_i64_i32 v[4:5], s[0:1], v102, s5, v[2:3]
	v_mad_i64_i32 v[8:9], s[0:1], v106, s5, v[2:3]
	;; [unrolled: 1-line block ×4, first 2 shown]
	v_lshl_add_u64 v[6:7], v[4:5], 0, v[46:47]
	v_lshl_add_u64 v[54:55], v[2:3], 0, v[46:47]
	;; [unrolled: 1-line block ×8, first 2 shown]
	global_load_dword v60, v[6:7], off offset:48
	global_load_dword v62, v[4:5], off offset:16
	;; [unrolled: 1-line block ×6, first 2 shown]
	s_nop 0
	global_load_dword v54, v[54:55], off offset:48
	s_nop 0
	global_load_dword v55, v[2:3], off offset:16
	v_mad_i64_i32 v[2:3], s[0:1], v118, s5, v[0:1]
	v_mad_i64_i32 v[4:5], s[0:1], v120, s5, v[0:1]
	;; [unrolled: 1-line block ×3, first 2 shown]
	v_lshl_add_u64 v[6:7], v[4:5], 0, v[128:129]
	v_lshl_add_u64 v[4:5], v[4:5], 0, v[130:131]
	;; [unrolled: 1-line block ×4, first 2 shown]
	global_load_dword v70, v[2:3], off
	global_load_dword v71, v[6:7], off offset:4
	global_load_dword v132, v[4:5], off offset:4
	;; [unrolled: 1-line block ×4, first 2 shown]
	v_add_u32_e32 v14, s17, v75
	v_add_u32_e32 v0, v14, v77
	;; [unrolled: 1-line block ×6, first 2 shown]
	v_mad_i64_i32 v[0:1], s[0:1], v0, 36, v[126:127]
	v_mad_i64_i32 v[2:3], s[0:1], v2, 36, v[126:127]
	;; [unrolled: 1-line block ×5, first 2 shown]
	v_add_u32_e32 v10, v14, v87
	v_add_u32_e32 v12, v14, v89
	;; [unrolled: 1-line block ×3, first 2 shown]
	v_mad_i64_i32 v[10:11], s[0:1], v10, 36, v[126:127]
	v_mad_i64_i32 v[12:13], s[0:1], v12, 36, v[126:127]
	;; [unrolled: 1-line block ×3, first 2 shown]
	global_load_dword v135, v[0:1], off offset:4
	s_nop 0
	global_load_dword v2, v[2:3], off offset:4
	s_nop 0
	;; [unrolled: 2-line block ×3, first 2 shown]
	global_load_dword v4, v[6:7], off offset:4
	global_load_dword v5, v[8:9], off offset:4
	s_nop 0
	global_load_dword v6, v[10:11], off offset:4
	global_load_dword v7, v[12:13], off offset:4
	;; [unrolled: 1-line block ×3, first 2 shown]
	v_mad_u64_u32 v[0:1], s[0:1], v161, 36, s[2:3]
	global_load_dword v0, v[0:1], off
	s_waitcnt vmcnt(25)
	v_lshrrev_b32_e32 v9, 4, v45
	s_waitcnt vmcnt(24)
	v_ashrrev_i32_e32 v10, v63, v56
	v_ashrrev_i32_e32 v11, v67, v56
	v_and_b32_e32 v1, 0xf0f0f0f, v45
	v_and_b32_e32 v9, 0xf0f0f0f, v9
	v_lshlrev_b32_e32 v10, 4, v10
	v_lshlrev_b32_e32 v11, 4, v11
	v_and_or_b32 v1, v10, s11, v1
	v_and_or_b32 v9, v11, s11, v9
	ds_write2_b32 v96, v1, v9 offset1:8
	s_waitcnt vmcnt(23)
	v_lshrrev_b32_e32 v9, 4, v57
	s_waitcnt vmcnt(22)
	v_ashrrev_i32_e32 v10, v63, v58
	v_ashrrev_i32_e32 v11, v67, v58
	v_and_b32_e32 v1, 0xf0f0f0f, v57
	v_and_b32_e32 v9, 0xf0f0f0f, v9
	v_lshlrev_b32_e32 v10, 4, v10
	v_lshlrev_b32_e32 v11, 4, v11
	v_and_or_b32 v1, v10, s11, v1
	v_and_or_b32 v9, v11, s11, v9
	ds_write2_b32 v100, v1, v9 offset1:8
	s_mov_b64 s[0:1], -1
	s_waitcnt vmcnt(21)
	v_lshrrev_b32_e32 v9, 4, v60
	s_waitcnt vmcnt(20)
	v_ashrrev_i32_e32 v10, v63, v62
	v_ashrrev_i32_e32 v11, v67, v62
	v_and_b32_e32 v1, 0xf0f0f0f, v60
	v_and_b32_e32 v9, 0xf0f0f0f, v9
	v_lshlrev_b32_e32 v10, 4, v10
	v_lshlrev_b32_e32 v11, 4, v11
	v_and_or_b32 v1, v10, s11, v1
	v_and_or_b32 v9, v11, s11, v9
	ds_write2_b32 v104, v1, v9 offset1:8
	s_waitcnt vmcnt(19)
	v_lshrrev_b32_e32 v9, 4, v64
	s_waitcnt vmcnt(18)
	v_ashrrev_i32_e32 v10, v63, v65
	v_ashrrev_i32_e32 v11, v67, v65
	v_and_b32_e32 v1, 0xf0f0f0f, v64
	v_and_b32_e32 v9, 0xf0f0f0f, v9
	v_lshlrev_b32_e32 v10, 4, v10
	v_lshlrev_b32_e32 v11, 4, v11
	v_and_or_b32 v1, v10, s11, v1
	v_and_or_b32 v9, v11, s11, v9
	ds_write2_b32 v108, v1, v9 offset1:8
	;; [unrolled: 12-line block ×4, first 2 shown]
	s_waitcnt vmcnt(13)
	ds_write_b32 v66, v70
	s_waitcnt vmcnt(12)
	v_ashrrev_i32_e32 v1, v72, v71
	v_and_b32_e32 v1, 0xf0f0f0f, v1
	s_waitcnt vmcnt(11)
	v_ashrrev_i32_e32 v9, v74, v132
	v_and_or_b32 v1, v9, s16, v1
	ds_write_b32 v151, v1
	s_waitcnt vmcnt(10)
	v_ashrrev_i32_e32 v1, v72, v133
	v_and_b32_e32 v1, 0xf0f0f0f, v1
	s_waitcnt vmcnt(9)
	v_ashrrev_i32_e32 v9, v74, v134
	v_and_or_b32 v1, v9, s16, v1
	ds_write_b32 v221, v1
	s_waitcnt vmcnt(8)
	ds_write_b32 v236, v135
	s_waitcnt vmcnt(7)
	ds_write_b32 v237, v2
	s_waitcnt vmcnt(6)
	ds_write_b32 v238, v3
	s_waitcnt vmcnt(5)
	ds_write_b32 v239, v4
	s_waitcnt vmcnt(4)
	ds_write_b32 v240, v5
	s_waitcnt vmcnt(3)
	ds_write_b32 v241, v6
	s_waitcnt vmcnt(2)
	ds_write_b32 v242, v7
	s_waitcnt vmcnt(1)
	ds_write_b32 v243, v8
	s_waitcnt vmcnt(0)
	ds_write_b32 v73, v0
	s_waitcnt lgkmcnt(0)
	s_barrier
	ds_read_b32 v0, v93
	ds_read_b32 v1, v97 offset:128
	ds_read_b32 v2, v101 offset:256
	;; [unrolled: 1-line block ×3, first 2 shown]
	s_waitcnt lgkmcnt(3)
	v_cvt_f32_f16_e32 v132, v0
	v_cvt_f32_f16_sdwa v134, v0 dst_sel:DWORD dst_unused:UNUSED_PAD src0_sel:WORD_1
	s_waitcnt lgkmcnt(2)
	v_cvt_f32_f16_e32 v136, v1
	v_cvt_f32_f16_sdwa v138, v1 dst_sel:DWORD dst_unused:UNUSED_PAD src0_sel:WORD_1
	s_waitcnt lgkmcnt(1)
	v_cvt_f32_f16_e32 v140, v2
	v_cvt_f32_f16_sdwa v142, v2 dst_sel:DWORD dst_unused:UNUSED_PAD src0_sel:WORD_1
	s_waitcnt lgkmcnt(0)
	v_cvt_f32_f16_e32 v144, v3
	v_cvt_f32_f16_sdwa v146, v3 dst_sel:DWORD dst_unused:UNUSED_PAD src0_sel:WORD_1
	v_mov_b32_e32 v133, v132
	v_mov_b32_e32 v135, v134
	;; [unrolled: 1-line block ×8, first 2 shown]
.LBB174_6:                              ;   Parent Loop BB174_5 Depth=1
                                        ; =>  This Inner Loop Header: Depth=2
	s_lshr_b32 s20, s19, 2
	s_lshl_b32 s18, s19, 1
	s_add_i32 s20, s20, 0xa200
	v_or_b32_e32 v0, s18, v61
	v_lshlrev_b32_e32 v247, 2, v75
	v_lshlrev_b32_e32 v248, 2, v59
	s_lshl_b32 s19, s19, 3
	v_lshlrev_b32_e32 v1, 2, v0
	v_add3_u32 v45, s20, v247, v248
	v_add_u32_e32 v55, s19, v121
	v_lshrrev_b32_e32 v228, 1, v0
	ds_read_b128 v[12:15], v1 offset:33280
	ds_read_b128 v[8:11], v1 offset:33296
	;; [unrolled: 1-line block ×4, first 2 shown]
	ds_read2_b32 v[212:213], v55 offset1:1
	ds_read2_b32 v[214:215], v55 offset0:2 offset1:3
	ds_read2_b32 v[216:217], v55 offset0:4 offset1:5
	;; [unrolled: 1-line block ×3, first 2 shown]
	ds_read_u16 v56, v45
	ds_read_u16 v45, v45 offset:8
	v_lshlrev_b32_e32 v249, 2, v95
	ds_read2_b32 v[210:211], v55 offset0:8 offset1:9
	ds_read2_b32 v[222:223], v55 offset0:10 offset1:11
	;; [unrolled: 1-line block ×4, first 2 shown]
	s_waitcnt lgkmcnt(5)
	v_and_b32_e32 v254, 0xff, v56
	s_waitcnt lgkmcnt(4)
	v_cvt_f32_ubyte0_e32 v202, v45
	v_lshrrev_b16_e32 v255, 8, v56
	v_cvt_f32_ubyte1_e32 v220, v45
	v_add3_u32 v45, s20, v249, v244
	v_add_u32_e32 v56, s19, v123
	ds_read2_b32 v[190:191], v56 offset1:1
	ds_read2_b32 v[194:195], v56 offset0:2 offset1:3
	ds_read2_b32 v[196:197], v56 offset0:4 offset1:5
	;; [unrolled: 1-line block ×3, first 2 shown]
	ds_read_u16 v57, v45
	ds_read_u16 v45, v45 offset:8
	v_lshlrev_b32_e32 v250, 2, v99
	ds_read2_b32 v[192:193], v56 offset0:8 offset1:9
	ds_read2_b32 v[204:205], v56 offset0:10 offset1:11
	;; [unrolled: 1-line block ×4, first 2 shown]
	s_waitcnt lgkmcnt(4)
	v_cvt_f32_ubyte0_e32 v188, v45
	v_cvt_f32_ubyte1_e32 v200, v45
	v_add3_u32 v45, s20, v250, v245
	v_add_u32_e32 v56, s19, v125
	ds_read2_b32 v[162:163], v56 offset1:1
	ds_read2_b32 v[168:169], v56 offset0:2 offset1:3
	ds_read2_b32 v[170:171], v56 offset0:4 offset1:5
	;; [unrolled: 1-line block ×3, first 2 shown]
	ds_read_u16 v64, v45
	ds_read_u16 v45, v45 offset:8
	v_mov_b32_e32 v54, 0
	v_mov_b32_e32 v55, 0
	v_and_b32_e32 v252, 0xff, v57
	s_waitcnt lgkmcnt(1)
	v_and_b32_e32 v201, 0xff, v64
	v_lshrrev_b16_e32 v203, 8, v64
	v_add_u32_e32 v64, s19, v149
	ds_read2_b32 v[166:167], v64 offset1:1
	ds_read2_b32 v[172:173], v64 offset0:2 offset1:3
	ds_read2_b32 v[176:177], v64 offset0:4 offset1:5
	;; [unrolled: 1-line block ×3, first 2 shown]
	v_lshrrev_b16_e32 v253, 8, v57
	v_mov_b32_e32 v57, 0
	s_waitcnt lgkmcnt(4)
	v_cvt_f32_ubyte0_e32 v160, v45
	v_cvt_f32_ubyte1_e32 v180, v45
	v_mov_b32_e32 v45, 0
	v_dot4c_i32_i8_e32 v54, v212, v12
	v_dot4c_i32_i8_e32 v55, v190, v12
	;; [unrolled: 1-line block ×3, first 2 shown]
	s_waitcnt lgkmcnt(3)
	v_dot4c_i32_i8_e32 v45, v166, v12
	v_dot4c_i32_i8_e32 v54, v213, v13
	;; [unrolled: 1-line block ×8, first 2 shown]
	s_waitcnt lgkmcnt(2)
	v_dot4c_i32_i8_e32 v45, v172, v14
	v_dot4c_i32_i8_e32 v54, v215, v15
	;; [unrolled: 1-line block ×4, first 2 shown]
	v_lshlrev_b32_e32 v251, 2, v103
	v_dot4c_i32_i8_e32 v45, v173, v15
	v_dot4c_i32_i8_e32 v54, v216, v8
	;; [unrolled: 1-line block ×4, first 2 shown]
	ds_read2_b32 v[164:165], v56 offset0:8 offset1:9
	ds_read2_b32 v[182:183], v56 offset0:10 offset1:11
	ds_read2_b32 v[184:185], v56 offset0:12 offset1:13
	ds_read2_b32 v[186:187], v56 offset0:14 offset1:15
	v_add3_u32 v56, s20, v251, v246
	s_waitcnt lgkmcnt(5)
	v_dot4c_i32_i8_e32 v45, v176, v8
	v_dot4c_i32_i8_e32 v54, v217, v9
	;; [unrolled: 1-line block ×5, first 2 shown]
	ds_read_u16 v8, v56
	ds_read_u16 v9, v56 offset:8
	ds_read2_b32 v[158:159], v64 offset0:8 offset1:9
	ds_read2_b32 v[152:153], v64 offset0:10 offset1:11
	;; [unrolled: 1-line block ×4, first 2 shown]
	v_mov_b32_e32 v62, 0
	v_mov_b32_e32 v60, 0
	;; [unrolled: 1-line block ×4, first 2 shown]
	v_dot4c_i32_i8_e32 v62, v210, v4
	v_dot4c_i32_i8_e32 v60, v192, v4
	s_waitcnt lgkmcnt(9)
	v_dot4c_i32_i8_e32 v58, v164, v4
	s_waitcnt lgkmcnt(3)
	v_dot4c_i32_i8_e32 v56, v158, v4
	v_dot4c_i32_i8_e32 v62, v211, v5
	v_dot4c_i32_i8_e32 v60, v193, v5
	v_dot4c_i32_i8_e32 v58, v165, v5
	v_dot4c_i32_i8_e32 v56, v159, v5
	v_dot4c_i32_i8_e32 v62, v222, v6
	v_dot4c_i32_i8_e32 v60, v204, v6
	v_dot4c_i32_i8_e32 v58, v182, v6
	s_waitcnt lgkmcnt(2)
	v_dot4c_i32_i8_e32 v56, v152, v6
	v_dot4c_i32_i8_e32 v62, v223, v7
	;; [unrolled: 1-line block ×8, first 2 shown]
	s_waitcnt lgkmcnt(1)
	v_dot4c_i32_i8_e32 v56, v154, v0
	v_dot4c_i32_i8_e32 v62, v225, v1
	;; [unrolled: 1-line block ×5, first 2 shown]
	v_or_b32_e32 v0, s18, v107
	v_dot4c_i32_i8_e32 v54, v218, v10
	v_dot4c_i32_i8_e32 v62, v226, v2
	;; [unrolled: 1-line block ×7, first 2 shown]
	s_waitcnt lgkmcnt(0)
	v_dot4c_i32_i8_e32 v56, v156, v2
	v_lshlrev_b32_e32 v1, 2, v0
	v_dot4c_i32_i8_e32 v54, v219, v11
	v_dot4c_i32_i8_e32 v62, v227, v3
	;; [unrolled: 1-line block ×7, first 2 shown]
	v_and_b32_e32 v189, 0xff, v8
	v_cvt_f32_ubyte0_e32 v150, v9
	v_dot4c_i32_i8_e32 v56, v157, v3
	v_lshrrev_b16_e32 v181, 8, v8
	v_cvt_f32_ubyte1_e32 v148, v9
	v_lshrrev_b32_e32 v68, 1, v0
	ds_read_b128 v[12:15], v1 offset:33280
	ds_read_b128 v[8:11], v1 offset:33296
	;; [unrolled: 1-line block ×4, first 2 shown]
	v_mov_b32_e32 v69, 0
	s_waitcnt lgkmcnt(3)
	v_dot4c_i32_i8_e32 v69, v212, v12
	v_dot4c_i32_i8_e32 v69, v213, v13
	v_mov_b32_e32 v70, 0
	v_dot4c_i32_i8_e32 v69, v214, v14
	s_waitcnt lgkmcnt(1)
	v_dot4c_i32_i8_e32 v70, v210, v4
	v_dot4c_i32_i8_e32 v69, v215, v15
	;; [unrolled: 1-line block ×5, first 2 shown]
	ds_read_b64 v[64:65], v228 offset:43584
	ds_read_b64 v[230:231], v68 offset:43584
	v_dot4c_i32_i8_e32 v69, v217, v9
	v_dot4c_i32_i8_e32 v70, v223, v7
	;; [unrolled: 1-line block ×3, first 2 shown]
	s_waitcnt lgkmcnt(2)
	v_dot4c_i32_i8_e32 v70, v224, v0
	v_dot4c_i32_i8_e32 v69, v219, v11
	;; [unrolled: 1-line block ×4, first 2 shown]
	s_waitcnt lgkmcnt(1)
	v_cvt_f32_f16_e32 v232, v64
	v_cvt_f32_f16_sdwa v234, v64 dst_sel:DWORD dst_unused:UNUSED_PAD src0_sel:WORD_1
	v_mul_lo_u32 v54, v54, v254
	v_mul_lo_u32 v64, v69, v254
	v_dot4c_i32_i8_e32 v70, v227, v3
	s_waitcnt lgkmcnt(0)
	v_cvt_f32_f16_e32 v233, v230
	v_cvt_f32_f16_sdwa v235, v230 dst_sel:DWORD dst_unused:UNUSED_PAD src0_sel:WORD_1
	v_cvt_f32_f16_e32 v228, v65
	v_cvt_f32_f16_sdwa v230, v65 dst_sel:DWORD dst_unused:UNUSED_PAD src0_sel:WORD_1
	v_cvt_f32_i32_e32 v65, v64
	v_cvt_f32_i32_e32 v64, v54
	v_mul_lo_u32 v54, v62, v255
	v_mul_lo_u32 v62, v70, v255
	v_cvt_f32_i32_e32 v70, v54
	v_mov_b32_e32 v54, 0
	v_cvt_f32_i32_e32 v71, v62
	v_dot4c_i32_i8_e32 v54, v190, v12
	v_mov_b32_e32 v62, 0
	v_cvt_f32_f16_e32 v229, v231
	v_cvt_f32_f16_sdwa v231, v231 dst_sel:DWORD dst_unused:UNUSED_PAD src0_sel:WORD_1
	v_dot4c_i32_i8_e32 v54, v191, v13
	v_dot4c_i32_i8_e32 v62, v192, v4
	;; [unrolled: 1-line block ×6, first 2 shown]
	v_pk_fma_f32 v[68:69], v[202:203], v[234:235], 0 op_sel_hi:[0,1,0]
	v_dot4c_i32_i8_e32 v54, v196, v8
	v_dot4c_i32_i8_e32 v62, v205, v7
	v_pk_fma_f32 v[64:65], v[232:233], v[64:65], 0 op_sel_hi:[1,1,0]
	v_pk_fma_f32 v[68:69], v[220:221], v[230:231], v[68:69] op_sel_hi:[0,1,1]
	v_dot4c_i32_i8_e32 v54, v197, v9
	v_dot4c_i32_i8_e32 v62, v206, v0
	v_pk_fma_f32 v[64:65], v[228:229], v[70:71], v[64:65]
	v_pk_mul_f32 v[68:69], v[68:69], v[134:135]
	v_dot4c_i32_i8_e32 v54, v198, v10
	v_dot4c_i32_i8_e32 v62, v207, v1
	v_pk_fma_f32 v[64:65], v[64:65], v[132:133], v[68:69] neg_lo:[0,0,1] neg_hi:[0,0,1]
	v_dot4c_i32_i8_e32 v54, v199, v11
	v_dot4c_i32_i8_e32 v62, v208, v2
	v_pk_add_f32 v[52:53], v[52:53], v[64:65]
	v_dot4c_i32_i8_e32 v62, v209, v3
	v_mul_lo_u32 v64, v55, v252
	v_mul_lo_u32 v54, v54, v252
	v_cvt_f32_i32_e32 v55, v54
	v_cvt_f32_i32_e32 v54, v64
	v_mul_lo_u32 v60, v60, v253
	v_mul_lo_u32 v62, v62, v253
	v_cvt_f32_i32_e32 v69, v62
	v_cvt_f32_i32_e32 v68, v60
	v_pk_fma_f32 v[64:65], v[188:189], v[234:235], 0 op_sel_hi:[0,1,0]
	v_pk_fma_f32 v[54:55], v[232:233], v[54:55], 0 op_sel_hi:[1,1,0]
	;; [unrolled: 1-line block ×3, first 2 shown]
	v_pk_fma_f32 v[54:55], v[228:229], v[68:69], v[54:55]
	v_pk_mul_f32 v[64:65], v[64:65], v[138:139]
	v_mov_b32_e32 v60, 0
	v_pk_fma_f32 v[54:55], v[54:55], v[136:137], v[64:65] neg_lo:[0,0,1] neg_hi:[0,0,1]
	v_dot4c_i32_i8_e32 v60, v164, v4
	v_pk_add_f32 v[50:51], v[50:51], v[54:55]
	v_mov_b32_e32 v54, 0
	v_dot4c_i32_i8_e32 v54, v162, v12
	v_dot4c_i32_i8_e32 v54, v163, v13
	;; [unrolled: 1-line block ×15, first 2 shown]
	v_mul_lo_u32 v57, v57, v201
	v_mul_lo_u32 v54, v54, v201
	v_cvt_f32_i32_e32 v55, v54
	v_cvt_f32_i32_e32 v54, v57
	v_mul_lo_u32 v57, v58, v203
	v_mul_lo_u32 v58, v60, v203
	v_cvt_f32_i32_e32 v69, v58
	v_cvt_f32_i32_e32 v68, v57
	v_pk_fma_f32 v[64:65], v[160:161], v[234:235], 0 op_sel_hi:[0,1,0]
	v_pk_fma_f32 v[54:55], v[232:233], v[54:55], 0 op_sel_hi:[1,1,0]
	;; [unrolled: 1-line block ×3, first 2 shown]
	v_pk_fma_f32 v[54:55], v[228:229], v[68:69], v[54:55]
	v_pk_mul_f32 v[64:65], v[64:65], v[142:143]
	v_mov_b32_e32 v58, 0
	v_pk_fma_f32 v[54:55], v[54:55], v[140:141], v[64:65] neg_lo:[0,0,1] neg_hi:[0,0,1]
	v_mov_b32_e32 v60, 0
	v_pk_add_f32 v[42:43], v[42:43], v[54:55]
	v_mov_b32_e32 v54, 0
	v_dot4c_i32_i8_e32 v54, v166, v12
	v_dot4c_i32_i8_e32 v54, v167, v13
	;; [unrolled: 1-line block ×5, first 2 shown]
	v_mov_b32_e32 v8, 0
	v_dot4c_i32_i8_e32 v8, v158, v4
	v_dot4c_i32_i8_e32 v8, v159, v5
	;; [unrolled: 1-line block ×11, first 2 shown]
	v_mul_lo_u32 v0, v45, v189
	v_mul_lo_u32 v1, v54, v189
	v_cvt_f32_i32_e32 v1, v1
	v_cvt_f32_i32_e32 v0, v0
	v_mul_lo_u32 v4, v56, v181
	v_mul_lo_u32 v5, v8, v181
	v_cvt_f32_i32_e32 v5, v5
	v_cvt_f32_i32_e32 v4, v4
	v_pk_fma_f32 v[2:3], v[150:151], v[234:235], 0 op_sel_hi:[0,1,0]
	v_pk_fma_f32 v[0:1], v[232:233], v[0:1], 0 op_sel_hi:[1,1,0]
	;; [unrolled: 1-line block ×3, first 2 shown]
	v_pk_fma_f32 v[0:1], v[228:229], v[4:5], v[0:1]
	v_pk_mul_f32 v[2:3], v[2:3], v[146:147]
	v_mov_b32_e32 v62, 0
	v_pk_fma_f32 v[0:1], v[0:1], v[144:145], v[2:3] neg_lo:[0,0,1] neg_hi:[0,0,1]
	v_mov_b32_e32 v76, 0
	v_pk_add_f32 v[40:41], v[40:41], v[0:1]
	v_or_b32_e32 v0, s18, v109
	v_lshlrev_b32_e32 v1, 2, v0
	v_lshrrev_b32_e32 v57, 1, v0
	ds_read_b128 v[12:15], v1 offset:33280
	ds_read_b128 v[8:11], v1 offset:33296
	;; [unrolled: 1-line block ×4, first 2 shown]
	v_mov_b32_e32 v55, 0
	v_mov_b32_e32 v56, 0
	v_mov_b32_e32 v45, 0
	v_mov_b32_e32 v54, 0
	s_waitcnt lgkmcnt(3)
	v_dot4c_i32_i8_e32 v58, v212, v12
	s_waitcnt lgkmcnt(1)
	v_dot4c_i32_i8_e32 v60, v210, v4
	v_dot4c_i32_i8_e32 v62, v190, v12
	;; [unrolled: 1-line block ×32, first 2 shown]
	s_waitcnt lgkmcnt(0)
	v_dot4c_i32_i8_e32 v60, v224, v0
	v_dot4c_i32_i8_e32 v62, v196, v8
	;; [unrolled: 1-line block ×15, first 2 shown]
	v_or_b32_e32 v0, s18, v111
	v_dot4c_i32_i8_e32 v58, v218, v10
	v_dot4c_i32_i8_e32 v60, v226, v2
	;; [unrolled: 1-line block ×8, first 2 shown]
	v_lshlrev_b32_e32 v1, 2, v0
	v_dot4c_i32_i8_e32 v58, v219, v11
	v_dot4c_i32_i8_e32 v60, v227, v3
	;; [unrolled: 1-line block ×8, first 2 shown]
	v_lshrrev_b32_e32 v68, 1, v0
	ds_read_b128 v[12:15], v1 offset:33280
	ds_read_b128 v[8:11], v1 offset:33296
	;; [unrolled: 1-line block ×4, first 2 shown]
	v_mov_b32_e32 v70, 0
	s_waitcnt lgkmcnt(3)
	v_dot4c_i32_i8_e32 v70, v212, v12
	v_mov_b32_e32 v71, 0
	v_dot4c_i32_i8_e32 v70, v213, v13
	s_waitcnt lgkmcnt(1)
	v_dot4c_i32_i8_e32 v71, v210, v4
	v_dot4c_i32_i8_e32 v70, v214, v14
	;; [unrolled: 1-line block ×7, first 2 shown]
	ds_read_b64 v[64:65], v57 offset:43584
	ds_read_b64 v[68:69], v68 offset:43584
	v_dot4c_i32_i8_e32 v70, v217, v9
	s_waitcnt lgkmcnt(2)
	v_dot4c_i32_i8_e32 v71, v224, v0
	v_dot4c_i32_i8_e32 v70, v218, v10
	v_dot4c_i32_i8_e32 v71, v225, v1
	v_dot4c_i32_i8_e32 v70, v219, v11
	v_dot4c_i32_i8_e32 v71, v226, v2
	v_mul_lo_u32 v57, v58, v254
	v_dot4c_i32_i8_e32 v71, v227, v3
	s_waitcnt lgkmcnt(1)
	v_cvt_f32_f16_e32 v232, v64
	v_cvt_f32_f16_sdwa v234, v64 dst_sel:DWORD dst_unused:UNUSED_PAD src0_sel:WORD_1
	v_mul_lo_u32 v58, v70, v254
	v_cvt_f32_i32_e32 v64, v57
	v_mul_lo_u32 v57, v60, v255
	v_cvt_f32_f16_e32 v228, v65
	v_cvt_f32_f16_sdwa v230, v65 dst_sel:DWORD dst_unused:UNUSED_PAD src0_sel:WORD_1
	v_cvt_f32_i32_e32 v65, v58
	v_mul_lo_u32 v58, v71, v255
	v_cvt_f32_i32_e32 v70, v57
	v_mov_b32_e32 v57, 0
	v_cvt_f32_i32_e32 v71, v58
	v_dot4c_i32_i8_e32 v57, v190, v12
	v_mov_b32_e32 v58, 0
	s_waitcnt lgkmcnt(0)
	v_cvt_f32_f16_sdwa v235, v68 dst_sel:DWORD dst_unused:UNUSED_PAD src0_sel:WORD_1
	v_dot4c_i32_i8_e32 v57, v191, v13
	v_dot4c_i32_i8_e32 v58, v192, v4
	v_cvt_f32_f16_e32 v233, v68
	v_cvt_f32_f16_sdwa v231, v69 dst_sel:DWORD dst_unused:UNUSED_PAD src0_sel:WORD_1
	v_dot4c_i32_i8_e32 v57, v194, v14
	v_dot4c_i32_i8_e32 v58, v193, v5
	v_cvt_f32_f16_e32 v229, v69
	v_dot4c_i32_i8_e32 v57, v195, v15
	v_dot4c_i32_i8_e32 v58, v204, v6
	v_dot4c_i32_i8_e32 v57, v196, v8
	v_dot4c_i32_i8_e32 v58, v205, v7
	v_pk_fma_f32 v[68:69], v[202:203], v[234:235], 0 op_sel_hi:[0,1,0]
	v_dot4c_i32_i8_e32 v57, v197, v9
	v_dot4c_i32_i8_e32 v58, v206, v0
	v_pk_fma_f32 v[64:65], v[64:65], v[232:233], 0 op_sel_hi:[1,1,0]
	v_pk_fma_f32 v[68:69], v[220:221], v[230:231], v[68:69] op_sel_hi:[0,1,1]
	v_dot4c_i32_i8_e32 v57, v198, v10
	v_dot4c_i32_i8_e32 v58, v207, v1
	v_pk_fma_f32 v[64:65], v[70:71], v[228:229], v[64:65]
	v_pk_mul_f32 v[68:69], v[68:69], v[134:135]
	v_dot4c_i32_i8_e32 v57, v199, v11
	v_dot4c_i32_i8_e32 v58, v208, v2
	v_pk_fma_f32 v[64:65], v[64:65], v[132:133], v[68:69] neg_lo:[0,0,1] neg_hi:[0,0,1]
	v_dot4c_i32_i8_e32 v58, v209, v3
	v_mul_lo_u32 v57, v57, v252
	v_pk_add_f32 v[38:39], v[38:39], v[64:65]
	v_cvt_f32_i32_e32 v65, v57
	v_mul_lo_u32 v57, v76, v253
	v_mul_lo_u32 v58, v58, v253
	v_cvt_f32_i32_e32 v71, v58
	v_cvt_f32_i32_e32 v70, v57
	v_mov_b32_e32 v57, 0
	v_mov_b32_e32 v58, 0
	v_mul_lo_u32 v60, v62, v252
	v_dot4c_i32_i8_e32 v57, v162, v12
	v_dot4c_i32_i8_e32 v58, v164, v4
	v_cvt_f32_i32_e32 v64, v60
	v_dot4c_i32_i8_e32 v57, v163, v13
	v_dot4c_i32_i8_e32 v58, v165, v5
	;; [unrolled: 1-line block ×6, first 2 shown]
	v_pk_fma_f32 v[68:69], v[188:189], v[234:235], 0 op_sel_hi:[0,1,0]
	v_dot4c_i32_i8_e32 v57, v170, v8
	v_dot4c_i32_i8_e32 v58, v184, v0
	v_pk_fma_f32 v[64:65], v[64:65], v[232:233], 0 op_sel_hi:[1,1,0]
	v_pk_fma_f32 v[68:69], v[200:201], v[230:231], v[68:69] op_sel_hi:[0,1,1]
	v_dot4c_i32_i8_e32 v57, v171, v9
	v_dot4c_i32_i8_e32 v58, v185, v1
	v_pk_fma_f32 v[64:65], v[70:71], v[228:229], v[64:65]
	v_pk_mul_f32 v[68:69], v[68:69], v[138:139]
	v_dot4c_i32_i8_e32 v57, v174, v10
	v_dot4c_i32_i8_e32 v58, v186, v2
	v_pk_fma_f32 v[64:65], v[64:65], v[136:137], v[68:69] neg_lo:[0,0,1] neg_hi:[0,0,1]
	v_dot4c_i32_i8_e32 v57, v175, v11
	v_dot4c_i32_i8_e32 v58, v187, v3
	v_mul_lo_u32 v55, v55, v201
	v_pk_add_f32 v[36:37], v[36:37], v[64:65]
	v_mul_lo_u32 v57, v57, v201
	v_cvt_f32_i32_e32 v64, v55
	v_mul_lo_u32 v55, v56, v203
	v_mul_lo_u32 v56, v58, v203
	v_cvt_f32_i32_e32 v65, v57
	v_cvt_f32_i32_e32 v57, v56
	;; [unrolled: 1-line block ×3, first 2 shown]
	v_mov_b32_e32 v55, 0
	v_dot4c_i32_i8_e32 v55, v166, v12
	v_dot4c_i32_i8_e32 v55, v167, v13
	;; [unrolled: 1-line block ×5, first 2 shown]
	v_mov_b32_e32 v8, 0
	v_dot4c_i32_i8_e32 v8, v158, v4
	v_dot4c_i32_i8_e32 v8, v159, v5
	;; [unrolled: 1-line block ×11, first 2 shown]
	v_mul_lo_u32 v0, v45, v189
	v_mul_lo_u32 v1, v55, v189
	v_cvt_f32_i32_e32 v1, v1
	v_cvt_f32_i32_e32 v0, v0
	v_mul_lo_u32 v4, v54, v181
	v_mul_lo_u32 v5, v8, v181
	v_cvt_f32_i32_e32 v5, v5
	v_cvt_f32_i32_e32 v4, v4
	v_pk_fma_f32 v[2:3], v[150:151], v[234:235], 0 op_sel_hi:[0,1,0]
	v_pk_fma_f32 v[0:1], v[0:1], v[232:233], 0 op_sel_hi:[1,1,0]
	;; [unrolled: 1-line block ×3, first 2 shown]
	v_pk_fma_f32 v[0:1], v[4:5], v[228:229], v[0:1]
	v_pk_mul_f32 v[2:3], v[2:3], v[146:147]
	v_pk_fma_f32 v[64:65], v[64:65], v[232:233], 0 op_sel_hi:[1,1,0]
	v_pk_fma_f32 v[0:1], v[0:1], v[144:145], v[2:3] neg_lo:[0,0,1] neg_hi:[0,0,1]
	v_pk_fma_f32 v[68:69], v[160:161], v[234:235], 0 op_sel_hi:[0,1,0]
	v_pk_add_f32 v[32:33], v[32:33], v[0:1]
	v_or_b32_e32 v0, s18, v113
	v_lshlrev_b32_e32 v1, 2, v0
	v_pk_fma_f32 v[56:57], v[56:57], v[228:229], v[64:65]
	v_pk_fma_f32 v[64:65], v[180:181], v[230:231], v[68:69] op_sel_hi:[0,1,1]
	v_lshrrev_b32_e32 v54, 1, v0
	ds_read_b128 v[12:15], v1 offset:33280
	ds_read_b128 v[8:11], v1 offset:33296
	;; [unrolled: 1-line block ×4, first 2 shown]
	v_pk_mul_f32 v[64:65], v[64:65], v[142:143]
	v_mov_b32_e32 v62, 0
	v_pk_fma_f32 v[56:57], v[56:57], v[140:141], v[64:65] neg_lo:[0,0,1] neg_hi:[0,0,1]
	v_mov_b32_e32 v70, 0
	v_pk_add_f32 v[34:35], v[34:35], v[56:57]
	v_mov_b32_e32 v56, 0
	v_mov_b32_e32 v60, 0
	;; [unrolled: 1-line block ×6, first 2 shown]
	s_waitcnt lgkmcnt(3)
	v_dot4c_i32_i8_e32 v62, v212, v12
	s_waitcnt lgkmcnt(1)
	v_dot4c_i32_i8_e32 v70, v210, v4
	v_dot4c_i32_i8_e32 v56, v190, v12
	;; [unrolled: 1-line block ×32, first 2 shown]
	s_waitcnt lgkmcnt(0)
	v_dot4c_i32_i8_e32 v70, v224, v0
	v_dot4c_i32_i8_e32 v56, v196, v8
	;; [unrolled: 1-line block ×15, first 2 shown]
	v_or_b32_e32 v0, s18, v115
	v_dot4c_i32_i8_e32 v62, v218, v10
	v_dot4c_i32_i8_e32 v70, v226, v2
	;; [unrolled: 1-line block ×8, first 2 shown]
	v_lshlrev_b32_e32 v1, 2, v0
	v_dot4c_i32_i8_e32 v62, v219, v11
	v_dot4c_i32_i8_e32 v70, v227, v3
	;; [unrolled: 1-line block ×8, first 2 shown]
	v_lshrrev_b32_e32 v68, 1, v0
	ds_read_b128 v[12:15], v1 offset:33280
	ds_read_b128 v[8:11], v1 offset:33296
	;; [unrolled: 1-line block ×4, first 2 shown]
	v_mov_b32_e32 v71, 0
	s_waitcnt lgkmcnt(3)
	v_dot4c_i32_i8_e32 v71, v212, v12
	v_mov_b32_e32 v76, 0
	v_dot4c_i32_i8_e32 v71, v213, v13
	s_waitcnt lgkmcnt(1)
	v_dot4c_i32_i8_e32 v76, v210, v4
	ds_read_b64 v[64:65], v54 offset:43584
	ds_read_b64 v[68:69], v68 offset:43584
	v_dot4c_i32_i8_e32 v71, v214, v14
	v_dot4c_i32_i8_e32 v76, v211, v5
	;; [unrolled: 1-line block ×6, first 2 shown]
	v_mul_lo_u32 v54, v62, v254
	v_dot4c_i32_i8_e32 v71, v217, v9
	s_waitcnt lgkmcnt(2)
	v_dot4c_i32_i8_e32 v76, v224, v0
	s_waitcnt lgkmcnt(1)
	v_cvt_f32_f16_e32 v232, v64
	v_cvt_f32_f16_sdwa v234, v64 dst_sel:DWORD dst_unused:UNUSED_PAD src0_sel:WORD_1
	v_cvt_f32_i32_e32 v64, v54
	v_mul_lo_u32 v54, v70, v255
	v_dot4c_i32_i8_e32 v71, v218, v10
	v_dot4c_i32_i8_e32 v76, v225, v1
	v_cvt_f32_i32_e32 v70, v54
	v_mov_b32_e32 v54, 0
	v_dot4c_i32_i8_e32 v71, v219, v11
	v_dot4c_i32_i8_e32 v76, v226, v2
	;; [unrolled: 1-line block ×4, first 2 shown]
	s_waitcnt lgkmcnt(0)
	v_cvt_f32_f16_sdwa v235, v68 dst_sel:DWORD dst_unused:UNUSED_PAD src0_sel:WORD_1
	v_mul_lo_u32 v62, v71, v254
	v_dot4c_i32_i8_e32 v54, v191, v13
	v_cvt_f32_f16_e32 v233, v68
	v_cvt_f32_f16_e32 v228, v65
	v_cvt_f32_f16_sdwa v231, v69 dst_sel:DWORD dst_unused:UNUSED_PAD src0_sel:WORD_1
	v_cvt_f32_f16_sdwa v230, v65 dst_sel:DWORD dst_unused:UNUSED_PAD src0_sel:WORD_1
	v_cvt_f32_i32_e32 v65, v62
	v_mul_lo_u32 v62, v76, v255
	v_dot4c_i32_i8_e32 v54, v194, v14
	v_cvt_f32_f16_e32 v229, v69
	v_cvt_f32_i32_e32 v71, v62
	v_dot4c_i32_i8_e32 v54, v195, v15
	v_dot4c_i32_i8_e32 v54, v196, v8
	v_pk_fma_f32 v[68:69], v[202:203], v[234:235], 0 op_sel_hi:[0,1,0]
	v_dot4c_i32_i8_e32 v54, v197, v9
	v_pk_fma_f32 v[64:65], v[64:65], v[232:233], 0 op_sel_hi:[1,1,0]
	v_pk_fma_f32 v[68:69], v[220:221], v[230:231], v[68:69] op_sel_hi:[0,1,1]
	v_dot4c_i32_i8_e32 v54, v198, v10
	v_pk_fma_f32 v[64:65], v[70:71], v[228:229], v[64:65]
	v_pk_mul_f32 v[68:69], v[68:69], v[134:135]
	v_dot4c_i32_i8_e32 v54, v199, v11
	v_pk_fma_f32 v[64:65], v[64:65], v[132:133], v[68:69] neg_lo:[0,0,1] neg_hi:[0,0,1]
	v_mov_b32_e32 v62, 0
	v_pk_add_f32 v[30:31], v[30:31], v[64:65]
	v_mul_lo_u32 v54, v54, v252
	v_dot4c_i32_i8_e32 v62, v192, v4
	v_cvt_f32_i32_e32 v65, v54
	v_mul_lo_u32 v54, v60, v253
	v_dot4c_i32_i8_e32 v62, v193, v5
	v_cvt_f32_i32_e32 v70, v54
	v_mov_b32_e32 v54, 0
	v_dot4c_i32_i8_e32 v62, v204, v6
	v_dot4c_i32_i8_e32 v54, v162, v12
	v_mov_b32_e32 v60, 0
	v_dot4c_i32_i8_e32 v62, v205, v7
	v_dot4c_i32_i8_e32 v54, v163, v13
	v_dot4c_i32_i8_e32 v60, v164, v4
	v_dot4c_i32_i8_e32 v62, v206, v0
	v_dot4c_i32_i8_e32 v54, v168, v14
	v_dot4c_i32_i8_e32 v60, v165, v5
	v_dot4c_i32_i8_e32 v62, v207, v1
	v_dot4c_i32_i8_e32 v54, v169, v15
	v_dot4c_i32_i8_e32 v60, v182, v6
	v_dot4c_i32_i8_e32 v62, v208, v2
	v_dot4c_i32_i8_e32 v54, v170, v8
	v_dot4c_i32_i8_e32 v60, v183, v7
	v_dot4c_i32_i8_e32 v62, v209, v3
	v_mul_lo_u32 v56, v56, v252
	v_dot4c_i32_i8_e32 v54, v171, v9
	v_dot4c_i32_i8_e32 v60, v184, v0
	v_cvt_f32_i32_e32 v64, v56
	v_mul_lo_u32 v56, v62, v253
	v_dot4c_i32_i8_e32 v54, v174, v10
	v_dot4c_i32_i8_e32 v60, v185, v1
	v_cvt_f32_i32_e32 v71, v56
	v_dot4c_i32_i8_e32 v54, v175, v11
	v_dot4c_i32_i8_e32 v60, v186, v2
	;; [unrolled: 1-line block ×3, first 2 shown]
	v_mul_lo_u32 v56, v57, v201
	v_mul_lo_u32 v54, v54, v201
	v_pk_fma_f32 v[68:69], v[188:189], v[234:235], 0 op_sel_hi:[0,1,0]
	v_cvt_f32_i32_e32 v57, v54
	v_cvt_f32_i32_e32 v56, v56
	v_mul_lo_u32 v54, v55, v203
	v_mul_lo_u32 v55, v60, v203
	v_pk_fma_f32 v[64:65], v[64:65], v[232:233], 0 op_sel_hi:[1,1,0]
	v_pk_fma_f32 v[68:69], v[200:201], v[230:231], v[68:69] op_sel_hi:[0,1,1]
	v_cvt_f32_i32_e32 v55, v55
	v_cvt_f32_i32_e32 v54, v54
	v_pk_fma_f32 v[64:65], v[70:71], v[228:229], v[64:65]
	v_pk_mul_f32 v[68:69], v[68:69], v[138:139]
	v_pk_fma_f32 v[56:57], v[56:57], v[232:233], 0 op_sel_hi:[1,1,0]
	v_pk_fma_f32 v[64:65], v[64:65], v[136:137], v[68:69] neg_lo:[0,0,1] neg_hi:[0,0,1]
	v_pk_fma_f32 v[54:55], v[54:55], v[228:229], v[56:57]
	v_pk_add_f32 v[28:29], v[28:29], v[64:65]
	v_pk_fma_f32 v[64:65], v[160:161], v[234:235], 0 op_sel_hi:[0,1,0]
	v_pk_fma_f32 v[56:57], v[180:181], v[230:231], v[64:65] op_sel_hi:[0,1,1]
	v_pk_mul_f32 v[56:57], v[56:57], v[142:143]
	v_mov_b32_e32 v60, 0
	v_pk_fma_f32 v[54:55], v[54:55], v[140:141], v[56:57] neg_lo:[0,0,1] neg_hi:[0,0,1]
	v_mov_b32_e32 v62, 0
	v_pk_add_f32 v[26:27], v[26:27], v[54:55]
	v_mov_b32_e32 v54, 0
	v_dot4c_i32_i8_e32 v54, v166, v12
	v_dot4c_i32_i8_e32 v54, v167, v13
	v_dot4c_i32_i8_e32 v54, v172, v14
	v_dot4c_i32_i8_e32 v54, v173, v15
	v_dot4c_i32_i8_e32 v54, v176, v8
	v_mov_b32_e32 v8, 0
	v_dot4c_i32_i8_e32 v8, v158, v4
	v_dot4c_i32_i8_e32 v8, v159, v5
	;; [unrolled: 1-line block ×11, first 2 shown]
	v_mul_lo_u32 v0, v45, v189
	v_mul_lo_u32 v1, v54, v189
	v_cvt_f32_i32_e32 v1, v1
	v_cvt_f32_i32_e32 v0, v0
	v_mul_lo_u32 v4, v58, v181
	v_mul_lo_u32 v5, v8, v181
	v_cvt_f32_i32_e32 v5, v5
	v_cvt_f32_i32_e32 v4, v4
	v_pk_fma_f32 v[2:3], v[150:151], v[234:235], 0 op_sel_hi:[0,1,0]
	v_pk_fma_f32 v[0:1], v[0:1], v[232:233], 0 op_sel_hi:[1,1,0]
	;; [unrolled: 1-line block ×3, first 2 shown]
	v_pk_fma_f32 v[0:1], v[4:5], v[228:229], v[0:1]
	v_pk_mul_f32 v[2:3], v[2:3], v[146:147]
	v_mov_b32_e32 v58, 0
	v_pk_fma_f32 v[0:1], v[0:1], v[144:145], v[2:3] neg_lo:[0,0,1] neg_hi:[0,0,1]
	v_mov_b32_e32 v68, 0
	v_pk_add_f32 v[24:25], v[24:25], v[0:1]
	v_or_b32_e32 v0, s18, v117
	v_lshlrev_b32_e32 v1, 2, v0
	v_lshrrev_b32_e32 v45, 1, v0
	ds_read_b128 v[12:15], v1 offset:33280
	ds_read_b128 v[8:11], v1 offset:33296
	;; [unrolled: 1-line block ×4, first 2 shown]
	v_mov_b32_e32 v230, 0
	v_mov_b32_e32 v231, 0
	v_mov_b32_e32 v229, 0
	v_mov_b32_e32 v228, 0
	s_waitcnt lgkmcnt(3)
	v_dot4c_i32_i8_e32 v58, v212, v12
	s_waitcnt lgkmcnt(1)
	v_dot4c_i32_i8_e32 v60, v210, v4
	v_dot4c_i32_i8_e32 v62, v190, v12
	;; [unrolled: 1-line block ×32, first 2 shown]
	s_waitcnt lgkmcnt(0)
	v_dot4c_i32_i8_e32 v60, v224, v0
	v_dot4c_i32_i8_e32 v62, v196, v8
	;; [unrolled: 1-line block ×15, first 2 shown]
	v_or_b32_e32 v0, s18, v119
	v_dot4c_i32_i8_e32 v58, v218, v10
	v_dot4c_i32_i8_e32 v60, v226, v2
	;; [unrolled: 1-line block ×8, first 2 shown]
	v_lshlrev_b32_e32 v1, 2, v0
	v_dot4c_i32_i8_e32 v58, v219, v11
	v_dot4c_i32_i8_e32 v60, v227, v3
	;; [unrolled: 1-line block ×8, first 2 shown]
	v_lshrrev_b32_e32 v56, 1, v0
	ds_read_b128 v[12:15], v1 offset:33280
	ds_read_b128 v[8:11], v1 offset:33296
	;; [unrolled: 1-line block ×4, first 2 shown]
	v_mov_b32_e32 v64, 0
	s_waitcnt lgkmcnt(3)
	v_dot4c_i32_i8_e32 v64, v212, v12
	v_dot4c_i32_i8_e32 v64, v213, v13
	;; [unrolled: 1-line block ×4, first 2 shown]
	s_waitcnt lgkmcnt(2)
	v_dot4c_i32_i8_e32 v64, v216, v8
	v_mov_b32_e32 v65, 0
	ds_read_b64 v[54:55], v45 offset:43584
	ds_read_b64 v[56:57], v56 offset:43584
	v_dot4c_i32_i8_e32 v64, v217, v9
	s_waitcnt lgkmcnt(3)
	v_dot4c_i32_i8_e32 v65, v210, v4
	v_dot4c_i32_i8_e32 v64, v218, v10
	;; [unrolled: 1-line block ×6, first 2 shown]
	s_waitcnt lgkmcnt(1)
	v_cvt_f32_f16_e32 v216, v54
	v_cvt_f32_f16_sdwa v214, v54 dst_sel:DWORD dst_unused:UNUSED_PAD src0_sel:WORD_1
	v_mul_lo_u32 v45, v58, v254
	v_mul_lo_u32 v54, v64, v254
	v_dot4c_i32_i8_e32 v65, v224, v0
	v_cvt_f32_f16_e32 v212, v55
	v_cvt_f32_f16_sdwa v210, v55 dst_sel:DWORD dst_unused:UNUSED_PAD src0_sel:WORD_1
	v_cvt_f32_i32_e32 v55, v54
	v_cvt_f32_i32_e32 v54, v45
	v_mul_lo_u32 v45, v60, v255
	v_dot4c_i32_i8_e32 v65, v225, v1
	v_cvt_f32_i32_e32 v64, v45
	v_mov_b32_e32 v45, 0
	v_dot4c_i32_i8_e32 v65, v226, v2
	v_dot4c_i32_i8_e32 v45, v190, v12
	;; [unrolled: 1-line block ×3, first 2 shown]
	s_waitcnt lgkmcnt(0)
	v_cvt_f32_f16_sdwa v215, v56 dst_sel:DWORD dst_unused:UNUSED_PAD src0_sel:WORD_1
	v_dot4c_i32_i8_e32 v45, v191, v13
	v_cvt_f32_f16_e32 v217, v56
	v_cvt_f32_f16_sdwa v211, v57 dst_sel:DWORD dst_unused:UNUSED_PAD src0_sel:WORD_1
	v_mul_lo_u32 v58, v65, v255
	v_dot4c_i32_i8_e32 v45, v194, v14
	v_cvt_f32_f16_e32 v213, v57
	v_cvt_f32_i32_e32 v65, v58
	v_dot4c_i32_i8_e32 v45, v195, v15
	v_dot4c_i32_i8_e32 v45, v196, v8
	v_mov_b32_e32 v58, 0
	v_pk_fma_f32 v[56:57], v[202:203], v[214:215], 0 op_sel_hi:[0,1,0]
	v_dot4c_i32_i8_e32 v45, v197, v9
	v_dot4c_i32_i8_e32 v58, v192, v4
	v_pk_fma_f32 v[54:55], v[54:55], v[216:217], 0 op_sel_hi:[1,1,0]
	v_pk_fma_f32 v[56:57], v[220:221], v[210:211], v[56:57] op_sel_hi:[0,1,1]
	v_dot4c_i32_i8_e32 v45, v198, v10
	v_dot4c_i32_i8_e32 v58, v193, v5
	v_pk_fma_f32 v[54:55], v[64:65], v[212:213], v[54:55]
	v_pk_mul_f32 v[56:57], v[56:57], v[134:135]
	v_dot4c_i32_i8_e32 v45, v199, v11
	v_dot4c_i32_i8_e32 v58, v204, v6
	v_pk_fma_f32 v[54:55], v[54:55], v[132:133], v[56:57] neg_lo:[0,0,1] neg_hi:[0,0,1]
	v_dot4c_i32_i8_e32 v58, v205, v7
	v_mul_lo_u32 v45, v45, v252
	v_pk_add_f32 v[22:23], v[22:23], v[54:55]
	v_dot4c_i32_i8_e32 v58, v206, v0
	v_cvt_f32_i32_e32 v55, v45
	v_mul_lo_u32 v45, v68, v253
	v_dot4c_i32_i8_e32 v58, v207, v1
	v_cvt_f32_i32_e32 v64, v45
	v_mov_b32_e32 v45, 0
	v_dot4c_i32_i8_e32 v58, v208, v2
	v_dot4c_i32_i8_e32 v45, v162, v12
	;; [unrolled: 1-line block ×3, first 2 shown]
	v_mul_lo_u32 v54, v62, v252
	v_dot4c_i32_i8_e32 v45, v163, v13
	v_cvt_f32_i32_e32 v54, v54
	v_mul_lo_u32 v58, v58, v253
	v_dot4c_i32_i8_e32 v45, v168, v14
	v_cvt_f32_i32_e32 v65, v58
	v_dot4c_i32_i8_e32 v45, v169, v15
	v_dot4c_i32_i8_e32 v45, v170, v8
	v_pk_fma_f32 v[56:57], v[188:189], v[214:215], 0 op_sel_hi:[0,1,0]
	v_dot4c_i32_i8_e32 v45, v171, v9
	v_pk_fma_f32 v[54:55], v[54:55], v[216:217], 0 op_sel_hi:[1,1,0]
	v_pk_fma_f32 v[56:57], v[200:201], v[210:211], v[56:57] op_sel_hi:[0,1,1]
	v_dot4c_i32_i8_e32 v45, v174, v10
	v_pk_fma_f32 v[54:55], v[64:65], v[212:213], v[54:55]
	v_pk_mul_f32 v[56:57], v[56:57], v[138:139]
	v_dot4c_i32_i8_e32 v45, v175, v11
	v_pk_fma_f32 v[54:55], v[54:55], v[136:137], v[56:57] neg_lo:[0,0,1] neg_hi:[0,0,1]
	v_mov_b32_e32 v58, 0
	v_pk_add_f32 v[20:21], v[20:21], v[54:55]
	v_mul_lo_u32 v45, v45, v201
	v_cvt_f32_i32_e32 v55, v45
	v_mul_lo_u32 v45, v231, v203
	v_cvt_f32_i32_e32 v64, v45
	v_mov_b32_e32 v45, 0
	v_dot4c_i32_i8_e32 v45, v166, v12
	v_dot4c_i32_i8_e32 v45, v167, v13
	;; [unrolled: 1-line block ×5, first 2 shown]
	v_mov_b32_e32 v8, 0
	v_dot4c_i32_i8_e32 v58, v164, v4
	v_dot4c_i32_i8_e32 v8, v158, v4
	v_dot4c_i32_i8_e32 v58, v165, v5
	v_dot4c_i32_i8_e32 v8, v159, v5
	v_dot4c_i32_i8_e32 v58, v182, v6
	v_dot4c_i32_i8_e32 v8, v152, v6
	v_dot4c_i32_i8_e32 v58, v183, v7
	v_dot4c_i32_i8_e32 v8, v153, v7
	v_dot4c_i32_i8_e32 v58, v184, v0
	v_dot4c_i32_i8_e32 v45, v177, v9
	v_dot4c_i32_i8_e32 v8, v154, v0
	v_dot4c_i32_i8_e32 v58, v185, v1
	v_dot4c_i32_i8_e32 v45, v178, v10
	v_dot4c_i32_i8_e32 v8, v155, v1
	v_dot4c_i32_i8_e32 v58, v186, v2
	v_dot4c_i32_i8_e32 v45, v179, v11
	v_dot4c_i32_i8_e32 v8, v156, v2
	v_dot4c_i32_i8_e32 v58, v187, v3
	v_mul_lo_u32 v54, v230, v201
	v_dot4c_i32_i8_e32 v8, v157, v3
	v_mul_lo_u32 v0, v229, v189
	v_mul_lo_u32 v1, v45, v189
	v_cvt_f32_i32_e32 v54, v54
	v_mul_lo_u32 v58, v58, v203
	v_cvt_f32_i32_e32 v1, v1
	v_cvt_f32_i32_e32 v0, v0
	v_mul_lo_u32 v4, v228, v181
	v_mul_lo_u32 v5, v8, v181
	v_cvt_f32_i32_e32 v65, v58
	v_cvt_f32_i32_e32 v5, v5
	;; [unrolled: 1-line block ×3, first 2 shown]
	v_pk_fma_f32 v[56:57], v[160:161], v[214:215], 0 op_sel_hi:[0,1,0]
	v_pk_fma_f32 v[2:3], v[150:151], v[214:215], 0 op_sel_hi:[0,1,0]
	;; [unrolled: 1-line block ×6, first 2 shown]
	v_pk_fma_f32 v[54:55], v[64:65], v[212:213], v[54:55]
	v_pk_mul_f32 v[56:57], v[56:57], v[142:143]
	v_pk_fma_f32 v[0:1], v[4:5], v[212:213], v[0:1]
	v_pk_mul_f32 v[2:3], v[2:3], v[146:147]
	v_pk_fma_f32 v[54:55], v[54:55], v[140:141], v[56:57] neg_lo:[0,0,1] neg_hi:[0,0,1]
	v_pk_fma_f32 v[0:1], v[0:1], v[144:145], v[2:3] neg_lo:[0,0,1] neg_hi:[0,0,1]
	v_pk_add_f32 v[18:19], v[18:19], v[54:55]
	v_pk_add_f32 v[16:17], v[16:17], v[0:1]
	s_mov_b32 s19, 8
	s_and_b64 vcc, exec, s[0:1]
	s_mov_b64 s[0:1], 0
	s_cbranch_vccnz .LBB174_6
; %bb.7:                                ;   in Loop: Header=BB174_5 Depth=1
	v_add_u32_e32 v14, s17, v95
	v_add_u32_e32 v0, v14, v77
	;; [unrolled: 1-line block ×6, first 2 shown]
	v_mad_i64_i32 v[0:1], s[0:1], v0, 36, v[126:127]
	v_mad_i64_i32 v[2:3], s[0:1], v2, 36, v[126:127]
	;; [unrolled: 1-line block ×4, first 2 shown]
	v_add_u32_e32 v8, v14, v85
	v_add_u32_e32 v10, v14, v87
	v_add_u32_e32 v12, v14, v89
	v_add_u32_e32 v14, v14, v91
	v_mad_u64_u32 v[54:55], s[0:1], v45, 36, s[2:3]
	s_barrier
	v_mad_i64_i32 v[8:9], s[0:1], v8, 36, v[126:127]
	v_mad_i64_i32 v[10:11], s[0:1], v10, 36, v[126:127]
	;; [unrolled: 1-line block ×4, first 2 shown]
	global_load_dword v45, v[54:55], off
	s_nop 0
	global_load_dword v0, v[0:1], off offset:4
	s_nop 0
	global_load_dword v1, v[2:3], off offset:4
	;; [unrolled: 2-line block ×3, first 2 shown]
	global_load_dword v3, v[6:7], off offset:4
	s_nop 0
	global_load_dword v4, v[8:9], off offset:4
	global_load_dword v5, v[10:11], off offset:4
	;; [unrolled: 1-line block ×4, first 2 shown]
	s_mov_b32 s0, 16
	s_waitcnt vmcnt(8)
	ds_write_b32 v73, v45
	s_waitcnt vmcnt(7)
	ds_write_b32 v236, v0
	;; [unrolled: 2-line block ×9, first 2 shown]
	s_waitcnt lgkmcnt(0)
	s_barrier
	ds_read_b32 v0, v93
	ds_read_b32 v1, v97 offset:128
	ds_read_b32 v2, v101 offset:256
	ds_read_b32 v3, v105 offset:384
	s_waitcnt lgkmcnt(2)
	v_cvt_f32_f16_e32 v136, v1
	v_cvt_f32_f16_e32 v132, v0
	v_cvt_f32_f16_sdwa v134, v0 dst_sel:DWORD dst_unused:UNUSED_PAD src0_sel:WORD_1
	v_cvt_f32_f16_sdwa v138, v1 dst_sel:DWORD dst_unused:UNUSED_PAD src0_sel:WORD_1
	s_waitcnt lgkmcnt(1)
	v_cvt_f32_f16_e32 v140, v2
	v_cvt_f32_f16_sdwa v142, v2 dst_sel:DWORD dst_unused:UNUSED_PAD src0_sel:WORD_1
	s_waitcnt lgkmcnt(0)
	v_cvt_f32_f16_e32 v144, v3
	v_cvt_f32_f16_sdwa v146, v3 dst_sel:DWORD dst_unused:UNUSED_PAD src0_sel:WORD_1
	v_mov_b32_e32 v133, v132
	v_mov_b32_e32 v135, v134
	;; [unrolled: 1-line block ×8, first 2 shown]
.LBB174_8:                              ;   Parent Loop BB174_5 Depth=1
                                        ; =>  This Inner Loop Header: Depth=2
	s_lshr_b32 s1, s0, 2
	s_and_b32 s17, s1, 0x3ffffffe
	s_lshl_b32 s1, s0, 1
	s_and_b32 s1, s1, 16
	v_or_b32_e32 v0, s1, v61
	s_add_i32 s17, s17, 0xa200
	s_lshl_b32 s18, s0, 3
	v_lshlrev_b32_e32 v1, 2, v0
	v_add3_u32 v45, s17, v247, v248
	v_add_u32_e32 v54, s18, v121
	v_lshrrev_b32_e32 v228, 1, v0
	ds_read_b128 v[12:15], v1 offset:33280
	ds_read_b128 v[8:11], v1 offset:33296
	;; [unrolled: 1-line block ×4, first 2 shown]
	ds_read2_b32 v[212:213], v54 offset1:1
	ds_read2_b32 v[214:215], v54 offset0:2 offset1:3
	ds_read2_b32 v[216:217], v54 offset0:4 offset1:5
	;; [unrolled: 1-line block ×3, first 2 shown]
	ds_read_u16 v56, v45
	ds_read_u16 v45, v45 offset:8
	ds_read2_b32 v[194:195], v54 offset0:8 offset1:9
	ds_read2_b32 v[222:223], v54 offset0:10 offset1:11
	;; [unrolled: 1-line block ×4, first 2 shown]
	s_waitcnt lgkmcnt(4)
	v_cvt_f32_ubyte0_e32 v184, v45
	v_cvt_f32_ubyte1_e32 v220, v45
	v_add3_u32 v45, s17, v249, v244
	v_add_u32_e32 v54, s18, v123
	v_and_b32_e32 v199, 0xff, v56
	v_lshrrev_b16_e32 v254, 8, v56
	ds_read2_b32 v[168:169], v54 offset1:1
	ds_read2_b32 v[180:181], v54 offset0:2 offset1:3
	ds_read2_b32 v[186:187], v54 offset0:4 offset1:5
	;; [unrolled: 1-line block ×3, first 2 shown]
	ds_read_u16 v56, v45
	ds_read_u16 v45, v45 offset:8
	ds_read2_b32 v[176:177], v54 offset0:8 offset1:9
	ds_read2_b32 v[200:201], v54 offset0:10 offset1:11
	ds_read2_b32 v[204:205], v54 offset0:12 offset1:13
	ds_read2_b32 v[208:209], v54 offset0:14 offset1:15
	s_waitcnt lgkmcnt(4)
	v_cvt_f32_ubyte0_e32 v172, v45
	v_cvt_f32_ubyte1_e32 v196, v45
	v_add3_u32 v45, s17, v250, v245
	v_add_u32_e32 v54, s18, v125
	ds_read2_b32 v[170:171], v54 offset1:1
	ds_read2_b32 v[182:183], v54 offset0:2 offset1:3
	ds_read2_b32 v[188:189], v54 offset0:4 offset1:5
	;; [unrolled: 1-line block ×3, first 2 shown]
	ds_read_u16 v62, v45
	ds_read_u16 v45, v45 offset:8
	v_mov_b32_e32 v55, 0
	v_mov_b32_e32 v57, 0
	;; [unrolled: 1-line block ×3, first 2 shown]
	s_waitcnt lgkmcnt(1)
	v_and_b32_e32 v197, 0xff, v62
	v_lshrrev_b16_e32 v253, 8, v62
	v_add_u32_e32 v62, s18, v149
	ds_read2_b32 v[160:161], v62 offset1:1
	ds_read2_b32 v[162:163], v62 offset0:2 offset1:3
	ds_read2_b32 v[164:165], v62 offset0:4 offset1:5
	;; [unrolled: 1-line block ×3, first 2 shown]
	s_waitcnt lgkmcnt(4)
	v_cvt_f32_ubyte0_e32 v174, v45
	v_cvt_f32_ubyte1_e32 v198, v45
	v_mov_b32_e32 v45, 0
	v_dot4c_i32_i8_e32 v55, v212, v12
	v_dot4c_i32_i8_e32 v57, v168, v12
	;; [unrolled: 1-line block ×3, first 2 shown]
	s_waitcnt lgkmcnt(3)
	v_dot4c_i32_i8_e32 v45, v160, v12
	v_dot4c_i32_i8_e32 v55, v213, v13
	;; [unrolled: 1-line block ×8, first 2 shown]
	s_waitcnt lgkmcnt(2)
	v_dot4c_i32_i8_e32 v45, v162, v14
	v_dot4c_i32_i8_e32 v55, v215, v15
	;; [unrolled: 1-line block ×8, first 2 shown]
	ds_read2_b32 v[178:179], v54 offset0:8 offset1:9
	ds_read2_b32 v[202:203], v54 offset0:10 offset1:11
	;; [unrolled: 1-line block ×4, first 2 shown]
	v_add3_u32 v54, s17, v251, v246
	s_waitcnt lgkmcnt(5)
	v_dot4c_i32_i8_e32 v45, v164, v8
	v_dot4c_i32_i8_e32 v55, v217, v9
	v_dot4c_i32_i8_e32 v57, v187, v9
	v_dot4c_i32_i8_e32 v255, v189, v9
	v_dot4c_i32_i8_e32 v45, v165, v9
	ds_read_u16 v8, v54
	ds_read_u16 v9, v54 offset:8
	ds_read2_b32 v[158:159], v62 offset0:8 offset1:9
	ds_read2_b32 v[152:153], v62 offset0:10 offset1:11
	ds_read2_b32 v[154:155], v62 offset0:12 offset1:13
	ds_read2_b32 v[156:157], v62 offset0:14 offset1:15
	v_mov_b32_e32 v60, 0
	v_and_b32_e32 v185, 0xff, v56
	v_mov_b32_e32 v58, 0
	v_lshrrev_b16_e32 v252, 8, v56
	v_mov_b32_e32 v56, 0
	v_mov_b32_e32 v54, 0
	v_dot4c_i32_i8_e32 v60, v194, v4
	v_dot4c_i32_i8_e32 v58, v176, v4
	s_waitcnt lgkmcnt(9)
	v_dot4c_i32_i8_e32 v56, v178, v4
	s_waitcnt lgkmcnt(3)
	v_dot4c_i32_i8_e32 v54, v158, v4
	v_dot4c_i32_i8_e32 v60, v195, v5
	;; [unrolled: 1-line block ×8, first 2 shown]
	s_waitcnt lgkmcnt(2)
	v_dot4c_i32_i8_e32 v54, v152, v6
	v_dot4c_i32_i8_e32 v60, v223, v7
	;; [unrolled: 1-line block ×8, first 2 shown]
	s_waitcnt lgkmcnt(1)
	v_dot4c_i32_i8_e32 v54, v154, v0
	v_dot4c_i32_i8_e32 v60, v225, v1
	;; [unrolled: 1-line block ×5, first 2 shown]
	v_or_b32_e32 v0, s1, v107
	v_dot4c_i32_i8_e32 v55, v218, v10
	v_dot4c_i32_i8_e32 v60, v226, v2
	v_dot4c_i32_i8_e32 v57, v190, v10
	v_dot4c_i32_i8_e32 v58, v208, v2
	v_dot4c_i32_i8_e32 v255, v192, v10
	v_dot4c_i32_i8_e32 v56, v210, v2
	v_dot4c_i32_i8_e32 v45, v166, v10
	s_waitcnt lgkmcnt(0)
	v_dot4c_i32_i8_e32 v54, v156, v2
	v_lshlrev_b32_e32 v1, 2, v0
	v_dot4c_i32_i8_e32 v55, v219, v11
	v_dot4c_i32_i8_e32 v60, v227, v3
	;; [unrolled: 1-line block ×7, first 2 shown]
	v_and_b32_e32 v175, 0xff, v8
	v_cvt_f32_ubyte0_e32 v150, v9
	v_dot4c_i32_i8_e32 v54, v157, v3
	v_lshrrev_b16_e32 v173, 8, v8
	v_cvt_f32_ubyte1_e32 v148, v9
	v_lshrrev_b32_e32 v62, 1, v0
	ds_read_b128 v[12:15], v1 offset:33280
	ds_read_b128 v[8:11], v1 offset:33296
	;; [unrolled: 1-line block ×4, first 2 shown]
	v_mov_b32_e32 v70, 0
	s_waitcnt lgkmcnt(3)
	v_dot4c_i32_i8_e32 v70, v212, v12
	v_mov_b32_e32 v71, 0
	v_dot4c_i32_i8_e32 v70, v213, v13
	s_waitcnt lgkmcnt(1)
	v_dot4c_i32_i8_e32 v71, v194, v4
	v_dot4c_i32_i8_e32 v70, v214, v14
	;; [unrolled: 1-line block ×5, first 2 shown]
	ds_read_b64 v[64:65], v228 offset:43584
	ds_read_b64 v[68:69], v62 offset:43584
	v_dot4c_i32_i8_e32 v70, v216, v8
	v_dot4c_i32_i8_e32 v71, v223, v7
	;; [unrolled: 1-line block ×3, first 2 shown]
	s_waitcnt lgkmcnt(2)
	v_dot4c_i32_i8_e32 v71, v224, v0
	v_dot4c_i32_i8_e32 v70, v218, v10
	;; [unrolled: 1-line block ×3, first 2 shown]
	v_mul_lo_u32 v55, v55, v199
	v_dot4c_i32_i8_e32 v70, v219, v11
	v_dot4c_i32_i8_e32 v71, v226, v2
	s_waitcnt lgkmcnt(1)
	v_cvt_f32_f16_e32 v232, v64
	v_cvt_f32_f16_sdwa v234, v64 dst_sel:DWORD dst_unused:UNUSED_PAD src0_sel:WORD_1
	v_cvt_f32_i32_e32 v64, v55
	v_mul_lo_u32 v55, v60, v254
	v_dot4c_i32_i8_e32 v71, v227, v3
	v_mul_lo_u32 v62, v70, v199
	v_cvt_f32_i32_e32 v70, v55
	v_mov_b32_e32 v55, 0
	v_mul_lo_u32 v60, v71, v254
	v_dot4c_i32_i8_e32 v55, v168, v12
	s_waitcnt lgkmcnt(0)
	v_cvt_f32_f16_sdwa v235, v68 dst_sel:DWORD dst_unused:UNUSED_PAD src0_sel:WORD_1
	v_cvt_f32_i32_e32 v71, v60
	v_dot4c_i32_i8_e32 v55, v169, v13
	v_mov_b32_e32 v60, 0
	v_cvt_f32_f16_e32 v233, v68
	v_cvt_f32_f16_e32 v228, v65
	v_cvt_f32_f16_sdwa v231, v69 dst_sel:DWORD dst_unused:UNUSED_PAD src0_sel:WORD_1
	v_cvt_f32_f16_sdwa v230, v65 dst_sel:DWORD dst_unused:UNUSED_PAD src0_sel:WORD_1
	v_cvt_f32_i32_e32 v65, v62
	v_dot4c_i32_i8_e32 v55, v180, v14
	v_dot4c_i32_i8_e32 v60, v176, v4
	v_cvt_f32_f16_e32 v229, v69
	v_dot4c_i32_i8_e32 v55, v181, v15
	v_dot4c_i32_i8_e32 v60, v177, v5
	;; [unrolled: 1-line block ×4, first 2 shown]
	v_pk_fma_f32 v[68:69], v[184:185], v[234:235], 0 op_sel_hi:[0,1,0]
	v_dot4c_i32_i8_e32 v55, v187, v9
	v_dot4c_i32_i8_e32 v60, v201, v7
	v_pk_fma_f32 v[64:65], v[232:233], v[64:65], 0 op_sel_hi:[1,1,0]
	v_pk_fma_f32 v[68:69], v[220:221], v[230:231], v[68:69] op_sel_hi:[0,1,1]
	v_dot4c_i32_i8_e32 v55, v190, v10
	v_dot4c_i32_i8_e32 v60, v204, v0
	v_pk_fma_f32 v[64:65], v[228:229], v[70:71], v[64:65]
	v_pk_mul_f32 v[68:69], v[68:69], v[134:135]
	v_dot4c_i32_i8_e32 v55, v191, v11
	v_dot4c_i32_i8_e32 v60, v205, v1
	v_pk_fma_f32 v[64:65], v[64:65], v[132:133], v[68:69] neg_lo:[0,0,1] neg_hi:[0,0,1]
	v_dot4c_i32_i8_e32 v60, v208, v2
	v_mul_lo_u32 v55, v55, v185
	v_pk_add_f32 v[52:53], v[52:53], v[64:65]
	v_dot4c_i32_i8_e32 v60, v209, v3
	v_mul_lo_u32 v57, v57, v185
	v_cvt_f32_i32_e32 v65, v55
	v_mul_lo_u32 v55, v58, v252
	v_cvt_f32_i32_e32 v64, v57
	;; [unrolled: 2-line block ×3, first 2 shown]
	v_mov_b32_e32 v55, 0
	v_cvt_f32_i32_e32 v71, v57
	v_dot4c_i32_i8_e32 v55, v170, v12
	v_mov_b32_e32 v57, 0
	v_dot4c_i32_i8_e32 v55, v171, v13
	v_dot4c_i32_i8_e32 v57, v178, v4
	;; [unrolled: 1-line block ×8, first 2 shown]
	v_pk_fma_f32 v[68:69], v[172:173], v[234:235], 0 op_sel_hi:[0,1,0]
	v_dot4c_i32_i8_e32 v55, v189, v9
	v_dot4c_i32_i8_e32 v57, v206, v0
	v_pk_fma_f32 v[64:65], v[232:233], v[64:65], 0 op_sel_hi:[1,1,0]
	v_pk_fma_f32 v[68:69], v[196:197], v[230:231], v[68:69] op_sel_hi:[0,1,1]
	v_dot4c_i32_i8_e32 v55, v192, v10
	v_dot4c_i32_i8_e32 v57, v207, v1
	v_pk_fma_f32 v[64:65], v[228:229], v[70:71], v[64:65]
	v_pk_mul_f32 v[68:69], v[68:69], v[138:139]
	v_dot4c_i32_i8_e32 v55, v193, v11
	v_dot4c_i32_i8_e32 v57, v210, v2
	v_pk_fma_f32 v[64:65], v[64:65], v[136:137], v[68:69] neg_lo:[0,0,1] neg_hi:[0,0,1]
	v_dot4c_i32_i8_e32 v57, v211, v3
	v_mul_lo_u32 v55, v55, v197
	v_pk_add_f32 v[50:51], v[50:51], v[64:65]
	v_cvt_f32_i32_e32 v65, v55
	v_mul_lo_u32 v55, v56, v253
	v_mul_lo_u32 v56, v57, v253
	v_cvt_f32_i32_e32 v57, v56
	v_cvt_f32_i32_e32 v56, v55
	v_mov_b32_e32 v55, 0
	v_dot4c_i32_i8_e32 v55, v160, v12
	v_dot4c_i32_i8_e32 v55, v161, v13
	;; [unrolled: 1-line block ×5, first 2 shown]
	v_mov_b32_e32 v8, 0
	v_dot4c_i32_i8_e32 v8, v158, v4
	v_dot4c_i32_i8_e32 v8, v159, v5
	;; [unrolled: 1-line block ×11, first 2 shown]
	v_mul_lo_u32 v0, v45, v175
	v_mul_lo_u32 v1, v55, v175
	;; [unrolled: 1-line block ×3, first 2 shown]
	v_cvt_f32_i32_e32 v1, v1
	v_cvt_f32_i32_e32 v0, v0
	v_mul_lo_u32 v4, v54, v173
	v_mul_lo_u32 v5, v8, v173
	v_cvt_f32_i32_e32 v64, v58
	v_cvt_f32_i32_e32 v5, v5
	;; [unrolled: 1-line block ×3, first 2 shown]
	v_pk_fma_f32 v[2:3], v[150:151], v[234:235], 0 op_sel_hi:[0,1,0]
	v_pk_fma_f32 v[0:1], v[232:233], v[0:1], 0 op_sel_hi:[1,1,0]
	;; [unrolled: 1-line block ×5, first 2 shown]
	v_pk_fma_f32 v[0:1], v[228:229], v[4:5], v[0:1]
	v_pk_mul_f32 v[2:3], v[2:3], v[146:147]
	v_pk_fma_f32 v[56:57], v[228:229], v[56:57], v[64:65]
	v_pk_fma_f32 v[64:65], v[198:199], v[230:231], v[68:69] op_sel_hi:[0,1,1]
	v_pk_fma_f32 v[0:1], v[0:1], v[144:145], v[2:3] neg_lo:[0,0,1] neg_hi:[0,0,1]
	v_pk_mul_f32 v[64:65], v[64:65], v[142:143]
	v_pk_add_f32 v[40:41], v[40:41], v[0:1]
	v_or_b32_e32 v0, s1, v109
	v_pk_fma_f32 v[56:57], v[56:57], v[140:141], v[64:65] neg_lo:[0,0,1] neg_hi:[0,0,1]
	v_lshlrev_b32_e32 v1, 2, v0
	v_pk_add_f32 v[42:43], v[42:43], v[56:57]
	v_lshrrev_b32_e32 v57, 1, v0
	ds_read_b128 v[12:15], v1 offset:33280
	ds_read_b128 v[8:11], v1 offset:33296
	;; [unrolled: 1-line block ×4, first 2 shown]
	v_mov_b32_e32 v58, 0
	v_mov_b32_e32 v60, 0
	;; [unrolled: 1-line block ×8, first 2 shown]
	s_waitcnt lgkmcnt(3)
	v_dot4c_i32_i8_e32 v58, v212, v12
	s_waitcnt lgkmcnt(1)
	v_dot4c_i32_i8_e32 v60, v194, v4
	v_dot4c_i32_i8_e32 v62, v168, v12
	;; [unrolled: 1-line block ×32, first 2 shown]
	s_waitcnt lgkmcnt(0)
	v_dot4c_i32_i8_e32 v60, v224, v0
	v_dot4c_i32_i8_e32 v62, v186, v8
	;; [unrolled: 1-line block ×15, first 2 shown]
	v_or_b32_e32 v0, s1, v111
	v_dot4c_i32_i8_e32 v58, v218, v10
	v_dot4c_i32_i8_e32 v60, v226, v2
	;; [unrolled: 1-line block ×8, first 2 shown]
	v_lshlrev_b32_e32 v1, 2, v0
	v_dot4c_i32_i8_e32 v58, v219, v11
	v_dot4c_i32_i8_e32 v60, v227, v3
	;; [unrolled: 1-line block ×8, first 2 shown]
	v_lshrrev_b32_e32 v68, 1, v0
	ds_read_b128 v[12:15], v1 offset:33280
	ds_read_b128 v[8:11], v1 offset:33296
	;; [unrolled: 1-line block ×4, first 2 shown]
	v_mov_b32_e32 v70, 0
	s_waitcnt lgkmcnt(3)
	v_dot4c_i32_i8_e32 v70, v212, v12
	v_mov_b32_e32 v71, 0
	v_dot4c_i32_i8_e32 v70, v213, v13
	s_waitcnt lgkmcnt(1)
	v_dot4c_i32_i8_e32 v71, v194, v4
	v_dot4c_i32_i8_e32 v70, v214, v14
	v_dot4c_i32_i8_e32 v71, v195, v5
	v_dot4c_i32_i8_e32 v70, v215, v15
	v_dot4c_i32_i8_e32 v71, v222, v6
	v_dot4c_i32_i8_e32 v70, v216, v8
	v_dot4c_i32_i8_e32 v71, v223, v7
	ds_read_b64 v[64:65], v57 offset:43584
	ds_read_b64 v[68:69], v68 offset:43584
	v_dot4c_i32_i8_e32 v70, v217, v9
	s_waitcnt lgkmcnt(2)
	v_dot4c_i32_i8_e32 v71, v224, v0
	v_dot4c_i32_i8_e32 v70, v218, v10
	;; [unrolled: 1-line block ×5, first 2 shown]
	v_mul_lo_u32 v57, v58, v199
	v_dot4c_i32_i8_e32 v71, v227, v3
	s_waitcnt lgkmcnt(1)
	v_cvt_f32_f16_e32 v232, v64
	v_cvt_f32_f16_sdwa v234, v64 dst_sel:DWORD dst_unused:UNUSED_PAD src0_sel:WORD_1
	v_mul_lo_u32 v58, v70, v199
	v_cvt_f32_i32_e32 v64, v57
	v_mul_lo_u32 v57, v60, v254
	v_cvt_f32_f16_e32 v228, v65
	v_cvt_f32_f16_sdwa v230, v65 dst_sel:DWORD dst_unused:UNUSED_PAD src0_sel:WORD_1
	v_cvt_f32_i32_e32 v65, v58
	v_mul_lo_u32 v58, v71, v254
	v_cvt_f32_i32_e32 v70, v57
	v_mov_b32_e32 v57, 0
	v_cvt_f32_i32_e32 v71, v58
	v_dot4c_i32_i8_e32 v57, v168, v12
	v_mov_b32_e32 v58, 0
	s_waitcnt lgkmcnt(0)
	v_cvt_f32_f16_sdwa v235, v68 dst_sel:DWORD dst_unused:UNUSED_PAD src0_sel:WORD_1
	v_dot4c_i32_i8_e32 v57, v169, v13
	v_dot4c_i32_i8_e32 v58, v176, v4
	v_cvt_f32_f16_e32 v233, v68
	v_cvt_f32_f16_sdwa v231, v69 dst_sel:DWORD dst_unused:UNUSED_PAD src0_sel:WORD_1
	v_dot4c_i32_i8_e32 v57, v180, v14
	v_dot4c_i32_i8_e32 v58, v177, v5
	v_cvt_f32_f16_e32 v229, v69
	v_dot4c_i32_i8_e32 v57, v181, v15
	v_dot4c_i32_i8_e32 v58, v200, v6
	;; [unrolled: 1-line block ×4, first 2 shown]
	v_pk_fma_f32 v[68:69], v[184:185], v[234:235], 0 op_sel_hi:[0,1,0]
	v_dot4c_i32_i8_e32 v57, v187, v9
	v_dot4c_i32_i8_e32 v58, v204, v0
	v_pk_fma_f32 v[64:65], v[64:65], v[232:233], 0 op_sel_hi:[1,1,0]
	v_pk_fma_f32 v[68:69], v[220:221], v[230:231], v[68:69] op_sel_hi:[0,1,1]
	v_dot4c_i32_i8_e32 v57, v190, v10
	v_dot4c_i32_i8_e32 v58, v205, v1
	v_pk_fma_f32 v[64:65], v[70:71], v[228:229], v[64:65]
	v_pk_mul_f32 v[68:69], v[68:69], v[134:135]
	v_dot4c_i32_i8_e32 v57, v191, v11
	v_dot4c_i32_i8_e32 v58, v208, v2
	v_pk_fma_f32 v[64:65], v[64:65], v[132:133], v[68:69] neg_lo:[0,0,1] neg_hi:[0,0,1]
	v_dot4c_i32_i8_e32 v58, v209, v3
	v_mul_lo_u32 v57, v57, v185
	v_pk_add_f32 v[38:39], v[38:39], v[64:65]
	v_cvt_f32_i32_e32 v65, v57
	v_mul_lo_u32 v57, v76, v252
	v_mul_lo_u32 v58, v58, v252
	v_cvt_f32_i32_e32 v71, v58
	v_cvt_f32_i32_e32 v70, v57
	v_mov_b32_e32 v57, 0
	v_mov_b32_e32 v58, 0
	v_mul_lo_u32 v60, v62, v185
	v_dot4c_i32_i8_e32 v57, v170, v12
	v_dot4c_i32_i8_e32 v58, v178, v4
	v_cvt_f32_i32_e32 v64, v60
	v_dot4c_i32_i8_e32 v57, v171, v13
	v_dot4c_i32_i8_e32 v58, v179, v5
	;; [unrolled: 1-line block ×6, first 2 shown]
	v_pk_fma_f32 v[68:69], v[172:173], v[234:235], 0 op_sel_hi:[0,1,0]
	v_dot4c_i32_i8_e32 v57, v188, v8
	v_dot4c_i32_i8_e32 v58, v206, v0
	v_pk_fma_f32 v[64:65], v[64:65], v[232:233], 0 op_sel_hi:[1,1,0]
	v_pk_fma_f32 v[68:69], v[196:197], v[230:231], v[68:69] op_sel_hi:[0,1,1]
	v_dot4c_i32_i8_e32 v57, v189, v9
	v_dot4c_i32_i8_e32 v58, v207, v1
	v_pk_fma_f32 v[64:65], v[70:71], v[228:229], v[64:65]
	v_pk_mul_f32 v[68:69], v[68:69], v[138:139]
	v_dot4c_i32_i8_e32 v57, v192, v10
	v_dot4c_i32_i8_e32 v58, v210, v2
	v_pk_fma_f32 v[64:65], v[64:65], v[136:137], v[68:69] neg_lo:[0,0,1] neg_hi:[0,0,1]
	v_dot4c_i32_i8_e32 v57, v193, v11
	v_dot4c_i32_i8_e32 v58, v211, v3
	v_mul_lo_u32 v55, v55, v197
	v_pk_add_f32 v[36:37], v[36:37], v[64:65]
	v_mul_lo_u32 v57, v57, v197
	v_cvt_f32_i32_e32 v64, v55
	v_mul_lo_u32 v55, v56, v253
	v_mul_lo_u32 v56, v58, v253
	v_cvt_f32_i32_e32 v65, v57
	v_cvt_f32_i32_e32 v57, v56
	;; [unrolled: 1-line block ×3, first 2 shown]
	v_mov_b32_e32 v55, 0
	v_dot4c_i32_i8_e32 v55, v160, v12
	v_dot4c_i32_i8_e32 v55, v161, v13
	v_dot4c_i32_i8_e32 v55, v162, v14
	v_dot4c_i32_i8_e32 v55, v163, v15
	v_dot4c_i32_i8_e32 v55, v164, v8
	v_mov_b32_e32 v8, 0
	v_dot4c_i32_i8_e32 v8, v158, v4
	v_dot4c_i32_i8_e32 v8, v159, v5
	;; [unrolled: 1-line block ×11, first 2 shown]
	v_mul_lo_u32 v0, v45, v175
	v_mul_lo_u32 v1, v55, v175
	v_cvt_f32_i32_e32 v1, v1
	v_cvt_f32_i32_e32 v0, v0
	v_mul_lo_u32 v4, v54, v173
	v_mul_lo_u32 v5, v8, v173
	v_cvt_f32_i32_e32 v5, v5
	v_cvt_f32_i32_e32 v4, v4
	v_pk_fma_f32 v[2:3], v[150:151], v[234:235], 0 op_sel_hi:[0,1,0]
	v_pk_fma_f32 v[0:1], v[0:1], v[232:233], 0 op_sel_hi:[1,1,0]
	;; [unrolled: 1-line block ×5, first 2 shown]
	v_pk_fma_f32 v[0:1], v[4:5], v[228:229], v[0:1]
	v_pk_mul_f32 v[2:3], v[2:3], v[146:147]
	v_pk_fma_f32 v[56:57], v[56:57], v[228:229], v[64:65]
	v_pk_fma_f32 v[64:65], v[198:199], v[230:231], v[68:69] op_sel_hi:[0,1,1]
	v_pk_fma_f32 v[0:1], v[0:1], v[144:145], v[2:3] neg_lo:[0,0,1] neg_hi:[0,0,1]
	v_pk_mul_f32 v[64:65], v[64:65], v[142:143]
	v_pk_add_f32 v[32:33], v[32:33], v[0:1]
	v_or_b32_e32 v0, s1, v113
	v_pk_fma_f32 v[56:57], v[56:57], v[140:141], v[64:65] neg_lo:[0,0,1] neg_hi:[0,0,1]
	v_lshlrev_b32_e32 v1, 2, v0
	v_pk_add_f32 v[34:35], v[34:35], v[56:57]
	v_lshrrev_b32_e32 v57, 1, v0
	ds_read_b128 v[12:15], v1 offset:33280
	ds_read_b128 v[8:11], v1 offset:33296
	;; [unrolled: 1-line block ×4, first 2 shown]
	v_mov_b32_e32 v58, 0
	v_mov_b32_e32 v60, 0
	;; [unrolled: 1-line block ×8, first 2 shown]
	s_waitcnt lgkmcnt(3)
	v_dot4c_i32_i8_e32 v58, v212, v12
	s_waitcnt lgkmcnt(1)
	v_dot4c_i32_i8_e32 v60, v194, v4
	v_dot4c_i32_i8_e32 v62, v168, v12
	;; [unrolled: 1-line block ×32, first 2 shown]
	s_waitcnt lgkmcnt(0)
	v_dot4c_i32_i8_e32 v60, v224, v0
	v_dot4c_i32_i8_e32 v62, v186, v8
	;; [unrolled: 1-line block ×15, first 2 shown]
	v_or_b32_e32 v0, s1, v115
	v_dot4c_i32_i8_e32 v58, v218, v10
	v_dot4c_i32_i8_e32 v60, v226, v2
	;; [unrolled: 1-line block ×8, first 2 shown]
	v_lshlrev_b32_e32 v1, 2, v0
	v_dot4c_i32_i8_e32 v58, v219, v11
	v_dot4c_i32_i8_e32 v60, v227, v3
	;; [unrolled: 1-line block ×8, first 2 shown]
	v_lshrrev_b32_e32 v68, 1, v0
	ds_read_b128 v[12:15], v1 offset:33280
	ds_read_b128 v[8:11], v1 offset:33296
	;; [unrolled: 1-line block ×4, first 2 shown]
	v_mov_b32_e32 v70, 0
	s_waitcnt lgkmcnt(3)
	v_dot4c_i32_i8_e32 v70, v212, v12
	v_mov_b32_e32 v71, 0
	v_dot4c_i32_i8_e32 v70, v213, v13
	s_waitcnt lgkmcnt(1)
	v_dot4c_i32_i8_e32 v71, v194, v4
	v_dot4c_i32_i8_e32 v70, v214, v14
	;; [unrolled: 1-line block ×7, first 2 shown]
	ds_read_b64 v[64:65], v57 offset:43584
	ds_read_b64 v[68:69], v68 offset:43584
	v_dot4c_i32_i8_e32 v70, v217, v9
	s_waitcnt lgkmcnt(2)
	v_dot4c_i32_i8_e32 v71, v224, v0
	v_dot4c_i32_i8_e32 v70, v218, v10
	;; [unrolled: 1-line block ×5, first 2 shown]
	v_mul_lo_u32 v57, v58, v199
	v_dot4c_i32_i8_e32 v71, v227, v3
	s_waitcnt lgkmcnt(1)
	v_cvt_f32_f16_e32 v232, v64
	v_cvt_f32_f16_sdwa v234, v64 dst_sel:DWORD dst_unused:UNUSED_PAD src0_sel:WORD_1
	v_mul_lo_u32 v58, v70, v199
	v_cvt_f32_i32_e32 v64, v57
	v_mul_lo_u32 v57, v60, v254
	v_cvt_f32_f16_e32 v228, v65
	v_cvt_f32_f16_sdwa v230, v65 dst_sel:DWORD dst_unused:UNUSED_PAD src0_sel:WORD_1
	v_cvt_f32_i32_e32 v65, v58
	v_mul_lo_u32 v58, v71, v254
	v_cvt_f32_i32_e32 v70, v57
	v_mov_b32_e32 v57, 0
	v_cvt_f32_i32_e32 v71, v58
	v_dot4c_i32_i8_e32 v57, v168, v12
	v_mov_b32_e32 v58, 0
	s_waitcnt lgkmcnt(0)
	v_cvt_f32_f16_sdwa v235, v68 dst_sel:DWORD dst_unused:UNUSED_PAD src0_sel:WORD_1
	v_dot4c_i32_i8_e32 v57, v169, v13
	v_dot4c_i32_i8_e32 v58, v176, v4
	v_cvt_f32_f16_e32 v233, v68
	v_cvt_f32_f16_sdwa v231, v69 dst_sel:DWORD dst_unused:UNUSED_PAD src0_sel:WORD_1
	v_dot4c_i32_i8_e32 v57, v180, v14
	v_dot4c_i32_i8_e32 v58, v177, v5
	v_cvt_f32_f16_e32 v229, v69
	v_dot4c_i32_i8_e32 v57, v181, v15
	v_dot4c_i32_i8_e32 v58, v200, v6
	;; [unrolled: 1-line block ×4, first 2 shown]
	v_pk_fma_f32 v[68:69], v[184:185], v[234:235], 0 op_sel_hi:[0,1,0]
	v_dot4c_i32_i8_e32 v57, v187, v9
	v_dot4c_i32_i8_e32 v58, v204, v0
	v_pk_fma_f32 v[64:65], v[64:65], v[232:233], 0 op_sel_hi:[1,1,0]
	v_pk_fma_f32 v[68:69], v[220:221], v[230:231], v[68:69] op_sel_hi:[0,1,1]
	v_dot4c_i32_i8_e32 v57, v190, v10
	v_dot4c_i32_i8_e32 v58, v205, v1
	v_pk_fma_f32 v[64:65], v[70:71], v[228:229], v[64:65]
	v_pk_mul_f32 v[68:69], v[68:69], v[134:135]
	v_dot4c_i32_i8_e32 v57, v191, v11
	v_dot4c_i32_i8_e32 v58, v208, v2
	v_pk_fma_f32 v[64:65], v[64:65], v[132:133], v[68:69] neg_lo:[0,0,1] neg_hi:[0,0,1]
	v_dot4c_i32_i8_e32 v58, v209, v3
	v_mul_lo_u32 v57, v57, v185
	v_pk_add_f32 v[30:31], v[30:31], v[64:65]
	v_cvt_f32_i32_e32 v65, v57
	v_mul_lo_u32 v57, v76, v252
	v_mul_lo_u32 v58, v58, v252
	v_cvt_f32_i32_e32 v71, v58
	v_cvt_f32_i32_e32 v70, v57
	v_mov_b32_e32 v57, 0
	v_mov_b32_e32 v58, 0
	v_mul_lo_u32 v60, v62, v185
	v_dot4c_i32_i8_e32 v57, v170, v12
	v_dot4c_i32_i8_e32 v58, v178, v4
	v_cvt_f32_i32_e32 v64, v60
	v_dot4c_i32_i8_e32 v57, v171, v13
	v_dot4c_i32_i8_e32 v58, v179, v5
	v_dot4c_i32_i8_e32 v57, v182, v14
	v_dot4c_i32_i8_e32 v58, v202, v6
	v_dot4c_i32_i8_e32 v57, v183, v15
	v_dot4c_i32_i8_e32 v58, v203, v7
	v_pk_fma_f32 v[68:69], v[172:173], v[234:235], 0 op_sel_hi:[0,1,0]
	v_dot4c_i32_i8_e32 v57, v188, v8
	v_dot4c_i32_i8_e32 v58, v206, v0
	v_pk_fma_f32 v[64:65], v[64:65], v[232:233], 0 op_sel_hi:[1,1,0]
	v_pk_fma_f32 v[68:69], v[196:197], v[230:231], v[68:69] op_sel_hi:[0,1,1]
	v_dot4c_i32_i8_e32 v57, v189, v9
	v_dot4c_i32_i8_e32 v58, v207, v1
	v_pk_fma_f32 v[64:65], v[70:71], v[228:229], v[64:65]
	v_pk_mul_f32 v[68:69], v[68:69], v[138:139]
	v_dot4c_i32_i8_e32 v57, v192, v10
	v_dot4c_i32_i8_e32 v58, v210, v2
	v_pk_fma_f32 v[64:65], v[64:65], v[136:137], v[68:69] neg_lo:[0,0,1] neg_hi:[0,0,1]
	v_dot4c_i32_i8_e32 v57, v193, v11
	v_dot4c_i32_i8_e32 v58, v211, v3
	v_mul_lo_u32 v55, v55, v197
	v_pk_add_f32 v[28:29], v[28:29], v[64:65]
	v_mul_lo_u32 v57, v57, v197
	v_cvt_f32_i32_e32 v64, v55
	v_mul_lo_u32 v55, v56, v253
	v_mul_lo_u32 v56, v58, v253
	v_cvt_f32_i32_e32 v65, v57
	v_cvt_f32_i32_e32 v57, v56
	;; [unrolled: 1-line block ×3, first 2 shown]
	v_mov_b32_e32 v55, 0
	v_dot4c_i32_i8_e32 v55, v160, v12
	v_dot4c_i32_i8_e32 v55, v161, v13
	;; [unrolled: 1-line block ×5, first 2 shown]
	v_mov_b32_e32 v8, 0
	v_dot4c_i32_i8_e32 v8, v158, v4
	v_dot4c_i32_i8_e32 v8, v159, v5
	;; [unrolled: 1-line block ×11, first 2 shown]
	v_mul_lo_u32 v0, v45, v175
	v_mul_lo_u32 v1, v55, v175
	v_cvt_f32_i32_e32 v1, v1
	v_cvt_f32_i32_e32 v0, v0
	v_mul_lo_u32 v4, v54, v173
	v_mul_lo_u32 v5, v8, v173
	v_cvt_f32_i32_e32 v5, v5
	v_cvt_f32_i32_e32 v4, v4
	v_pk_fma_f32 v[2:3], v[150:151], v[234:235], 0 op_sel_hi:[0,1,0]
	v_pk_fma_f32 v[0:1], v[0:1], v[232:233], 0 op_sel_hi:[1,1,0]
	;; [unrolled: 1-line block ×3, first 2 shown]
	v_pk_fma_f32 v[0:1], v[4:5], v[228:229], v[0:1]
	v_pk_mul_f32 v[2:3], v[2:3], v[146:147]
	v_pk_fma_f32 v[64:65], v[64:65], v[232:233], 0 op_sel_hi:[1,1,0]
	v_pk_fma_f32 v[0:1], v[0:1], v[144:145], v[2:3] neg_lo:[0,0,1] neg_hi:[0,0,1]
	v_pk_fma_f32 v[56:57], v[56:57], v[228:229], v[64:65]
	v_pk_add_f32 v[24:25], v[24:25], v[0:1]
	v_or_b32_e32 v0, s1, v117
	v_lshlrev_b32_e32 v1, 2, v0
	v_lshrrev_b32_e32 v55, 1, v0
	ds_read_b128 v[12:15], v1 offset:33280
	ds_read_b128 v[8:11], v1 offset:33296
	;; [unrolled: 1-line block ×4, first 2 shown]
	v_mov_b32_e32 v58, 0
	v_mov_b32_e32 v60, 0
	;; [unrolled: 1-line block ×8, first 2 shown]
	s_waitcnt lgkmcnt(3)
	v_dot4c_i32_i8_e32 v58, v212, v12
	s_waitcnt lgkmcnt(1)
	v_dot4c_i32_i8_e32 v60, v194, v4
	v_dot4c_i32_i8_e32 v62, v168, v12
	v_dot4c_i32_i8_e32 v70, v176, v4
	v_dot4c_i32_i8_e32 v45, v170, v12
	v_dot4c_i32_i8_e32 v54, v178, v4
	v_dot4c_i32_i8_e32 v229, v160, v12
	v_dot4c_i32_i8_e32 v228, v158, v4
	v_dot4c_i32_i8_e32 v58, v213, v13
	v_dot4c_i32_i8_e32 v60, v195, v5
	v_dot4c_i32_i8_e32 v62, v169, v13
	v_dot4c_i32_i8_e32 v70, v177, v5
	v_dot4c_i32_i8_e32 v45, v171, v13
	v_dot4c_i32_i8_e32 v54, v179, v5
	v_dot4c_i32_i8_e32 v229, v161, v13
	v_dot4c_i32_i8_e32 v228, v159, v5
	v_dot4c_i32_i8_e32 v58, v214, v14
	v_dot4c_i32_i8_e32 v60, v222, v6
	v_dot4c_i32_i8_e32 v62, v180, v14
	v_dot4c_i32_i8_e32 v70, v200, v6
	v_dot4c_i32_i8_e32 v45, v182, v14
	v_dot4c_i32_i8_e32 v54, v202, v6
	v_dot4c_i32_i8_e32 v229, v162, v14
	v_dot4c_i32_i8_e32 v228, v152, v6
	v_dot4c_i32_i8_e32 v58, v215, v15
	v_dot4c_i32_i8_e32 v60, v223, v7
	v_dot4c_i32_i8_e32 v62, v181, v15
	v_dot4c_i32_i8_e32 v70, v201, v7
	v_dot4c_i32_i8_e32 v45, v183, v15
	v_dot4c_i32_i8_e32 v54, v203, v7
	v_dot4c_i32_i8_e32 v229, v163, v15
	v_dot4c_i32_i8_e32 v228, v153, v7
	v_pk_fma_f32 v[68:69], v[174:175], v[234:235], 0 op_sel_hi:[0,1,0]
	v_dot4c_i32_i8_e32 v58, v216, v8
	s_waitcnt lgkmcnt(0)
	v_dot4c_i32_i8_e32 v60, v224, v0
	v_dot4c_i32_i8_e32 v62, v186, v8
	;; [unrolled: 1-line block ×7, first 2 shown]
	v_pk_fma_f32 v[64:65], v[198:199], v[230:231], v[68:69] op_sel_hi:[0,1,1]
	v_dot4c_i32_i8_e32 v58, v217, v9
	v_dot4c_i32_i8_e32 v60, v225, v1
	;; [unrolled: 1-line block ×8, first 2 shown]
	v_or_b32_e32 v0, s1, v119
	v_pk_mul_f32 v[64:65], v[64:65], v[142:143]
	v_dot4c_i32_i8_e32 v58, v218, v10
	v_dot4c_i32_i8_e32 v60, v226, v2
	;; [unrolled: 1-line block ×8, first 2 shown]
	v_lshlrev_b32_e32 v1, 2, v0
	v_pk_fma_f32 v[56:57], v[56:57], v[140:141], v[64:65] neg_lo:[0,0,1] neg_hi:[0,0,1]
	v_dot4c_i32_i8_e32 v58, v219, v11
	v_dot4c_i32_i8_e32 v60, v227, v3
	;; [unrolled: 1-line block ×8, first 2 shown]
	v_lshrrev_b32_e32 v64, 1, v0
	ds_read_b128 v[12:15], v1 offset:33280
	ds_read_b128 v[8:11], v1 offset:33296
	;; [unrolled: 1-line block ×4, first 2 shown]
	v_mov_b32_e32 v68, 0
	s_waitcnt lgkmcnt(3)
	v_dot4c_i32_i8_e32 v68, v212, v12
	v_dot4c_i32_i8_e32 v68, v213, v13
	v_mov_b32_e32 v69, 0
	v_dot4c_i32_i8_e32 v68, v214, v14
	s_waitcnt lgkmcnt(1)
	v_dot4c_i32_i8_e32 v69, v194, v4
	v_dot4c_i32_i8_e32 v68, v215, v15
	;; [unrolled: 1-line block ×3, first 2 shown]
	v_pk_add_f32 v[26:27], v[26:27], v[56:57]
	v_dot4c_i32_i8_e32 v68, v216, v8
	v_dot4c_i32_i8_e32 v69, v222, v6
	ds_read_b64 v[56:57], v55 offset:43584
	ds_read_b64 v[64:65], v64 offset:43584
	v_dot4c_i32_i8_e32 v68, v217, v9
	v_dot4c_i32_i8_e32 v69, v223, v7
	;; [unrolled: 1-line block ×3, first 2 shown]
	s_waitcnt lgkmcnt(2)
	v_dot4c_i32_i8_e32 v69, v224, v0
	v_dot4c_i32_i8_e32 v68, v219, v11
	;; [unrolled: 1-line block ×4, first 2 shown]
	s_waitcnt lgkmcnt(1)
	v_cvt_f32_f16_e32 v216, v56
	v_cvt_f32_f16_sdwa v214, v56 dst_sel:DWORD dst_unused:UNUSED_PAD src0_sel:WORD_1
	v_mul_lo_u32 v55, v58, v199
	v_mul_lo_u32 v56, v68, v199
	v_dot4c_i32_i8_e32 v69, v227, v3
	v_cvt_f32_f16_e32 v212, v57
	v_cvt_f32_f16_sdwa v194, v57 dst_sel:DWORD dst_unused:UNUSED_PAD src0_sel:WORD_1
	v_cvt_f32_i32_e32 v57, v56
	v_cvt_f32_i32_e32 v56, v55
	v_mul_lo_u32 v55, v60, v254
	v_mul_lo_u32 v58, v69, v254
	v_cvt_f32_i32_e32 v68, v55
	v_mov_b32_e32 v55, 0
	v_cvt_f32_i32_e32 v69, v58
	v_dot4c_i32_i8_e32 v55, v168, v12
	v_mov_b32_e32 v58, 0
	s_waitcnt lgkmcnt(0)
	v_cvt_f32_f16_sdwa v215, v64 dst_sel:DWORD dst_unused:UNUSED_PAD src0_sel:WORD_1
	v_dot4c_i32_i8_e32 v55, v169, v13
	v_dot4c_i32_i8_e32 v58, v176, v4
	v_cvt_f32_f16_e32 v217, v64
	v_cvt_f32_f16_sdwa v195, v65 dst_sel:DWORD dst_unused:UNUSED_PAD src0_sel:WORD_1
	v_dot4c_i32_i8_e32 v55, v180, v14
	v_dot4c_i32_i8_e32 v58, v177, v5
	v_cvt_f32_f16_e32 v213, v65
	v_dot4c_i32_i8_e32 v55, v181, v15
	v_dot4c_i32_i8_e32 v58, v200, v6
	;; [unrolled: 1-line block ×4, first 2 shown]
	v_pk_fma_f32 v[64:65], v[184:185], v[214:215], 0 op_sel_hi:[0,1,0]
	v_dot4c_i32_i8_e32 v55, v187, v9
	v_dot4c_i32_i8_e32 v58, v204, v0
	v_pk_fma_f32 v[56:57], v[56:57], v[216:217], 0 op_sel_hi:[1,1,0]
	v_pk_fma_f32 v[64:65], v[220:221], v[194:195], v[64:65] op_sel_hi:[0,1,1]
	v_dot4c_i32_i8_e32 v55, v190, v10
	v_dot4c_i32_i8_e32 v58, v205, v1
	v_pk_fma_f32 v[56:57], v[68:69], v[212:213], v[56:57]
	v_pk_mul_f32 v[64:65], v[64:65], v[134:135]
	v_dot4c_i32_i8_e32 v55, v191, v11
	v_dot4c_i32_i8_e32 v58, v208, v2
	v_pk_fma_f32 v[56:57], v[56:57], v[132:133], v[64:65] neg_lo:[0,0,1] neg_hi:[0,0,1]
	v_dot4c_i32_i8_e32 v58, v209, v3
	v_mul_lo_u32 v55, v55, v185
	v_pk_add_f32 v[22:23], v[22:23], v[56:57]
	v_cvt_f32_i32_e32 v57, v55
	v_mul_lo_u32 v55, v70, v252
	v_mul_lo_u32 v58, v58, v252
	v_cvt_f32_i32_e32 v69, v58
	v_cvt_f32_i32_e32 v68, v55
	v_mov_b32_e32 v55, 0
	v_mov_b32_e32 v58, 0
	v_mul_lo_u32 v56, v62, v185
	v_dot4c_i32_i8_e32 v55, v170, v12
	v_dot4c_i32_i8_e32 v58, v178, v4
	v_cvt_f32_i32_e32 v56, v56
	v_dot4c_i32_i8_e32 v55, v171, v13
	v_dot4c_i32_i8_e32 v58, v179, v5
	;; [unrolled: 1-line block ×6, first 2 shown]
	v_pk_fma_f32 v[64:65], v[172:173], v[214:215], 0 op_sel_hi:[0,1,0]
	v_dot4c_i32_i8_e32 v55, v188, v8
	v_dot4c_i32_i8_e32 v58, v206, v0
	v_pk_fma_f32 v[56:57], v[56:57], v[216:217], 0 op_sel_hi:[1,1,0]
	v_pk_fma_f32 v[64:65], v[196:197], v[194:195], v[64:65] op_sel_hi:[0,1,1]
	v_dot4c_i32_i8_e32 v55, v189, v9
	v_dot4c_i32_i8_e32 v58, v207, v1
	v_pk_fma_f32 v[56:57], v[68:69], v[212:213], v[56:57]
	v_pk_mul_f32 v[64:65], v[64:65], v[138:139]
	v_dot4c_i32_i8_e32 v55, v192, v10
	v_dot4c_i32_i8_e32 v58, v210, v2
	v_pk_fma_f32 v[56:57], v[56:57], v[136:137], v[64:65] neg_lo:[0,0,1] neg_hi:[0,0,1]
	v_dot4c_i32_i8_e32 v55, v193, v11
	v_dot4c_i32_i8_e32 v58, v211, v3
	v_mul_lo_u32 v45, v45, v197
	v_pk_add_f32 v[20:21], v[20:21], v[56:57]
	v_mul_lo_u32 v55, v55, v197
	v_cvt_f32_i32_e32 v56, v45
	v_mul_lo_u32 v45, v54, v253
	v_mul_lo_u32 v54, v58, v253
	v_cvt_f32_i32_e32 v57, v55
	v_cvt_f32_i32_e32 v55, v54
	;; [unrolled: 1-line block ×3, first 2 shown]
	v_mov_b32_e32 v45, 0
	v_dot4c_i32_i8_e32 v45, v160, v12
	v_dot4c_i32_i8_e32 v45, v161, v13
	;; [unrolled: 1-line block ×5, first 2 shown]
	v_mov_b32_e32 v8, 0
	v_dot4c_i32_i8_e32 v8, v158, v4
	v_dot4c_i32_i8_e32 v8, v159, v5
	;; [unrolled: 1-line block ×11, first 2 shown]
	v_mul_lo_u32 v0, v229, v175
	v_mul_lo_u32 v1, v45, v175
	v_cvt_f32_i32_e32 v1, v1
	v_cvt_f32_i32_e32 v0, v0
	v_mul_lo_u32 v4, v228, v173
	v_mul_lo_u32 v5, v8, v173
	v_cvt_f32_i32_e32 v5, v5
	v_cvt_f32_i32_e32 v4, v4
	v_pk_fma_f32 v[56:57], v[56:57], v[216:217], 0 op_sel_hi:[1,1,0]
	v_pk_fma_f32 v[64:65], v[174:175], v[214:215], 0 op_sel_hi:[0,1,0]
	;; [unrolled: 1-line block ×3, first 2 shown]
	v_pk_fma_f32 v[54:55], v[54:55], v[212:213], v[56:57]
	v_pk_fma_f32 v[56:57], v[198:199], v[194:195], v[64:65] op_sel_hi:[0,1,1]
	v_pk_fma_f32 v[0:1], v[0:1], v[216:217], 0 op_sel_hi:[1,1,0]
	;; [unrolled: 1-line block ×3, first 2 shown]
	v_pk_mul_f32 v[56:57], v[56:57], v[142:143]
	v_pk_fma_f32 v[0:1], v[4:5], v[212:213], v[0:1]
	v_pk_mul_f32 v[2:3], v[2:3], v[146:147]
	v_pk_fma_f32 v[54:55], v[54:55], v[140:141], v[56:57] neg_lo:[0,0,1] neg_hi:[0,0,1]
	v_pk_fma_f32 v[0:1], v[0:1], v[144:145], v[2:3] neg_lo:[0,0,1] neg_hi:[0,0,1]
	s_add_i32 s1, s0, 8
	v_pk_add_f32 v[18:19], v[18:19], v[54:55]
	v_pk_add_f32 v[16:17], v[16:17], v[0:1]
	s_cmp_lt_u32 s0, 24
	s_mov_b32 s0, s1
	s_cbranch_scc1 .LBB174_8
; %bb.9:                                ;   in Loop: Header=BB174_5 Depth=1
	s_add_i32 s9, s9, 1
	s_cmp_eq_u32 s9, s4
	s_barrier
	s_cbranch_scc0 .LBB174_5
; %bb.10:
	scratch_load_dword v1, off, off offset:100 ; 4-byte Folded Reload
	scratch_load_dword v2, off, off offset:96 ; 4-byte Folded Reload
	;; [unrolled: 1-line block ×3, first 2 shown]
.LBB174_11:
	s_waitcnt vmcnt(0)
	v_cmp_gt_u32_e32 vcc, s10, v3
	s_and_saveexec_b64 s[0:1], vcc
	s_cbranch_execz .LBB174_62
; %bb.12:
	v_add_u32_e32 v0, s6, v2
	v_mul_lo_u32 v5, v3, s14
	v_cmp_gt_u32_e64 s[0:1], s14, v0
	s_and_saveexec_b64 s[2:3], s[0:1]
	s_cbranch_execz .LBB174_14
; %bb.13:
	v_bfe_u32 v2, v52, 16, 1
	s_movk_i32 s4, 0x7fff
	v_add3_u32 v2, v52, v2, s4
	v_cmp_o_f32_e32 vcc, v52, v52
	v_mov_b32_e32 v3, 0x7fc0
	s_nop 0
	v_cndmask_b32_sdwa v4, v3, v2, vcc dst_sel:DWORD dst_unused:UNUSED_PAD src0_sel:DWORD src1_sel:WORD_1
	v_add_u32_e32 v2, v0, v5
	v_mov_b32_e32 v3, 0
	s_waitcnt lgkmcnt(0)
	v_lshl_add_u64 v[2:3], v[2:3], 1, s[12:13]
	global_store_short v[2:3], v4, off
.LBB174_14:
	s_or_b64 exec, exec, s[2:3]
	v_add_u32_e32 v2, 32, v0
	v_cmp_gt_u32_e64 s[2:3], s14, v2
	s_and_saveexec_b64 s[4:5], s[2:3]
	s_cbranch_execz .LBB174_16
; %bb.15:
	v_bfe_u32 v3, v50, 16, 1
	s_movk_i32 s6, 0x7fff
	v_add3_u32 v3, v50, v3, s6
	v_cmp_o_f32_e32 vcc, v50, v50
	v_mov_b32_e32 v4, 0x7fc0
	v_add_u32_e32 v6, v2, v5
	v_mov_b32_e32 v7, 0
	v_cndmask_b32_sdwa v3, v4, v3, vcc dst_sel:DWORD dst_unused:UNUSED_PAD src0_sel:DWORD src1_sel:WORD_1
	s_waitcnt lgkmcnt(0)
	v_lshl_add_u64 v[6:7], v[6:7], 1, s[12:13]
	global_store_short v[6:7], v3, off
.LBB174_16:
	s_or_b64 exec, exec, s[4:5]
	v_add_u32_e32 v3, 64, v0
	v_cmp_gt_u32_e64 s[4:5], s14, v3
	s_and_saveexec_b64 s[6:7], s[4:5]
	s_cbranch_execz .LBB174_18
; %bb.17:
	v_bfe_u32 v4, v42, 16, 1
	s_movk_i32 s8, 0x7fff
	v_add3_u32 v4, v42, v4, s8
	v_cmp_o_f32_e32 vcc, v42, v42
	v_mov_b32_e32 v6, 0x7fc0
	v_mov_b32_e32 v7, 0
	v_cndmask_b32_sdwa v4, v6, v4, vcc dst_sel:DWORD dst_unused:UNUSED_PAD src0_sel:DWORD src1_sel:WORD_1
	v_add_u32_e32 v6, v3, v5
	s_waitcnt lgkmcnt(0)
	v_lshl_add_u64 v[6:7], v[6:7], 1, s[12:13]
	global_store_short v[6:7], v4, off
.LBB174_18:
	s_or_b64 exec, exec, s[6:7]
	v_add_u32_e32 v4, 0x60, v0
	v_cmp_gt_u32_e64 s[6:7], s14, v4
	s_and_saveexec_b64 s[8:9], s[6:7]
	s_cbranch_execz .LBB174_20
; %bb.19:
	v_bfe_u32 v6, v40, 16, 1
	s_movk_i32 s11, 0x7fff
	v_add3_u32 v6, v40, v6, s11
	v_cmp_o_f32_e32 vcc, v40, v40
	v_mov_b32_e32 v7, 0x7fc0
	s_nop 0
	v_cndmask_b32_sdwa v8, v7, v6, vcc dst_sel:DWORD dst_unused:UNUSED_PAD src0_sel:DWORD src1_sel:WORD_1
	v_add_u32_e32 v6, v4, v5
	v_mov_b32_e32 v7, 0
	s_waitcnt lgkmcnt(0)
	v_lshl_add_u64 v[6:7], v[6:7], 1, s[12:13]
	global_store_short v[6:7], v8, off
.LBB174_20:
	s_or_b64 exec, exec, s[8:9]
	v_add3_u32 v5, v1, s15, 8
	v_cmp_gt_u32_e32 vcc, s10, v5
	s_and_b64 exec, exec, vcc
	s_cbranch_execz .LBB174_62
; %bb.21:
	v_mul_lo_u32 v5, v5, s14
	s_and_saveexec_b64 s[8:9], s[0:1]
	s_cbranch_execnz .LBB174_63
; %bb.22:
	s_or_b64 exec, exec, s[8:9]
	s_and_saveexec_b64 s[8:9], s[2:3]
	s_cbranch_execnz .LBB174_64
.LBB174_23:
	s_or_b64 exec, exec, s[8:9]
	s_and_saveexec_b64 s[8:9], s[4:5]
	s_cbranch_execnz .LBB174_65
.LBB174_24:
	s_or_b64 exec, exec, s[8:9]
	s_and_saveexec_b64 s[8:9], s[6:7]
	s_cbranch_execz .LBB174_26
.LBB174_25:
	v_bfe_u32 v6, v41, 16, 1
	s_movk_i32 s11, 0x7fff
	v_add3_u32 v6, v41, v6, s11
	v_cmp_o_f32_e32 vcc, v41, v41
	v_mov_b32_e32 v7, 0x7fc0
	s_nop 0
	v_cndmask_b32_sdwa v8, v7, v6, vcc dst_sel:DWORD dst_unused:UNUSED_PAD src0_sel:DWORD src1_sel:WORD_1
	v_add_u32_e32 v6, v5, v4
	v_mov_b32_e32 v7, 0
	s_waitcnt lgkmcnt(0)
	v_lshl_add_u64 v[6:7], v[6:7], 1, s[12:13]
	global_store_short v[6:7], v8, off
.LBB174_26:
	s_or_b64 exec, exec, s[8:9]
	v_add3_u32 v5, v1, s15, 16
	v_cmp_gt_u32_e32 vcc, s10, v5
	s_and_b64 exec, exec, vcc
	s_cbranch_execz .LBB174_62
; %bb.27:
	v_mul_lo_u32 v5, v5, s14
	s_and_saveexec_b64 s[8:9], s[0:1]
	s_cbranch_execnz .LBB174_66
; %bb.28:
	s_or_b64 exec, exec, s[8:9]
	s_and_saveexec_b64 s[8:9], s[2:3]
	s_cbranch_execnz .LBB174_67
.LBB174_29:
	s_or_b64 exec, exec, s[8:9]
	s_and_saveexec_b64 s[8:9], s[4:5]
	s_cbranch_execnz .LBB174_68
.LBB174_30:
	s_or_b64 exec, exec, s[8:9]
	s_and_saveexec_b64 s[8:9], s[6:7]
	s_cbranch_execz .LBB174_32
.LBB174_31:
	v_bfe_u32 v6, v32, 16, 1
	s_movk_i32 s11, 0x7fff
	v_add3_u32 v6, v32, v6, s11
	v_cmp_o_f32_e32 vcc, v32, v32
	v_mov_b32_e32 v7, 0x7fc0
	s_nop 0
	v_cndmask_b32_sdwa v8, v7, v6, vcc dst_sel:DWORD dst_unused:UNUSED_PAD src0_sel:DWORD src1_sel:WORD_1
	v_add_u32_e32 v6, v5, v4
	v_mov_b32_e32 v7, 0
	s_waitcnt lgkmcnt(0)
	v_lshl_add_u64 v[6:7], v[6:7], 1, s[12:13]
	global_store_short v[6:7], v8, off
.LBB174_32:
	s_or_b64 exec, exec, s[8:9]
	v_add3_u32 v5, v1, s15, 24
	v_cmp_gt_u32_e32 vcc, s10, v5
	s_and_b64 exec, exec, vcc
	s_cbranch_execz .LBB174_62
; %bb.33:
	v_mul_lo_u32 v5, v5, s14
	s_and_saveexec_b64 s[8:9], s[0:1]
	s_cbranch_execnz .LBB174_69
; %bb.34:
	s_or_b64 exec, exec, s[8:9]
	s_and_saveexec_b64 s[8:9], s[2:3]
	s_cbranch_execnz .LBB174_70
.LBB174_35:
	s_or_b64 exec, exec, s[8:9]
	s_and_saveexec_b64 s[8:9], s[4:5]
	s_cbranch_execnz .LBB174_71
.LBB174_36:
	s_or_b64 exec, exec, s[8:9]
	s_and_saveexec_b64 s[8:9], s[6:7]
	s_cbranch_execz .LBB174_38
.LBB174_37:
	v_bfe_u32 v6, v33, 16, 1
	s_movk_i32 s11, 0x7fff
	v_add3_u32 v6, v33, v6, s11
	v_cmp_o_f32_e32 vcc, v33, v33
	v_mov_b32_e32 v7, 0x7fc0
	s_nop 0
	v_cndmask_b32_sdwa v8, v7, v6, vcc dst_sel:DWORD dst_unused:UNUSED_PAD src0_sel:DWORD src1_sel:WORD_1
	v_add_u32_e32 v6, v5, v4
	v_mov_b32_e32 v7, 0
	s_waitcnt lgkmcnt(0)
	v_lshl_add_u64 v[6:7], v[6:7], 1, s[12:13]
	global_store_short v[6:7], v8, off
.LBB174_38:
	s_or_b64 exec, exec, s[8:9]
	v_add3_u32 v5, v1, s15, 32
	v_cmp_gt_u32_e32 vcc, s10, v5
	s_and_b64 exec, exec, vcc
	s_cbranch_execz .LBB174_62
; %bb.39:
	v_mul_lo_u32 v5, v5, s14
	s_and_saveexec_b64 s[8:9], s[0:1]
	s_cbranch_execnz .LBB174_72
; %bb.40:
	s_or_b64 exec, exec, s[8:9]
	s_and_saveexec_b64 s[8:9], s[2:3]
	s_cbranch_execnz .LBB174_73
.LBB174_41:
	s_or_b64 exec, exec, s[8:9]
	s_and_saveexec_b64 s[8:9], s[4:5]
	s_cbranch_execnz .LBB174_74
.LBB174_42:
	s_or_b64 exec, exec, s[8:9]
	s_and_saveexec_b64 s[8:9], s[6:7]
	s_cbranch_execz .LBB174_44
.LBB174_43:
	v_bfe_u32 v6, v24, 16, 1
	s_movk_i32 s11, 0x7fff
	v_add3_u32 v6, v24, v6, s11
	v_cmp_o_f32_e32 vcc, v24, v24
	v_mov_b32_e32 v7, 0x7fc0
	s_nop 0
	v_cndmask_b32_sdwa v8, v7, v6, vcc dst_sel:DWORD dst_unused:UNUSED_PAD src0_sel:DWORD src1_sel:WORD_1
	v_add_u32_e32 v6, v5, v4
	v_mov_b32_e32 v7, 0
	s_waitcnt lgkmcnt(0)
	v_lshl_add_u64 v[6:7], v[6:7], 1, s[12:13]
	global_store_short v[6:7], v8, off
.LBB174_44:
	s_or_b64 exec, exec, s[8:9]
	v_add3_u32 v5, v1, s15, 40
	v_cmp_gt_u32_e32 vcc, s10, v5
	s_and_b64 exec, exec, vcc
	s_cbranch_execz .LBB174_62
; %bb.45:
	v_mul_lo_u32 v5, v5, s14
	s_and_saveexec_b64 s[8:9], s[0:1]
	s_cbranch_execnz .LBB174_75
; %bb.46:
	s_or_b64 exec, exec, s[8:9]
	s_and_saveexec_b64 s[8:9], s[2:3]
	s_cbranch_execnz .LBB174_76
.LBB174_47:
	s_or_b64 exec, exec, s[8:9]
	s_and_saveexec_b64 s[8:9], s[4:5]
	s_cbranch_execnz .LBB174_77
.LBB174_48:
	s_or_b64 exec, exec, s[8:9]
	s_and_saveexec_b64 s[8:9], s[6:7]
	s_cbranch_execz .LBB174_50
.LBB174_49:
	v_bfe_u32 v6, v25, 16, 1
	s_movk_i32 s11, 0x7fff
	v_add3_u32 v6, v25, v6, s11
	v_cmp_o_f32_e32 vcc, v25, v25
	v_mov_b32_e32 v7, 0x7fc0
	s_nop 0
	v_cndmask_b32_sdwa v8, v7, v6, vcc dst_sel:DWORD dst_unused:UNUSED_PAD src0_sel:DWORD src1_sel:WORD_1
	v_add_u32_e32 v6, v5, v4
	v_mov_b32_e32 v7, 0
	s_waitcnt lgkmcnt(0)
	v_lshl_add_u64 v[6:7], v[6:7], 1, s[12:13]
	global_store_short v[6:7], v8, off
.LBB174_50:
	s_or_b64 exec, exec, s[8:9]
	v_add3_u32 v5, v1, s15, 48
	v_cmp_gt_u32_e32 vcc, s10, v5
	s_and_b64 exec, exec, vcc
	s_cbranch_execz .LBB174_62
; %bb.51:
	v_mul_lo_u32 v5, v5, s14
	s_and_saveexec_b64 s[8:9], s[0:1]
	s_cbranch_execnz .LBB174_78
; %bb.52:
	s_or_b64 exec, exec, s[8:9]
	s_and_saveexec_b64 s[8:9], s[2:3]
	s_cbranch_execnz .LBB174_79
.LBB174_53:
	s_or_b64 exec, exec, s[8:9]
	s_and_saveexec_b64 s[8:9], s[4:5]
	s_cbranch_execnz .LBB174_80
.LBB174_54:
	s_or_b64 exec, exec, s[8:9]
	s_and_saveexec_b64 s[8:9], s[6:7]
	s_cbranch_execz .LBB174_56
.LBB174_55:
	v_bfe_u32 v6, v16, 16, 1
	s_movk_i32 s11, 0x7fff
	v_add3_u32 v6, v16, v6, s11
	v_cmp_o_f32_e32 vcc, v16, v16
	v_mov_b32_e32 v7, 0x7fc0
	s_nop 0
	v_cndmask_b32_sdwa v8, v7, v6, vcc dst_sel:DWORD dst_unused:UNUSED_PAD src0_sel:DWORD src1_sel:WORD_1
	v_add_u32_e32 v6, v5, v4
	v_mov_b32_e32 v7, 0
	s_waitcnt lgkmcnt(0)
	v_lshl_add_u64 v[6:7], v[6:7], 1, s[12:13]
	global_store_short v[6:7], v8, off
.LBB174_56:
	s_or_b64 exec, exec, s[8:9]
	v_add3_u32 v1, v1, s15, 56
	v_cmp_gt_u32_e32 vcc, s10, v1
	s_and_b64 exec, exec, vcc
	s_cbranch_execz .LBB174_62
; %bb.57:
	v_mul_lo_u32 v1, v1, s14
	s_and_saveexec_b64 s[8:9], s[0:1]
	s_cbranch_execnz .LBB174_81
; %bb.58:
	s_or_b64 exec, exec, s[8:9]
	s_and_saveexec_b64 s[0:1], s[2:3]
	s_cbranch_execnz .LBB174_82
.LBB174_59:
	s_or_b64 exec, exec, s[0:1]
	s_and_saveexec_b64 s[0:1], s[4:5]
	s_cbranch_execnz .LBB174_83
.LBB174_60:
	s_or_b64 exec, exec, s[0:1]
	s_and_b64 exec, exec, s[6:7]
	s_cbranch_execz .LBB174_62
.LBB174_61:
	v_bfe_u32 v0, v17, 16, 1
	s_movk_i32 s0, 0x7fff
	v_add3_u32 v0, v17, v0, s0
	v_cmp_o_f32_e32 vcc, v17, v17
	v_mov_b32_e32 v2, 0x7fc0
	s_nop 0
	v_cndmask_b32_sdwa v2, v2, v0, vcc dst_sel:DWORD dst_unused:UNUSED_PAD src0_sel:DWORD src1_sel:WORD_1
	v_add_u32_e32 v0, v1, v4
	v_mov_b32_e32 v1, 0
	s_waitcnt lgkmcnt(0)
	v_lshl_add_u64 v[0:1], v[0:1], 1, s[12:13]
	global_store_short v[0:1], v2, off
.LBB174_62:
	s_endpgm
.LBB174_63:
	v_bfe_u32 v6, v53, 16, 1
	s_movk_i32 s11, 0x7fff
	v_add3_u32 v6, v53, v6, s11
	v_cmp_o_f32_e32 vcc, v53, v53
	v_mov_b32_e32 v7, 0x7fc0
	s_nop 0
	v_cndmask_b32_sdwa v8, v7, v6, vcc dst_sel:DWORD dst_unused:UNUSED_PAD src0_sel:DWORD src1_sel:WORD_1
	v_add_u32_e32 v6, v5, v0
	v_mov_b32_e32 v7, 0
	s_waitcnt lgkmcnt(0)
	v_lshl_add_u64 v[6:7], v[6:7], 1, s[12:13]
	global_store_short v[6:7], v8, off
	s_or_b64 exec, exec, s[8:9]
	s_and_saveexec_b64 s[8:9], s[2:3]
	s_cbranch_execz .LBB174_23
.LBB174_64:
	v_bfe_u32 v6, v51, 16, 1
	s_movk_i32 s11, 0x7fff
	v_add3_u32 v6, v51, v6, s11
	v_cmp_o_f32_e32 vcc, v51, v51
	v_mov_b32_e32 v7, 0x7fc0
	s_nop 0
	v_cndmask_b32_sdwa v8, v7, v6, vcc dst_sel:DWORD dst_unused:UNUSED_PAD src0_sel:DWORD src1_sel:WORD_1
	v_add_u32_e32 v6, v5, v2
	v_mov_b32_e32 v7, 0
	s_waitcnt lgkmcnt(0)
	v_lshl_add_u64 v[6:7], v[6:7], 1, s[12:13]
	global_store_short v[6:7], v8, off
	s_or_b64 exec, exec, s[8:9]
	s_and_saveexec_b64 s[8:9], s[4:5]
	s_cbranch_execz .LBB174_24
.LBB174_65:
	v_bfe_u32 v6, v43, 16, 1
	s_movk_i32 s11, 0x7fff
	v_add3_u32 v6, v43, v6, s11
	v_cmp_o_f32_e32 vcc, v43, v43
	v_mov_b32_e32 v7, 0x7fc0
	s_nop 0
	v_cndmask_b32_sdwa v8, v7, v6, vcc dst_sel:DWORD dst_unused:UNUSED_PAD src0_sel:DWORD src1_sel:WORD_1
	v_add_u32_e32 v6, v5, v3
	v_mov_b32_e32 v7, 0
	s_waitcnt lgkmcnt(0)
	v_lshl_add_u64 v[6:7], v[6:7], 1, s[12:13]
	global_store_short v[6:7], v8, off
	s_or_b64 exec, exec, s[8:9]
	s_and_saveexec_b64 s[8:9], s[6:7]
	s_cbranch_execnz .LBB174_25
	s_branch .LBB174_26
.LBB174_66:
	v_bfe_u32 v6, v38, 16, 1
	s_movk_i32 s11, 0x7fff
	v_add3_u32 v6, v38, v6, s11
	v_cmp_o_f32_e32 vcc, v38, v38
	v_mov_b32_e32 v7, 0x7fc0
	s_nop 0
	v_cndmask_b32_sdwa v8, v7, v6, vcc dst_sel:DWORD dst_unused:UNUSED_PAD src0_sel:DWORD src1_sel:WORD_1
	v_add_u32_e32 v6, v5, v0
	v_mov_b32_e32 v7, 0
	s_waitcnt lgkmcnt(0)
	v_lshl_add_u64 v[6:7], v[6:7], 1, s[12:13]
	global_store_short v[6:7], v8, off
	s_or_b64 exec, exec, s[8:9]
	s_and_saveexec_b64 s[8:9], s[2:3]
	s_cbranch_execz .LBB174_29
.LBB174_67:
	v_bfe_u32 v6, v36, 16, 1
	s_movk_i32 s11, 0x7fff
	v_add3_u32 v6, v36, v6, s11
	v_cmp_o_f32_e32 vcc, v36, v36
	v_mov_b32_e32 v7, 0x7fc0
	s_nop 0
	v_cndmask_b32_sdwa v8, v7, v6, vcc dst_sel:DWORD dst_unused:UNUSED_PAD src0_sel:DWORD src1_sel:WORD_1
	v_add_u32_e32 v6, v5, v2
	v_mov_b32_e32 v7, 0
	s_waitcnt lgkmcnt(0)
	v_lshl_add_u64 v[6:7], v[6:7], 1, s[12:13]
	global_store_short v[6:7], v8, off
	s_or_b64 exec, exec, s[8:9]
	s_and_saveexec_b64 s[8:9], s[4:5]
	s_cbranch_execz .LBB174_30
.LBB174_68:
	v_bfe_u32 v6, v34, 16, 1
	s_movk_i32 s11, 0x7fff
	v_add3_u32 v6, v34, v6, s11
	v_cmp_o_f32_e32 vcc, v34, v34
	v_mov_b32_e32 v7, 0x7fc0
	s_nop 0
	v_cndmask_b32_sdwa v8, v7, v6, vcc dst_sel:DWORD dst_unused:UNUSED_PAD src0_sel:DWORD src1_sel:WORD_1
	v_add_u32_e32 v6, v5, v3
	v_mov_b32_e32 v7, 0
	s_waitcnt lgkmcnt(0)
	v_lshl_add_u64 v[6:7], v[6:7], 1, s[12:13]
	global_store_short v[6:7], v8, off
	s_or_b64 exec, exec, s[8:9]
	s_and_saveexec_b64 s[8:9], s[6:7]
	s_cbranch_execnz .LBB174_31
	s_branch .LBB174_32
.LBB174_69:
	v_bfe_u32 v6, v39, 16, 1
	s_movk_i32 s11, 0x7fff
	v_add3_u32 v6, v39, v6, s11
	v_cmp_o_f32_e32 vcc, v39, v39
	v_mov_b32_e32 v7, 0x7fc0
	s_nop 0
	v_cndmask_b32_sdwa v8, v7, v6, vcc dst_sel:DWORD dst_unused:UNUSED_PAD src0_sel:DWORD src1_sel:WORD_1
	v_add_u32_e32 v6, v5, v0
	v_mov_b32_e32 v7, 0
	s_waitcnt lgkmcnt(0)
	v_lshl_add_u64 v[6:7], v[6:7], 1, s[12:13]
	global_store_short v[6:7], v8, off
	s_or_b64 exec, exec, s[8:9]
	s_and_saveexec_b64 s[8:9], s[2:3]
	s_cbranch_execz .LBB174_35
.LBB174_70:
	v_bfe_u32 v6, v37, 16, 1
	s_movk_i32 s11, 0x7fff
	v_add3_u32 v6, v37, v6, s11
	v_cmp_o_f32_e32 vcc, v37, v37
	v_mov_b32_e32 v7, 0x7fc0
	s_nop 0
	v_cndmask_b32_sdwa v8, v7, v6, vcc dst_sel:DWORD dst_unused:UNUSED_PAD src0_sel:DWORD src1_sel:WORD_1
	v_add_u32_e32 v6, v5, v2
	v_mov_b32_e32 v7, 0
	s_waitcnt lgkmcnt(0)
	v_lshl_add_u64 v[6:7], v[6:7], 1, s[12:13]
	global_store_short v[6:7], v8, off
	s_or_b64 exec, exec, s[8:9]
	s_and_saveexec_b64 s[8:9], s[4:5]
	s_cbranch_execz .LBB174_36
.LBB174_71:
	v_bfe_u32 v6, v35, 16, 1
	s_movk_i32 s11, 0x7fff
	v_add3_u32 v6, v35, v6, s11
	v_cmp_o_f32_e32 vcc, v35, v35
	v_mov_b32_e32 v7, 0x7fc0
	s_nop 0
	v_cndmask_b32_sdwa v8, v7, v6, vcc dst_sel:DWORD dst_unused:UNUSED_PAD src0_sel:DWORD src1_sel:WORD_1
	v_add_u32_e32 v6, v5, v3
	v_mov_b32_e32 v7, 0
	s_waitcnt lgkmcnt(0)
	v_lshl_add_u64 v[6:7], v[6:7], 1, s[12:13]
	global_store_short v[6:7], v8, off
	s_or_b64 exec, exec, s[8:9]
	s_and_saveexec_b64 s[8:9], s[6:7]
	s_cbranch_execnz .LBB174_37
	s_branch .LBB174_38
.LBB174_72:
	v_bfe_u32 v6, v30, 16, 1
	s_movk_i32 s11, 0x7fff
	v_add3_u32 v6, v30, v6, s11
	v_cmp_o_f32_e32 vcc, v30, v30
	v_mov_b32_e32 v7, 0x7fc0
	s_nop 0
	v_cndmask_b32_sdwa v8, v7, v6, vcc dst_sel:DWORD dst_unused:UNUSED_PAD src0_sel:DWORD src1_sel:WORD_1
	v_add_u32_e32 v6, v5, v0
	v_mov_b32_e32 v7, 0
	s_waitcnt lgkmcnt(0)
	v_lshl_add_u64 v[6:7], v[6:7], 1, s[12:13]
	global_store_short v[6:7], v8, off
	s_or_b64 exec, exec, s[8:9]
	s_and_saveexec_b64 s[8:9], s[2:3]
	s_cbranch_execz .LBB174_41
.LBB174_73:
	v_bfe_u32 v6, v28, 16, 1
	s_movk_i32 s11, 0x7fff
	v_add3_u32 v6, v28, v6, s11
	v_cmp_o_f32_e32 vcc, v28, v28
	v_mov_b32_e32 v7, 0x7fc0
	s_nop 0
	v_cndmask_b32_sdwa v8, v7, v6, vcc dst_sel:DWORD dst_unused:UNUSED_PAD src0_sel:DWORD src1_sel:WORD_1
	v_add_u32_e32 v6, v5, v2
	v_mov_b32_e32 v7, 0
	s_waitcnt lgkmcnt(0)
	v_lshl_add_u64 v[6:7], v[6:7], 1, s[12:13]
	global_store_short v[6:7], v8, off
	s_or_b64 exec, exec, s[8:9]
	s_and_saveexec_b64 s[8:9], s[4:5]
	s_cbranch_execz .LBB174_42
.LBB174_74:
	v_bfe_u32 v6, v26, 16, 1
	s_movk_i32 s11, 0x7fff
	v_add3_u32 v6, v26, v6, s11
	v_cmp_o_f32_e32 vcc, v26, v26
	v_mov_b32_e32 v7, 0x7fc0
	s_nop 0
	v_cndmask_b32_sdwa v8, v7, v6, vcc dst_sel:DWORD dst_unused:UNUSED_PAD src0_sel:DWORD src1_sel:WORD_1
	v_add_u32_e32 v6, v5, v3
	v_mov_b32_e32 v7, 0
	s_waitcnt lgkmcnt(0)
	v_lshl_add_u64 v[6:7], v[6:7], 1, s[12:13]
	global_store_short v[6:7], v8, off
	s_or_b64 exec, exec, s[8:9]
	s_and_saveexec_b64 s[8:9], s[6:7]
	s_cbranch_execnz .LBB174_43
	s_branch .LBB174_44
.LBB174_75:
	v_bfe_u32 v6, v31, 16, 1
	s_movk_i32 s11, 0x7fff
	v_add3_u32 v6, v31, v6, s11
	v_cmp_o_f32_e32 vcc, v31, v31
	v_mov_b32_e32 v7, 0x7fc0
	s_nop 0
	v_cndmask_b32_sdwa v8, v7, v6, vcc dst_sel:DWORD dst_unused:UNUSED_PAD src0_sel:DWORD src1_sel:WORD_1
	v_add_u32_e32 v6, v5, v0
	v_mov_b32_e32 v7, 0
	s_waitcnt lgkmcnt(0)
	v_lshl_add_u64 v[6:7], v[6:7], 1, s[12:13]
	global_store_short v[6:7], v8, off
	s_or_b64 exec, exec, s[8:9]
	s_and_saveexec_b64 s[8:9], s[2:3]
	s_cbranch_execz .LBB174_47
.LBB174_76:
	v_bfe_u32 v6, v29, 16, 1
	s_movk_i32 s11, 0x7fff
	v_add3_u32 v6, v29, v6, s11
	v_cmp_o_f32_e32 vcc, v29, v29
	v_mov_b32_e32 v7, 0x7fc0
	s_nop 0
	v_cndmask_b32_sdwa v8, v7, v6, vcc dst_sel:DWORD dst_unused:UNUSED_PAD src0_sel:DWORD src1_sel:WORD_1
	v_add_u32_e32 v6, v5, v2
	v_mov_b32_e32 v7, 0
	s_waitcnt lgkmcnt(0)
	v_lshl_add_u64 v[6:7], v[6:7], 1, s[12:13]
	global_store_short v[6:7], v8, off
	s_or_b64 exec, exec, s[8:9]
	s_and_saveexec_b64 s[8:9], s[4:5]
	s_cbranch_execz .LBB174_48
.LBB174_77:
	v_bfe_u32 v6, v27, 16, 1
	s_movk_i32 s11, 0x7fff
	v_add3_u32 v6, v27, v6, s11
	v_cmp_o_f32_e32 vcc, v27, v27
	v_mov_b32_e32 v7, 0x7fc0
	s_nop 0
	v_cndmask_b32_sdwa v8, v7, v6, vcc dst_sel:DWORD dst_unused:UNUSED_PAD src0_sel:DWORD src1_sel:WORD_1
	v_add_u32_e32 v6, v5, v3
	v_mov_b32_e32 v7, 0
	s_waitcnt lgkmcnt(0)
	v_lshl_add_u64 v[6:7], v[6:7], 1, s[12:13]
	global_store_short v[6:7], v8, off
	s_or_b64 exec, exec, s[8:9]
	s_and_saveexec_b64 s[8:9], s[6:7]
	s_cbranch_execnz .LBB174_49
	s_branch .LBB174_50
.LBB174_78:
	v_bfe_u32 v6, v22, 16, 1
	s_movk_i32 s11, 0x7fff
	v_add3_u32 v6, v22, v6, s11
	v_cmp_o_f32_e32 vcc, v22, v22
	v_mov_b32_e32 v7, 0x7fc0
	s_nop 0
	v_cndmask_b32_sdwa v8, v7, v6, vcc dst_sel:DWORD dst_unused:UNUSED_PAD src0_sel:DWORD src1_sel:WORD_1
	v_add_u32_e32 v6, v5, v0
	v_mov_b32_e32 v7, 0
	s_waitcnt lgkmcnt(0)
	v_lshl_add_u64 v[6:7], v[6:7], 1, s[12:13]
	global_store_short v[6:7], v8, off
	s_or_b64 exec, exec, s[8:9]
	s_and_saveexec_b64 s[8:9], s[2:3]
	s_cbranch_execz .LBB174_53
.LBB174_79:
	v_bfe_u32 v6, v20, 16, 1
	s_movk_i32 s11, 0x7fff
	v_add3_u32 v6, v20, v6, s11
	v_cmp_o_f32_e32 vcc, v20, v20
	v_mov_b32_e32 v7, 0x7fc0
	s_nop 0
	v_cndmask_b32_sdwa v8, v7, v6, vcc dst_sel:DWORD dst_unused:UNUSED_PAD src0_sel:DWORD src1_sel:WORD_1
	v_add_u32_e32 v6, v5, v2
	v_mov_b32_e32 v7, 0
	s_waitcnt lgkmcnt(0)
	v_lshl_add_u64 v[6:7], v[6:7], 1, s[12:13]
	global_store_short v[6:7], v8, off
	s_or_b64 exec, exec, s[8:9]
	s_and_saveexec_b64 s[8:9], s[4:5]
	s_cbranch_execz .LBB174_54
.LBB174_80:
	v_bfe_u32 v6, v18, 16, 1
	s_movk_i32 s11, 0x7fff
	v_add3_u32 v6, v18, v6, s11
	v_cmp_o_f32_e32 vcc, v18, v18
	v_mov_b32_e32 v7, 0x7fc0
	s_nop 0
	v_cndmask_b32_sdwa v8, v7, v6, vcc dst_sel:DWORD dst_unused:UNUSED_PAD src0_sel:DWORD src1_sel:WORD_1
	v_add_u32_e32 v6, v5, v3
	v_mov_b32_e32 v7, 0
	s_waitcnt lgkmcnt(0)
	v_lshl_add_u64 v[6:7], v[6:7], 1, s[12:13]
	global_store_short v[6:7], v8, off
	s_or_b64 exec, exec, s[8:9]
	s_and_saveexec_b64 s[8:9], s[6:7]
	s_cbranch_execnz .LBB174_55
	s_branch .LBB174_56
.LBB174_81:
	v_bfe_u32 v5, v23, 16, 1
	s_movk_i32 s0, 0x7fff
	v_add3_u32 v5, v23, v5, s0
	v_cmp_o_f32_e32 vcc, v23, v23
	v_mov_b32_e32 v6, 0x7fc0
	v_mov_b32_e32 v7, 0
	v_cndmask_b32_sdwa v5, v6, v5, vcc dst_sel:DWORD dst_unused:UNUSED_PAD src0_sel:DWORD src1_sel:WORD_1
	v_add_u32_e32 v6, v1, v0
	s_waitcnt lgkmcnt(0)
	v_lshl_add_u64 v[6:7], v[6:7], 1, s[12:13]
	global_store_short v[6:7], v5, off
	s_or_b64 exec, exec, s[8:9]
	s_and_saveexec_b64 s[0:1], s[2:3]
	s_cbranch_execz .LBB174_59
.LBB174_82:
	v_bfe_u32 v0, v21, 16, 1
	s_movk_i32 s2, 0x7fff
	v_add3_u32 v0, v21, v0, s2
	v_cmp_o_f32_e32 vcc, v21, v21
	v_mov_b32_e32 v5, 0x7fc0
	v_add_u32_e32 v6, v1, v2
	v_mov_b32_e32 v7, 0
	v_cndmask_b32_sdwa v0, v5, v0, vcc dst_sel:DWORD dst_unused:UNUSED_PAD src0_sel:DWORD src1_sel:WORD_1
	s_waitcnt lgkmcnt(0)
	v_lshl_add_u64 v[6:7], v[6:7], 1, s[12:13]
	global_store_short v[6:7], v0, off
	s_or_b64 exec, exec, s[0:1]
	s_and_saveexec_b64 s[0:1], s[4:5]
	s_cbranch_execz .LBB174_60
.LBB174_83:
	v_bfe_u32 v0, v19, 16, 1
	s_movk_i32 s2, 0x7fff
	v_add3_u32 v0, v19, v0, s2
	v_cmp_o_f32_e32 vcc, v19, v19
	v_mov_b32_e32 v2, 0x7fc0
	s_nop 0
	v_cndmask_b32_sdwa v0, v2, v0, vcc dst_sel:DWORD dst_unused:UNUSED_PAD src0_sel:DWORD src1_sel:WORD_1
	v_add_u32_e32 v2, v1, v3
	v_mov_b32_e32 v3, 0
	s_waitcnt lgkmcnt(0)
	v_lshl_add_u64 v[2:3], v[2:3], 1, s[12:13]
	global_store_short v[2:3], v0, off
	s_or_b64 exec, exec, s[0:1]
	s_and_b64 exec, exec, s[6:7]
	s_cbranch_execnz .LBB174_61
	s_branch .LBB174_62
	.section	.rodata,"a",@progbits
	.p2align	6, 0x0
	.amdhsa_kernel _ZL12mul_mat_q5_KIN3c108BFloat16ELb1EEvPKvS3_PT_iiiii
		.amdhsa_group_segment_fixed_size 45136
		.amdhsa_private_segment_fixed_size 112
		.amdhsa_kernarg_size 44
		.amdhsa_user_sgpr_count 2
		.amdhsa_user_sgpr_dispatch_ptr 0
		.amdhsa_user_sgpr_queue_ptr 0
		.amdhsa_user_sgpr_kernarg_segment_ptr 1
		.amdhsa_user_sgpr_dispatch_id 0
		.amdhsa_user_sgpr_kernarg_preload_length 0
		.amdhsa_user_sgpr_kernarg_preload_offset 0
		.amdhsa_user_sgpr_private_segment_size 0
		.amdhsa_uses_dynamic_stack 0
		.amdhsa_enable_private_segment 1
		.amdhsa_system_sgpr_workgroup_id_x 1
		.amdhsa_system_sgpr_workgroup_id_y 1
		.amdhsa_system_sgpr_workgroup_id_z 0
		.amdhsa_system_sgpr_workgroup_info 0
		.amdhsa_system_vgpr_workitem_id 1
		.amdhsa_next_free_vgpr 256
		.amdhsa_next_free_sgpr 96
		.amdhsa_accum_offset 256
		.amdhsa_reserve_vcc 1
		.amdhsa_float_round_mode_32 0
		.amdhsa_float_round_mode_16_64 0
		.amdhsa_float_denorm_mode_32 3
		.amdhsa_float_denorm_mode_16_64 3
		.amdhsa_dx10_clamp 1
		.amdhsa_ieee_mode 1
		.amdhsa_fp16_overflow 0
		.amdhsa_tg_split 0
		.amdhsa_exception_fp_ieee_invalid_op 0
		.amdhsa_exception_fp_denorm_src 0
		.amdhsa_exception_fp_ieee_div_zero 0
		.amdhsa_exception_fp_ieee_overflow 0
		.amdhsa_exception_fp_ieee_underflow 0
		.amdhsa_exception_fp_ieee_inexact 0
		.amdhsa_exception_int_div_zero 0
	.end_amdhsa_kernel
	.section	.text._ZL12mul_mat_q5_KIN3c108BFloat16ELb1EEvPKvS3_PT_iiiii,"axG",@progbits,_ZL12mul_mat_q5_KIN3c108BFloat16ELb1EEvPKvS3_PT_iiiii,comdat
.Lfunc_end174:
	.size	_ZL12mul_mat_q5_KIN3c108BFloat16ELb1EEvPKvS3_PT_iiiii, .Lfunc_end174-_ZL12mul_mat_q5_KIN3c108BFloat16ELb1EEvPKvS3_PT_iiiii
                                        ; -- End function
	.set _ZL12mul_mat_q5_KIN3c108BFloat16ELb1EEvPKvS3_PT_iiiii.num_vgpr, 256
	.set _ZL12mul_mat_q5_KIN3c108BFloat16ELb1EEvPKvS3_PT_iiiii.num_agpr, 0
	.set _ZL12mul_mat_q5_KIN3c108BFloat16ELb1EEvPKvS3_PT_iiiii.numbered_sgpr, 21
	.set _ZL12mul_mat_q5_KIN3c108BFloat16ELb1EEvPKvS3_PT_iiiii.num_named_barrier, 0
	.set _ZL12mul_mat_q5_KIN3c108BFloat16ELb1EEvPKvS3_PT_iiiii.private_seg_size, 112
	.set _ZL12mul_mat_q5_KIN3c108BFloat16ELb1EEvPKvS3_PT_iiiii.uses_vcc, 1
	.set _ZL12mul_mat_q5_KIN3c108BFloat16ELb1EEvPKvS3_PT_iiiii.uses_flat_scratch, 0
	.set _ZL12mul_mat_q5_KIN3c108BFloat16ELb1EEvPKvS3_PT_iiiii.has_dyn_sized_stack, 0
	.set _ZL12mul_mat_q5_KIN3c108BFloat16ELb1EEvPKvS3_PT_iiiii.has_recursion, 0
	.set _ZL12mul_mat_q5_KIN3c108BFloat16ELb1EEvPKvS3_PT_iiiii.has_indirect_call, 0
	.section	.AMDGPU.csdata,"",@progbits
; Kernel info:
; codeLenInByte = 18524
; TotalNumSgprs: 27
; NumVgprs: 256
; NumAgprs: 0
; TotalNumVgprs: 256
; ScratchSize: 112
; MemoryBound: 0
; FloatMode: 240
; IeeeMode: 1
; LDSByteSize: 45136 bytes/workgroup (compile time only)
; SGPRBlocks: 12
; VGPRBlocks: 31
; NumSGPRsForWavesPerEU: 102
; NumVGPRsForWavesPerEU: 256
; AccumOffset: 256
; Occupancy: 2
; WaveLimiterHint : 0
; COMPUTE_PGM_RSRC2:SCRATCH_EN: 1
; COMPUTE_PGM_RSRC2:USER_SGPR: 2
; COMPUTE_PGM_RSRC2:TRAP_HANDLER: 0
; COMPUTE_PGM_RSRC2:TGID_X_EN: 1
; COMPUTE_PGM_RSRC2:TGID_Y_EN: 1
; COMPUTE_PGM_RSRC2:TGID_Z_EN: 0
; COMPUTE_PGM_RSRC2:TIDIG_COMP_CNT: 1
; COMPUTE_PGM_RSRC3_GFX90A:ACCUM_OFFSET: 63
; COMPUTE_PGM_RSRC3_GFX90A:TG_SPLIT: 0
	.section	.text._ZL12mul_mat_q6_KIN3c108BFloat16ELb0EEvPKvS3_PT_iiiii,"axG",@progbits,_ZL12mul_mat_q6_KIN3c108BFloat16ELb0EEvPKvS3_PT_iiiii,comdat
	.globl	_ZL12mul_mat_q6_KIN3c108BFloat16ELb0EEvPKvS3_PT_iiiii ; -- Begin function _ZL12mul_mat_q6_KIN3c108BFloat16ELb0EEvPKvS3_PT_iiiii
	.p2align	8
	.type	_ZL12mul_mat_q6_KIN3c108BFloat16ELb0EEvPKvS3_PT_iiiii,@function
_ZL12mul_mat_q6_KIN3c108BFloat16ELb0EEvPKvS3_PT_iiiii: ; @_ZL12mul_mat_q6_KIN3c108BFloat16ELb0EEvPKvS3_PT_iiiii
; %bb.0:
	s_load_dword s7, s[0:1], 0x18
	s_load_dwordx4 s[8:11], s[0:1], 0x20
	s_waitcnt lgkmcnt(0)
	s_lshl_b32 s11, s3, 6
	v_bfe_u32 v1, v0, 10, 10
	scratch_store_dword off, v1, off offset:8 ; 4-byte Folded Spill
	s_cmpk_gt_i32 s7, 0xff
	s_cbranch_scc1 .LBB175_2
; %bb.1:
	v_bfe_u32 v1, v0, 10, 10
	v_and_b32_e32 v34, 0x3ff, v0
	v_add_u32_e32 v35, s11, v1
	s_mov_b64 s[4:5], 0
	s_branch .LBB175_3
.LBB175_2:
	s_mov_b64 s[4:5], -1
                                        ; implicit-def: $vgpr1
                                        ; implicit-def: $vgpr34
                                        ; implicit-def: $vgpr35
.LBB175_3:
	s_load_dwordx2 s[12:13], s[0:1], 0x10
	s_lshl_b32 s6, s2, 7
	v_mov_b32_e32 v5, 0
	s_andn2_b64 vcc, exec, s[4:5]
	v_mov_b32_e32 v4, 0
	v_mov_b32_e32 v3, 0
	;; [unrolled: 1-line block ×31, first 2 shown]
	s_cbranch_vccnz .LBB175_11
; %bb.4:
	s_ashr_i32 s4, s7, 31
	s_load_dwordx4 s[0:3], s[0:1], 0x0
	s_lshr_b32 s4, s4, 24
	s_add_i32 s7, s7, s4
	s_ashr_i32 s5, s9, 31
	s_ashr_i32 s4, s7, 8
	s_lshr_b32 s5, s5, 27
	v_lshrrev_b32_e32 v3, 1, v0
	v_and_b32_e32 v4, 7, v0
	s_add_i32 s5, s9, s5
	s_mul_i32 s7, s4, s6
	v_and_b32_e32 v1, 31, v0
	v_and_or_b32 v3, v3, 8, v4
	s_ashr_i32 s15, s5, 5
	s_mul_hi_i32 s9, s7, 0xd2
	s_mulk_i32 s7, 0xd2
	v_lshlrev_b32_e32 v54, 2, v3
	v_add_u16_e32 v3, -16, v1
	v_cmp_gt_u32_e32 vcc, 16, v1
	s_waitcnt lgkmcnt(0)
	s_add_u32 s7, s0, s7
	v_lshlrev_b32_e32 v2, 1, v1
	v_lshlrev_b32_e32 v52, 2, v1
	v_cndmask_b32_e32 v1, v3, v1, vcc
	s_addc_u32 s9, s1, s9
	v_cmp_lt_u16_e64 s[0:1], 7, v1
	v_add_u32_e32 v1, 0xe0, v2
	v_cndmask_b32_e32 v1, v1, v2, vcc
	v_and_b32_e32 v1, 0xfe, v1
	v_bfe_u32 v16, v0, 10, 10
	v_sub_u32_e32 v1, v2, v1
	v_and_b32_e32 v2, 15, v0
	v_mul_u32_u24_e32 v3, 0x41, v16
	v_cndmask_b32_e64 v61, 0, 2, s[0:1]
	v_lshlrev_b32_e32 v1, 2, v1
	v_lshlrev_b32_e32 v2, 2, v2
	;; [unrolled: 1-line block ×3, first 2 shown]
	s_lshl_b32 s0, s4, 3
	v_add3_u32 v63, v1, v2, v3
	v_mov_b32_e32 v1, s0
	v_mad_i32_i24 v4, s4, v16, v1
	v_add_u32_e32 v3, 8, v16
	v_mov_b32_e32 v2, v4
	v_add_u32_e32 v4, s0, v4
	scratch_store_dwordx2 off, v[2:3], off offset:20 ; 8-byte Folded Spill
	v_mov_b32_e32 v2, v4
	v_add_u32_e32 v4, s0, v4
	scratch_store_dwordx2 off, v[2:3], off offset:28 ; 8-byte Folded Spill
	;; [unrolled: 3-line block ×12, first 2 shown]
	v_mov_b32_e32 v2, v4
	v_add_u32_e32 v4, s0, v4
	v_and_b32_e32 v23, 0x3ff, v0
	scratch_store_dwordx2 off, v[2:3], off offset:116 ; 8-byte Folded Spill
	v_mov_b32_e32 v2, v4
	v_lshlrev_b32_e32 v67, 5, v16
	scratch_store_dwordx2 off, v[2:3], off offset:124 ; 8-byte Folded Spill
	v_add_u32_e32 v2, s0, v4
	v_add_u32_e32 v1, v67, v23
	scratch_store_dwordx2 off, v[2:3], off offset:132 ; 8-byte Folded Spill
	v_and_b32_e32 v2, 0x7f, v1
	v_lshrrev_b32_e32 v1, 3, v1
	v_mul_i32_i24_e32 v4, s4, v2
	v_and_b32_e32 v1, 12, v1
	v_lshlrev_b32_e32 v2, 2, v2
	s_mov_b32 s16, 0xae40
	v_add3_u32 v1, v2, v1, s16
	scratch_store_dwordx2 off, v[4:5], off offset:140 ; 8-byte Folded Spill
	scratch_store_dword off, v1, off offset:148 ; 4-byte Folded Spill
	v_lshlrev_b32_e32 v1, 3, v16
	v_bfe_u32 v4, v0, 2, 8
	v_add_u32_e32 v14, v4, v1
	v_and_b32_e32 v2, 3, v0
	v_add_u16_e32 v1, v4, v1
	v_lshlrev_b32_e32 v88, 2, v2
	v_and_b32_e32 v5, 0x7f, v14
	v_lshrrev_b16_e32 v1, 1, v1
	v_mul_i32_i24_e32 v6, s4, v5
	v_lshl_or_b32 v5, v5, 4, v88
	v_and_b32_e32 v1, 60, v1
	s_mov_b32 s0, 0xa200
	v_add3_u32 v1, v5, v1, s0
	scratch_store_dword off, v1, off offset:160 ; 4-byte Folded Spill
	v_mov_b32_e32 v1, 0x7f
	v_bitop3_b32 v1, v14, 64, v1 bitop3:0x6c
	v_mul_i32_i24_e32 v4, s4, v1
	scratch_store_dwordx2 off, v[4:5], off offset:164 ; 8-byte Folded Spill
	v_lshl_or_b32 v4, v1, 4, v88
	v_lshrrev_b32_e32 v1, 1, v1
	v_and_b32_e32 v1, 60, v1
	v_add3_u32 v1, v4, v1, s0
	scratch_store_dword off, v1, off offset:172 ; 4-byte Folded Spill
	v_and_b32_e32 v1, 63, v14
	v_or_b32_e32 v14, s11, v1
	v_lshl_or_b32 v1, v1, 4, v88
	v_add_u32_e32 v21, s11, v16
	s_add_i32 s0, s8, -1
	v_add_u32_e32 v1, 0xaa40, v1
	v_bfe_u32 v22, v0, 5, 5
	v_cvt_f64_i32_e32 v[4:5], s0
	scratch_store_dword off, v1, off        ; 4-byte Folded Spill
	v_bfe_u32 v79, v0, 3, 7
	v_cvt_f64_u32_e32 v[0:1], v21
	v_min_f64 v[0:1], v[0:1], v[4:5]
	v_cvt_i32_f64_e32 v0, v[0:1]
	v_mul_lo_u32 v0, s15, v0
	scratch_store_dword off, v0, off offset:4 ; 4-byte Folded Spill
	v_add_u32_e32 v0, 8, v21
	v_cvt_f64_u32_e32 v[0:1], v0
	v_min_f64 v[0:1], v[0:1], v[4:5]
	v_cvt_i32_f64_e32 v0, v[0:1]
	v_mul_lo_u32 v57, s15, v0
	v_add_u32_e32 v0, 16, v21
	v_cvt_f64_u32_e32 v[0:1], v0
	v_min_f64 v[0:1], v[0:1], v[4:5]
	v_cvt_i32_f64_e32 v0, v[0:1]
	v_mul_lo_u32 v85, s15, v0
	;; [unrolled: 5-line block ×7, first 2 shown]
	v_mov_b32_e32 v0, v22
	v_lshlrev_b32_e32 v75, 2, v23
	scratch_store_dwordx2 off, v[0:1], off offset:12 ; 8-byte Folded Spill
	v_lshlrev_b32_e32 v0, 2, v22
	v_add3_u32 v185, v0, v75, s16
	v_add_u32_e32 v0, 32, v23
	v_lshrrev_b32_e32 v186, 3, v0
	v_lshlrev_b32_e32 v5, 2, v0
	v_and_b32_e32 v0, 60, v186
	v_add3_u32 v187, v75, v0, s16
	v_add_u32_e32 v0, 64, v23
	v_lshrrev_b32_e32 v188, 3, v0
	scratch_store_dword off, v21, off offset:188 ; 4-byte Folded Spill
	v_lshlrev_b32_e32 v21, 2, v0
	v_and_b32_e32 v0, 60, v188
	v_add3_u32 v189, v75, v0, s16
	v_add_u32_e32 v0, 0x60, v23
	v_min_i32_e32 v14, s0, v14
	v_lshrrev_b32_e32 v190, 3, v0
	v_mad_u64_u32 v[18:19], s[0:1], v14, s15, v[2:3]
	v_lshlrev_b32_e32 v22, 2, v0
	v_and_b32_e32 v0, 60, v190
	v_add3_u32 v191, v75, v0, s16
	s_movk_i32 s0, 0x104
	v_mov_b32_e32 v0, 0x2080
	v_mov_b32_e32 v53, 0
	v_add_u32_e32 v8, 16, v16
	v_add_u32_e32 v9, 24, v16
	;; [unrolled: 1-line block ×6, first 2 shown]
	v_mad_u32_u24 v200, v23, s0, v0
	v_mov_b32_e32 v0, 0x4100
	scratch_store_dwordx2 off, v[6:7], off offset:152 ; 8-byte Folded Spill
	v_and_b32_e32 v6, 28, v75
	v_mov_b32_e32 v7, v53
	v_or_b32_e32 v15, 0x8200, v52
	scratch_store_dwordx2 off, v[18:19], off offset:176 ; 8-byte Folded Spill
	v_lshlrev_b32_e32 v2, 7, v16
	v_lshlrev_b32_e32 v14, 7, v3
	;; [unrolled: 1-line block ×8, first 2 shown]
	v_mad_u32_u24 v201, v23, s0, v0
	v_mov_b32_e32 v0, 0x6180
	v_mov_b32_e32 v30, v53
	;; [unrolled: 1-line block ×3, first 2 shown]
	v_lshlrev_b32_e32 v192, 5, v3
	v_lshlrev_b32_e32 v193, 5, v8
	;; [unrolled: 1-line block ×7, first 2 shown]
	v_mul_u32_u24_e32 v199, 0x104, v23
	scratch_store_dword off, v23, off offset:184 ; 4-byte Folded Spill
	v_mad_u32_u24 v202, v23, s0, v0
	v_lshl_add_u64 v[0:1], s[2:3], 0, v[6:7]
	v_mov_b32_e32 v32, v53
	v_mov_b32_e32 v33, v53
	v_add_u32_e32 v203, v15, v2
	v_add_u32_e32 v204, v15, v14
	;; [unrolled: 1-line block ×8, first 2 shown]
	v_lshlrev_b32_e32 v211, 2, v5
	v_lshlrev_b32_e32 v212, 2, v21
	;; [unrolled: 1-line block ×3, first 2 shown]
	v_mov_b64_e32 v[14:15], v[30:31]
	v_mov_b64_e32 v[26:27], v[30:31]
	;; [unrolled: 1-line block ×7, first 2 shown]
	s_movk_i32 s5, 0xd2
	v_mov_b32_e32 v55, v53
	s_mov_b32 s14, 0
	v_mov_b32_e32 v89, v53
	s_mov_b32 s15, 0x30303030
	s_movk_i32 s16, 0xe000
	s_movk_i32 s17, 0x3f00
	v_mov_b64_e32 v[16:17], v[32:33]
	v_mov_b64_e32 v[28:29], v[32:33]
	;; [unrolled: 1-line block ×7, first 2 shown]
.LBB175_5:                              ; =>This Loop Header: Depth=1
                                        ;     Child Loop BB175_6 Depth 2
                                        ;     Child Loop BB175_8 Depth 2
	scratch_load_dwordx2 v[36:37], off, off offset:12 ; 8-byte Folded Reload
	scratch_load_dwordx2 v[42:43], off, off offset:20 ; 8-byte Folded Reload
	scratch_load_dword v38, off, off offset:8 ; 4-byte Folded Reload
	s_mul_i32 s0, s14, 0xd2
	s_mul_hi_u32 s1, s14, 0xd2
	s_add_u32 s0, s7, s0
	s_addc_u32 s1, s9, s1
	v_mov_b64_e32 v[34:35], s[0:1]
	s_lshl_b32 s18, s14, 3
	s_mov_b32 s20, 0
	s_waitcnt vmcnt(2)
	v_mad_u64_u32 v[36:37], s[0:1], v36, s5, v[34:35]
	s_waitcnt vmcnt(0)
	v_mul_i32_i24_e32 v38, s4, v38
	v_mad_u64_u32 v[38:39], s[0:1], v38, s5, v[36:37]
	v_lshl_add_u64 v[40:41], v[38:39], 0, v[52:53]
	v_mad_u64_u32 v[42:43], s[0:1], v42, s5, v[36:37]
	v_lshl_add_u64 v[38:39], v[38:39], 0, v[54:55]
	v_lshl_add_u64 v[44:45], v[42:43], 0, v[52:53]
	global_load_dword v46, v[40:41], off
	global_load_dword v47, v[38:39], off offset:128
	global_load_dword v48, v[44:45], off
	v_lshl_add_u64 v[38:39], v[42:43], 0, v[54:55]
	scratch_load_dwordx2 v[40:41], off, off offset:28 ; 8-byte Folded Reload
	s_waitcnt vmcnt(0)
	v_mad_u64_u32 v[40:41], s[0:1], v40, s5, v[36:37]
	v_lshl_add_u64 v[42:43], v[40:41], 0, v[52:53]
	global_load_dword v44, v[38:39], off offset:128
	global_load_dword v45, v[42:43], off
	v_lshl_add_u64 v[38:39], v[40:41], 0, v[54:55]
	global_load_dword v42, v[38:39], off offset:128
	s_nop 0
	scratch_load_dwordx2 v[38:39], off, off offset:36 ; 8-byte Folded Reload
	s_waitcnt vmcnt(3)
	v_ashrrev_i32_e32 v44, v61, v44
	v_lshlrev_b32_e32 v50, 4, v44
	s_waitcnt vmcnt(1)
	v_ashrrev_i32_e32 v42, v61, v42
	s_waitcnt vmcnt(0)
	v_mad_u64_u32 v[38:39], s[0:1], v38, s5, v[36:37]
	v_lshl_add_u64 v[40:41], v[38:39], 0, v[52:53]
	v_lshl_add_u64 v[38:39], v[38:39], 0, v[54:55]
	global_load_dword v43, v[40:41], off
	global_load_dword v49, v[38:39], off offset:128
	v_lshrrev_b32_e32 v39, 4, v46
	v_ashrrev_i32_e32 v40, v61, v47
	v_and_b32_e32 v38, 0xf0f0f0f, v46
	v_and_b32_e32 v41, 0xf0f0f0f, v48
	v_lshrrev_b32_e32 v46, 4, v48
	v_and_b32_e32 v39, 0xf0f0f0f, v39
	v_lshlrev_b32_e32 v48, 4, v40
	v_and_b32_e32 v46, 0xf0f0f0f, v46
	v_and_or_b32 v38, v48, s15, v38
	v_and_or_b32 v39, v40, s15, v39
	;; [unrolled: 1-line block ×4, first 2 shown]
	v_lshrrev_b32_e32 v44, 16, v38
	v_lshlrev_b16_e32 v46, 8, v38
	v_lshrrev_b32_e32 v48, 16, v39
	v_lshlrev_b16_e32 v50, 8, v39
	v_lshrrev_b32_e32 v51, 16, v40
	v_lshlrev_b16_e32 v56, 8, v40
	v_lshrrev_b32_e32 v58, 16, v41
	v_lshlrev_b16_e32 v59, 8, v41
	v_add_u16_e32 v46, 0xe000, v46
	v_lshlrev_b16_e32 v60, 8, v44
	v_add_u16_e32 v50, 0xe000, v50
	v_lshlrev_b16_e32 v62, 8, v48
	;; [unrolled: 2-line block ×4, first 2 shown]
	v_lshrrev_b16_e32 v46, 8, v46
	v_add_u16_e32 v60, 0xe000, v60
	v_lshrrev_b16_e32 v50, 8, v50
	v_add_u16_e32 v62, 0xe000, v62
	;; [unrolled: 2-line block ×4, first 2 shown]
	v_bitop3_b16 v38, v38, v46, s17 bitop3:0xec
	v_lshrrev_b16_e32 v46, 8, v60
	v_bitop3_b16 v39, v39, v50, s17 bitop3:0xec
	v_lshrrev_b16_e32 v50, 8, v62
	;; [unrolled: 2-line block ×4, first 2 shown]
	v_bitop3_b16 v44, v44, v46, s17 bitop3:0xec
	v_bitop3_b16 v46, v48, v50, s17 bitop3:0xec
	v_add_u16_e32 v38, 0xe000, v38
	v_add_u16_e32 v39, 0xe000, v39
	v_bitop3_b16 v48, v51, v56, s17 bitop3:0xec
	v_bitop3_b16 v50, v58, v59, s17 bitop3:0xec
	v_add_u16_sdwa v44, v44, s16 dst_sel:WORD_1 dst_unused:UNUSED_PAD src0_sel:DWORD src1_sel:DWORD
	v_add_u16_sdwa v46, v46, s16 dst_sel:WORD_1 dst_unused:UNUSED_PAD src0_sel:DWORD src1_sel:DWORD
	v_add_u16_e32 v40, 0xe000, v40
	v_add_u16_e32 v41, 0xe000, v41
	v_add_u16_sdwa v48, v48, s16 dst_sel:WORD_1 dst_unused:UNUSED_PAD src0_sel:DWORD src1_sel:DWORD
	v_add_u16_sdwa v50, v50, s16 dst_sel:WORD_1 dst_unused:UNUSED_PAD src0_sel:DWORD src1_sel:DWORD
	v_or_b32_e32 v38, v38, v44
	v_or_b32_e32 v39, v39, v46
	;; [unrolled: 1-line block ×4, first 2 shown]
	ds_write2_b32 v63, v38, v39 offset1:16
	v_add_u32_e32 v38, 0x800, v63
	ds_write2_b32 v38, v40, v41 offset0:8 offset1:24
	scratch_load_dwordx2 v[38:39], off, off offset:44 ; 8-byte Folded Reload
	v_and_b32_e32 v47, 0xf0f0f0f, v45
	v_lshlrev_b32_e32 v44, 4, v42
	v_and_or_b32 v44, v44, s15, v47
	v_lshrrev_b32_e32 v45, 4, v45
	v_and_b32_e32 v45, 0xf0f0f0f, v45
	v_add_u32_e32 v56, 0x30c0, v63
	s_waitcnt vmcnt(0)
	v_mad_u64_u32 v[38:39], s[0:1], v38, s5, v[36:37]
	v_lshl_add_u64 v[40:41], v[38:39], 0, v[52:53]
	v_lshl_add_u64 v[38:39], v[38:39], 0, v[54:55]
	global_load_dword v46, v[40:41], off
	global_load_dword v47, v[38:39], off offset:128
	v_lshrrev_b32_e32 v38, 16, v44
	v_lshlrev_b16_e32 v39, 8, v44
	v_lshlrev_b16_e32 v40, 8, v38
	v_add_u16_e32 v39, 0xe000, v39
	v_add_u16_e32 v40, 0xe000, v40
	v_lshrrev_b16_e32 v39, 8, v39
	v_lshrrev_b16_e32 v40, 8, v40
	v_bitop3_b16 v39, v44, v39, s17 bitop3:0xec
	v_bitop3_b16 v38, v38, v40, s17 bitop3:0xec
	v_add_u16_e32 v39, 0xe000, v39
	v_add_u16_sdwa v38, v38, s16 dst_sel:WORD_1 dst_unused:UNUSED_PAD src0_sel:DWORD src1_sel:DWORD
	s_nop 0
	v_or_b32_e32 v44, v39, v38
	v_and_or_b32 v38, v42, s15, v45
	v_lshlrev_b16_e32 v40, 8, v38
	v_add_u16_e32 v40, 0xe000, v40
	v_lshrrev_b32_e32 v39, 16, v38
	v_lshrrev_b16_e32 v40, 8, v40
	v_bitop3_b16 v38, v38, v40, s17 bitop3:0xec
	v_lshlrev_b16_e32 v40, 8, v39
	v_add_u16_e32 v40, 0xe000, v40
	v_lshrrev_b16_e32 v40, 8, v40
	v_bitop3_b16 v39, v39, v40, s17 bitop3:0xec
	v_add_u16_e32 v38, 0xe000, v38
	v_add_u16_sdwa v39, v39, s16 dst_sel:WORD_1 dst_unused:UNUSED_PAD src0_sel:DWORD src1_sel:DWORD
	v_add_u32_e32 v45, 0x1000, v63
	v_or_b32_e32 v42, v38, v39
	scratch_load_dwordx2 v[38:39], off, off offset:52 ; 8-byte Folded Reload
	ds_write2_b32 v45, v44, v42 offset0:16 offset1:32
	s_waitcnt vmcnt(0)
	v_mad_u64_u32 v[38:39], s[0:1], v38, s5, v[36:37]
	v_lshl_add_u64 v[40:41], v[38:39], 0, v[52:53]
	v_lshl_add_u64 v[38:39], v[38:39], 0, v[54:55]
	global_load_dword v42, v[40:41], off
	global_load_dword v44, v[38:39], off offset:128
	v_ashrrev_i32_e32 v40, v61, v49
	v_and_b32_e32 v38, 0xf0f0f0f, v43
	v_lshlrev_b32_e32 v41, 4, v40
	v_and_or_b32 v38, v41, s15, v38
	v_lshrrev_b32_e32 v39, 4, v43
	v_lshlrev_b16_e32 v43, 8, v38
	v_add_u16_e32 v43, 0xe000, v43
	v_lshrrev_b32_e32 v41, 16, v38
	v_lshrrev_b16_e32 v43, 8, v43
	v_bitop3_b16 v38, v38, v43, s17 bitop3:0xec
	v_lshlrev_b16_e32 v43, 8, v41
	v_add_u16_e32 v43, 0xe000, v43
	v_lshrrev_b16_e32 v43, 8, v43
	v_bitop3_b16 v41, v41, v43, s17 bitop3:0xec
	v_and_b32_e32 v39, 0xf0f0f0f, v39
	v_add_u16_e32 v38, 0xe000, v38
	v_add_u16_sdwa v41, v41, s16 dst_sel:WORD_1 dst_unused:UNUSED_PAD src0_sel:DWORD src1_sel:DWORD
	s_nop 0
	v_or_b32_e32 v43, v38, v41
	v_and_or_b32 v38, v40, s15, v39
	v_lshlrev_b16_e32 v39, 8, v38
	v_add_u16_e32 v39, 0xe000, v39
	v_lshrrev_b16_e32 v39, 8, v39
	v_lshrrev_b32_e32 v45, 16, v38
	v_bitop3_b16 v38, v38, v39, s17 bitop3:0xec
	v_add_u16_e32 v48, 0xe000, v38
	scratch_load_dwordx2 v[38:39], off, off offset:60 ; 8-byte Folded Reload
	v_lshlrev_b16_e32 v49, 8, v45
	s_waitcnt vmcnt(0)
	v_mad_u64_u32 v[38:39], s[0:1], v38, s5, v[36:37]
	v_lshl_add_u64 v[40:41], v[38:39], 0, v[52:53]
	v_lshl_add_u64 v[38:39], v[38:39], 0, v[54:55]
	global_load_dword v50, v[40:41], off
	global_load_dword v51, v[38:39], off offset:128
	v_add_u16_e32 v38, 0xe000, v49
	v_lshrrev_b16_e32 v38, 8, v38
	v_bitop3_b16 v38, v45, v38, s17 bitop3:0xec
	v_add_u16_sdwa v38, v38, s16 dst_sel:WORD_1 dst_unused:UNUSED_PAD src0_sel:DWORD src1_sel:DWORD
	v_add_u32_e32 v39, 0x1800, v63
	v_or_b32_e32 v38, v48, v38
	ds_write2_b32 v39, v43, v38 offset0:24 offset1:40
	scratch_load_dwordx2 v[38:39], off, off offset:68 ; 8-byte Folded Reload
	s_waitcnt vmcnt(0)
	v_mad_u64_u32 v[38:39], s[0:1], v38, s5, v[36:37]
	v_lshl_add_u64 v[40:41], v[38:39], 0, v[52:53]
	v_lshl_add_u64 v[38:39], v[38:39], 0, v[54:55]
	global_load_dword v43, v[40:41], off
	global_load_dword v45, v[38:39], off offset:128
	v_ashrrev_i32_e32 v40, v61, v47
	v_and_b32_e32 v38, 0xf0f0f0f, v46
	v_lshlrev_b32_e32 v41, 4, v40
	v_and_or_b32 v38, v41, s15, v38
	v_lshrrev_b32_e32 v39, 4, v46
	v_lshlrev_b16_e32 v46, 8, v38
	v_add_u16_e32 v46, 0xe000, v46
	v_lshrrev_b32_e32 v41, 16, v38
	v_lshrrev_b16_e32 v46, 8, v46
	v_bitop3_b16 v38, v38, v46, s17 bitop3:0xec
	v_lshlrev_b16_e32 v46, 8, v41
	v_add_u16_e32 v46, 0xe000, v46
	v_lshrrev_b16_e32 v46, 8, v46
	v_and_b32_e32 v39, 0xf0f0f0f, v39
	v_bitop3_b16 v41, v41, v46, s17 bitop3:0xec
	v_add_u16_e32 v38, 0xe000, v38
	v_add_u16_sdwa v41, v41, s16 dst_sel:WORD_1 dst_unused:UNUSED_PAD src0_sel:DWORD src1_sel:DWORD
	v_and_or_b32 v39, v40, s15, v39
	v_or_b32_e32 v38, v38, v41
	v_lshlrev_b16_e32 v41, 8, v39
	v_add_u16_e32 v41, 0xe000, v41
	v_lshrrev_b32_e32 v40, 16, v39
	v_lshrrev_b16_e32 v41, 8, v41
	v_bitop3_b16 v39, v39, v41, s17 bitop3:0xec
	v_lshlrev_b16_e32 v41, 8, v40
	v_add_u16_e32 v41, 0xe000, v41
	v_lshrrev_b16_e32 v41, 8, v41
	v_bitop3_b16 v40, v40, v41, s17 bitop3:0xec
	v_add_u16_e32 v39, 0xe000, v39
	v_add_u16_sdwa v40, v40, s16 dst_sel:WORD_1 dst_unused:UNUSED_PAD src0_sel:DWORD src1_sel:DWORD
	v_ashrrev_i32_e32 v46, v61, v51
	v_or_b32_e32 v39, v39, v40
	v_add_u32_e32 v40, 0x2000, v63
	ds_write2_b32 v40, v38, v39 offset0:32 offset1:48
	v_ashrrev_i32_e32 v40, v61, v44
	v_and_b32_e32 v38, 0xf0f0f0f, v42
	v_lshlrev_b32_e32 v41, 4, v40
	v_and_or_b32 v38, v41, s15, v38
	v_lshrrev_b32_e32 v39, 4, v42
	v_lshlrev_b16_e32 v42, 8, v38
	v_add_u16_e32 v42, 0xe000, v42
	v_lshrrev_b32_e32 v41, 16, v38
	v_lshrrev_b16_e32 v42, 8, v42
	v_bitop3_b16 v38, v38, v42, s17 bitop3:0xec
	v_lshlrev_b16_e32 v42, 8, v41
	v_add_u16_e32 v42, 0xe000, v42
	v_lshrrev_b16_e32 v42, 8, v42
	v_and_b32_e32 v39, 0xf0f0f0f, v39
	v_bitop3_b16 v41, v41, v42, s17 bitop3:0xec
	v_add_u16_e32 v38, 0xe000, v38
	v_add_u16_sdwa v41, v41, s16 dst_sel:WORD_1 dst_unused:UNUSED_PAD src0_sel:DWORD src1_sel:DWORD
	v_and_or_b32 v39, v40, s15, v39
	v_or_b32_e32 v38, v38, v41
	v_lshlrev_b16_e32 v41, 8, v39
	v_add_u16_e32 v41, 0xe000, v41
	v_lshrrev_b32_e32 v40, 16, v39
	v_lshrrev_b16_e32 v41, 8, v41
	v_bitop3_b16 v39, v39, v41, s17 bitop3:0xec
	v_lshlrev_b16_e32 v41, 8, v40
	v_add_u16_e32 v41, 0xe000, v41
	v_lshrrev_b16_e32 v41, 8, v41
	v_bitop3_b16 v40, v40, v41, s17 bitop3:0xec
	v_add_u16_e32 v39, 0xe000, v39
	v_add_u16_sdwa v40, v40, s16 dst_sel:WORD_1 dst_unused:UNUSED_PAD src0_sel:DWORD src1_sel:DWORD
	v_and_b32_e32 v42, 0xf0f0f0f, v50
	v_or_b32_e32 v39, v39, v40
	v_add_u32_e32 v40, 0x2800, v63
	ds_write2_b32 v40, v38, v39 offset0:40 offset1:56
	v_lshrrev_b32_e32 v38, 4, v50
	v_and_b32_e32 v44, 0xf0f0f0f, v38
	scratch_load_dwordx2 v[38:39], off, off offset:76 ; 8-byte Folded Reload
	v_lshlrev_b32_e32 v47, 4, v46
	s_waitcnt vmcnt(0)
	v_mad_u64_u32 v[38:39], s[0:1], v38, s5, v[36:37]
	v_lshl_add_u64 v[40:41], v[38:39], 0, v[52:53]
	global_load_dword v48, v[40:41], off
	v_and_or_b32 v40, v47, s15, v42
	v_lshl_add_u64 v[38:39], v[38:39], 0, v[54:55]
	global_load_dword v42, v[38:39], off offset:128
	v_lshlrev_b16_e32 v39, 8, v40
	v_add_u16_e32 v39, 0xe000, v39
	v_lshrrev_b32_e32 v38, 16, v40
	v_lshrrev_b16_e32 v39, 8, v39
	v_bitop3_b16 v39, v40, v39, s17 bitop3:0xec
	v_lshlrev_b16_e32 v40, 8, v38
	v_add_u16_e32 v40, 0xe000, v40
	v_lshrrev_b16_e32 v40, 8, v40
	v_bitop3_b16 v38, v38, v40, s17 bitop3:0xec
	v_add_u16_e32 v39, 0xe000, v39
	v_add_u16_sdwa v38, v38, s16 dst_sel:WORD_1 dst_unused:UNUSED_PAD src0_sel:DWORD src1_sel:DWORD
	s_nop 0
	v_or_b32_e32 v47, v39, v38
	v_and_or_b32 v38, v46, s15, v44
	v_lshlrev_b16_e32 v40, 8, v38
	v_add_u16_e32 v40, 0xe000, v40
	v_lshrrev_b32_e32 v39, 16, v38
	v_lshrrev_b16_e32 v40, 8, v40
	v_bitop3_b16 v38, v38, v40, s17 bitop3:0xec
	v_lshlrev_b16_e32 v40, 8, v39
	v_add_u16_e32 v40, 0xe000, v40
	v_lshrrev_b16_e32 v40, 8, v40
	v_bitop3_b16 v39, v39, v40, s17 bitop3:0xec
	v_add_u16_e32 v38, 0xe000, v38
	v_add_u16_sdwa v39, v39, s16 dst_sel:WORD_1 dst_unused:UNUSED_PAD src0_sel:DWORD src1_sel:DWORD
	s_nop 0
	v_or_b32_e32 v44, v38, v39
	scratch_load_dwordx2 v[38:39], off, off offset:84 ; 8-byte Folded Reload
	ds_write2_b32 v56, v47, v44 offset1:16
	s_waitcnt vmcnt(0)
	v_mad_u64_u32 v[38:39], s[0:1], v38, s5, v[36:37]
	v_lshl_add_u64 v[40:41], v[38:39], 0, v[52:53]
	v_lshl_add_u64 v[38:39], v[38:39], 0, v[54:55]
	global_load_dword v44, v[40:41], off
	global_load_dword v46, v[38:39], off offset:128
	v_ashrrev_i32_e32 v40, v61, v45
	v_and_b32_e32 v38, 0xf0f0f0f, v43
	v_lshlrev_b32_e32 v41, 4, v40
	v_and_or_b32 v38, v41, s15, v38
	v_lshrrev_b32_e32 v39, 4, v43
	v_lshlrev_b16_e32 v43, 8, v38
	v_add_u16_e32 v43, 0xe000, v43
	v_lshrrev_b32_e32 v41, 16, v38
	v_lshrrev_b16_e32 v43, 8, v43
	v_bitop3_b16 v38, v38, v43, s17 bitop3:0xec
	v_lshlrev_b16_e32 v43, 8, v41
	v_add_u16_e32 v43, 0xe000, v43
	v_lshrrev_b16_e32 v43, 8, v43
	v_bitop3_b16 v41, v41, v43, s17 bitop3:0xec
	v_and_b32_e32 v39, 0xf0f0f0f, v39
	v_add_u16_e32 v38, 0xe000, v38
	v_add_u16_sdwa v41, v41, s16 dst_sel:WORD_1 dst_unused:UNUSED_PAD src0_sel:DWORD src1_sel:DWORD
	s_nop 0
	v_or_b32_e32 v43, v38, v41
	v_and_or_b32 v38, v40, s15, v39
	v_lshlrev_b16_e32 v39, 8, v38
	v_add_u16_e32 v39, 0xe000, v39
	v_lshrrev_b16_e32 v39, 8, v39
	v_lshrrev_b32_e32 v45, 16, v38
	v_bitop3_b16 v38, v38, v39, s17 bitop3:0xec
	v_add_u16_e32 v47, 0xe000, v38
	scratch_load_dwordx2 v[38:39], off, off offset:92 ; 8-byte Folded Reload
	v_lshlrev_b16_e32 v49, 8, v45
	s_waitcnt vmcnt(0)
	v_mad_u64_u32 v[38:39], s[0:1], v38, s5, v[36:37]
	v_lshl_add_u64 v[40:41], v[38:39], 0, v[52:53]
	v_lshl_add_u64 v[38:39], v[38:39], 0, v[54:55]
	global_load_dword v50, v[40:41], off
	global_load_dword v51, v[38:39], off offset:128
	v_add_u16_e32 v38, 0xe000, v49
	v_lshrrev_b16_e32 v38, 8, v38
	v_bitop3_b16 v38, v45, v38, s17 bitop3:0xec
	v_add_u16_sdwa v38, v38, s16 dst_sel:WORD_1 dst_unused:UNUSED_PAD src0_sel:DWORD src1_sel:DWORD
	v_add_u32_e32 v39, 0x800, v56
	v_or_b32_e32 v38, v47, v38
	ds_write2_b32 v39, v43, v38 offset0:8 offset1:24
	scratch_load_dwordx2 v[38:39], off, off offset:100 ; 8-byte Folded Reload
	s_waitcnt vmcnt(0)
	v_mad_u64_u32 v[38:39], s[0:1], v38, s5, v[36:37]
	v_lshl_add_u64 v[40:41], v[38:39], 0, v[52:53]
	v_lshl_add_u64 v[38:39], v[38:39], 0, v[54:55]
	global_load_dword v43, v[40:41], off
	global_load_dword v45, v[38:39], off offset:128
	v_ashrrev_i32_e32 v40, v61, v42
	v_and_b32_e32 v38, 0xf0f0f0f, v48
	v_lshlrev_b32_e32 v41, 4, v40
	v_and_or_b32 v38, v41, s15, v38
	v_lshlrev_b16_e32 v42, 8, v38
	v_add_u16_e32 v42, 0xe000, v42
	v_lshrrev_b32_e32 v41, 16, v38
	v_lshrrev_b16_e32 v42, 8, v42
	v_bitop3_b16 v38, v38, v42, s17 bitop3:0xec
	v_lshlrev_b16_e32 v42, 8, v41
	v_add_u16_e32 v42, 0xe000, v42
	v_lshrrev_b32_e32 v39, 4, v48
	v_lshrrev_b16_e32 v42, 8, v42
	v_and_b32_e32 v39, 0xf0f0f0f, v39
	v_bitop3_b16 v41, v41, v42, s17 bitop3:0xec
	v_add_u16_e32 v38, 0xe000, v38
	v_add_u16_sdwa v41, v41, s16 dst_sel:WORD_1 dst_unused:UNUSED_PAD src0_sel:DWORD src1_sel:DWORD
	v_and_or_b32 v39, v40, s15, v39
	v_or_b32_e32 v38, v38, v41
	v_lshlrev_b16_e32 v41, 8, v39
	v_add_u16_e32 v41, 0xe000, v41
	v_lshrrev_b32_e32 v40, 16, v39
	v_lshrrev_b16_e32 v41, 8, v41
	v_bitop3_b16 v39, v39, v41, s17 bitop3:0xec
	v_lshlrev_b16_e32 v41, 8, v40
	v_add_u16_e32 v41, 0xe000, v41
	v_lshrrev_b16_e32 v41, 8, v41
	v_bitop3_b16 v40, v40, v41, s17 bitop3:0xec
	v_add_u16_e32 v39, 0xe000, v39
	v_add_u16_sdwa v40, v40, s16 dst_sel:WORD_1 dst_unused:UNUSED_PAD src0_sel:DWORD src1_sel:DWORD
	s_nop 0
	v_or_b32_e32 v39, v39, v40
	v_add_u32_e32 v40, 0x1000, v56
	ds_write2_b32 v40, v38, v39 offset0:16 offset1:32
	v_ashrrev_i32_e32 v40, v61, v46
	v_and_b32_e32 v38, 0xf0f0f0f, v44
	v_lshlrev_b32_e32 v41, 4, v40
	v_and_or_b32 v38, v41, s15, v38
	v_lshlrev_b16_e32 v42, 8, v38
	v_add_u16_e32 v42, 0xe000, v42
	v_lshrrev_b32_e32 v41, 16, v38
	v_lshrrev_b16_e32 v42, 8, v42
	v_bitop3_b16 v38, v38, v42, s17 bitop3:0xec
	v_lshlrev_b16_e32 v42, 8, v41
	v_add_u16_e32 v42, 0xe000, v42
	v_lshrrev_b32_e32 v39, 4, v44
	v_lshrrev_b16_e32 v42, 8, v42
	v_and_b32_e32 v39, 0xf0f0f0f, v39
	v_bitop3_b16 v41, v41, v42, s17 bitop3:0xec
	v_add_u16_e32 v38, 0xe000, v38
	v_add_u16_sdwa v41, v41, s16 dst_sel:WORD_1 dst_unused:UNUSED_PAD src0_sel:DWORD src1_sel:DWORD
	v_and_or_b32 v39, v40, s15, v39
	v_or_b32_e32 v38, v38, v41
	v_lshlrev_b16_e32 v41, 8, v39
	v_add_u16_e32 v41, 0xe000, v41
	v_lshrrev_b32_e32 v40, 16, v39
	v_lshrrev_b16_e32 v41, 8, v41
	v_bitop3_b16 v39, v39, v41, s17 bitop3:0xec
	v_lshlrev_b16_e32 v41, 8, v40
	v_add_u16_e32 v41, 0xe000, v41
	v_lshrrev_b16_e32 v41, 8, v41
	v_bitop3_b16 v40, v40, v41, s17 bitop3:0xec
	v_add_u16_e32 v39, 0xe000, v39
	v_add_u16_sdwa v40, v40, s16 dst_sel:WORD_1 dst_unused:UNUSED_PAD src0_sel:DWORD src1_sel:DWORD
	v_ashrrev_i32_e32 v46, v61, v51
	v_or_b32_e32 v39, v39, v40
	v_add_u32_e32 v40, 0x1800, v56
	ds_write2_b32 v40, v38, v39 offset0:24 offset1:40
	v_lshrrev_b32_e32 v38, 4, v50
	v_and_b32_e32 v44, 0xf0f0f0f, v38
	scratch_load_dwordx2 v[38:39], off, off offset:108 ; 8-byte Folded Reload
	v_and_b32_e32 v42, 0xf0f0f0f, v50
	v_lshlrev_b32_e32 v47, 4, v46
	v_and_or_b32 v42, v47, s15, v42
	s_waitcnt vmcnt(0)
	v_mad_u64_u32 v[38:39], s[0:1], v38, s5, v[36:37]
	v_lshl_add_u64 v[40:41], v[38:39], 0, v[52:53]
	v_lshl_add_u64 v[38:39], v[38:39], 0, v[54:55]
	global_load_dword v47, v[40:41], off
	global_load_dword v48, v[38:39], off offset:128
	v_lshrrev_b32_e32 v38, 16, v42
	v_lshlrev_b16_e32 v39, 8, v42
	v_lshlrev_b16_e32 v40, 8, v38
	v_add_u16_e32 v39, 0xe000, v39
	v_add_u16_e32 v40, 0xe000, v40
	v_lshrrev_b16_e32 v39, 8, v39
	v_lshrrev_b16_e32 v40, 8, v40
	v_bitop3_b16 v39, v42, v39, s17 bitop3:0xec
	v_bitop3_b16 v38, v38, v40, s17 bitop3:0xec
	v_add_u16_e32 v39, 0xe000, v39
	v_add_u16_sdwa v38, v38, s16 dst_sel:WORD_1 dst_unused:UNUSED_PAD src0_sel:DWORD src1_sel:DWORD
	s_nop 0
	v_or_b32_e32 v42, v39, v38
	v_and_or_b32 v38, v46, s15, v44
	v_lshlrev_b16_e32 v40, 8, v38
	v_add_u16_e32 v40, 0xe000, v40
	v_lshrrev_b32_e32 v39, 16, v38
	v_lshrrev_b16_e32 v40, 8, v40
	v_bitop3_b16 v38, v38, v40, s17 bitop3:0xec
	v_lshlrev_b16_e32 v40, 8, v39
	v_add_u16_e32 v40, 0xe000, v40
	v_lshrrev_b16_e32 v40, 8, v40
	v_bitop3_b16 v39, v39, v40, s17 bitop3:0xec
	v_add_u16_e32 v38, 0xe000, v38
	v_add_u16_sdwa v39, v39, s16 dst_sel:WORD_1 dst_unused:UNUSED_PAD src0_sel:DWORD src1_sel:DWORD
	v_add_u32_e32 v46, 0x5140, v63
	v_or_b32_e32 v44, v38, v39
	scratch_load_dwordx2 v[38:39], off, off offset:116 ; 8-byte Folded Reload
	ds_write2_b32 v46, v42, v44 offset1:16
	s_waitcnt vmcnt(0)
	v_mad_u64_u32 v[38:39], s[0:1], v38, s5, v[36:37]
	v_lshl_add_u64 v[40:41], v[38:39], 0, v[52:53]
	v_lshl_add_u64 v[38:39], v[38:39], 0, v[54:55]
	global_load_dword v44, v[40:41], off
	global_load_dword v46, v[38:39], off offset:128
	v_ashrrev_i32_e32 v40, v61, v45
	v_and_b32_e32 v38, 0xf0f0f0f, v43
	v_lshlrev_b32_e32 v41, 4, v40
	v_and_or_b32 v38, v41, s15, v38
	v_lshlrev_b16_e32 v42, 8, v38
	v_add_u16_e32 v42, 0xe000, v42
	v_lshrrev_b32_e32 v41, 16, v38
	v_lshrrev_b16_e32 v42, 8, v42
	v_bitop3_b16 v38, v38, v42, s17 bitop3:0xec
	v_lshlrev_b16_e32 v42, 8, v41
	v_add_u16_e32 v42, 0xe000, v42
	v_lshrrev_b32_e32 v39, 4, v43
	v_lshrrev_b16_e32 v42, 8, v42
	v_and_b32_e32 v39, 0xf0f0f0f, v39
	v_bitop3_b16 v41, v41, v42, s17 bitop3:0xec
	v_add_u16_e32 v38, 0xe000, v38
	v_add_u16_sdwa v41, v41, s16 dst_sel:WORD_1 dst_unused:UNUSED_PAD src0_sel:DWORD src1_sel:DWORD
	v_and_or_b32 v39, v40, s15, v39
	v_or_b32_e32 v38, v38, v41
	v_lshlrev_b16_e32 v41, 8, v39
	v_add_u16_e32 v41, 0xe000, v41
	v_lshrrev_b32_e32 v40, 16, v39
	v_lshrrev_b16_e32 v41, 8, v41
	v_bitop3_b16 v39, v39, v41, s17 bitop3:0xec
	v_lshlrev_b16_e32 v41, 8, v40
	v_add_u16_e32 v41, 0xe000, v41
	v_lshrrev_b16_e32 v41, 8, v41
	v_bitop3_b16 v40, v40, v41, s17 bitop3:0xec
	v_add_u16_e32 v39, 0xe000, v39
	v_add_u16_sdwa v40, v40, s16 dst_sel:WORD_1 dst_unused:UNUSED_PAD src0_sel:DWORD src1_sel:DWORD
	scratch_load_dwordx2 v[42:43], off, off offset:132 ; 8-byte Folded Reload
	v_or_b32_e32 v39, v39, v40
	v_add_u32_e32 v40, 0x5960, v63
	ds_write2_b32 v40, v38, v39 offset1:16
	scratch_load_dwordx2 v[38:39], off, off offset:124 ; 8-byte Folded Reload
	s_waitcnt vmcnt(0)
	v_mad_u64_u32 v[38:39], s[0:1], v38, s5, v[36:37]
	v_lshl_add_u64 v[40:41], v[38:39], 0, v[52:53]
	v_lshl_add_u64 v[38:39], v[38:39], 0, v[54:55]
	v_mad_u64_u32 v[36:37], s[0:1], v42, s5, v[36:37]
	v_lshl_add_u64 v[42:43], v[36:37], 0, v[52:53]
	v_lshl_add_u64 v[36:37], v[36:37], 0, v[54:55]
	global_load_dword v56, v[40:41], off
	global_load_dword v58, v[38:39], off offset:128
	global_load_dword v59, v[42:43], off
	global_load_dword v60, v[36:37], off offset:128
	v_ashrrev_i32_e32 v38, v61, v48
	v_and_b32_e32 v36, 0xf0f0f0f, v47
	v_lshlrev_b32_e32 v39, 4, v38
	v_and_or_b32 v36, v39, s15, v36
	v_lshlrev_b16_e32 v40, 8, v36
	v_add_u16_e32 v40, 0xe000, v40
	v_lshrrev_b32_e32 v39, 16, v36
	v_lshrrev_b16_e32 v40, 8, v40
	v_bitop3_b16 v36, v36, v40, s17 bitop3:0xec
	v_lshlrev_b16_e32 v40, 8, v39
	v_add_u16_e32 v40, 0xe000, v40
	v_lshrrev_b32_e32 v37, 4, v47
	v_lshrrev_b16_e32 v40, 8, v40
	v_and_b32_e32 v37, 0xf0f0f0f, v37
	v_bitop3_b16 v39, v39, v40, s17 bitop3:0xec
	v_add_u16_e32 v36, 0xe000, v36
	v_add_u16_sdwa v39, v39, s16 dst_sel:WORD_1 dst_unused:UNUSED_PAD src0_sel:DWORD src1_sel:DWORD
	v_and_or_b32 v37, v38, s15, v37
	v_or_b32_e32 v36, v36, v39
	v_lshlrev_b16_e32 v39, 8, v37
	v_add_u16_e32 v39, 0xe000, v39
	v_lshrrev_b32_e32 v38, 16, v37
	v_lshrrev_b16_e32 v39, 8, v39
	v_bitop3_b16 v37, v37, v39, s17 bitop3:0xec
	v_lshlrev_b16_e32 v39, 8, v38
	v_add_u16_e32 v39, 0xe000, v39
	v_lshrrev_b16_e32 v39, 8, v39
	v_bitop3_b16 v38, v38, v39, s17 bitop3:0xec
	v_add_u16_e32 v37, 0xe000, v37
	v_add_u16_sdwa v38, v38, s16 dst_sel:WORD_1 dst_unused:UNUSED_PAD src0_sel:DWORD src1_sel:DWORD
	v_add_u32_e32 v48, s18, v79
	v_or_b32_e32 v37, v37, v38
	v_add_u32_e32 v38, 0x6180, v63
	ds_write2_b32 v38, v36, v37 offset1:16
	v_ashrrev_i32_e32 v38, v61, v46
	v_and_b32_e32 v36, 0xf0f0f0f, v44
	v_lshlrev_b32_e32 v39, 4, v38
	v_and_or_b32 v36, v39, s15, v36
	v_lshlrev_b16_e32 v40, 8, v36
	v_add_u16_e32 v40, 0xe000, v40
	v_lshrrev_b32_e32 v39, 16, v36
	v_lshrrev_b16_e32 v40, 8, v40
	v_bitop3_b16 v36, v36, v40, s17 bitop3:0xec
	v_lshlrev_b16_e32 v40, 8, v39
	v_add_u16_e32 v40, 0xe000, v40
	v_lshrrev_b16_e32 v40, 8, v40
	v_lshrrev_b32_e32 v37, 4, v44
	v_bitop3_b16 v39, v39, v40, s17 bitop3:0xec
	v_and_b32_e32 v37, 0xf0f0f0f, v37
	v_add_u16_e32 v36, 0xe000, v36
	v_add_u16_sdwa v39, v39, s16 dst_sel:WORD_1 dst_unused:UNUSED_PAD src0_sel:DWORD src1_sel:DWORD
	scratch_load_dwordx2 v[40:41], off, off offset:164 ; 8-byte Folded Reload
	v_or_b32_e32 v62, v36, v39
	v_and_or_b32 v36, v38, s15, v37
	v_lshlrev_b16_e32 v38, 8, v36
	v_add_u16_e32 v38, 0xe000, v38
	v_lshrrev_b16_e32 v38, 8, v38
	v_lshrrev_b32_e32 v37, 16, v36
	v_bitop3_b16 v36, v36, v38, s17 bitop3:0xec
	v_add_u16_e32 v64, 0xe000, v36
	v_lshlrev_b16_e32 v36, 8, v37
	v_add_u16_e32 v36, 0xe000, v36
	v_lshrrev_b16_e32 v36, 8, v36
	v_bitop3_b16 v65, v37, v36, s17 bitop3:0xec
	scratch_load_dwordx2 v[36:37], off, off offset:140 ; 8-byte Folded Reload
	scratch_load_dwordx2 v[38:39], off, off offset:152 ; 8-byte Folded Reload
	v_add_u32_e32 v42, v48, v91
	v_mad_i64_i32 v[42:43], s[0:1], v42, 36, v[0:1]
	v_add_u32_e32 v44, v48, v93
	v_add_u32_e32 v46, v48, v95
	v_mad_i64_i32 v[44:45], s[0:1], v44, 36, v[0:1]
	v_mad_i64_i32 v[46:47], s[0:1], v46, 36, v[0:1]
	s_waitcnt vmcnt(1)
	v_mad_u64_u32 v[36:37], s[0:1], v36, s5, v[34:35]
	s_waitcnt vmcnt(0)
	v_mad_u64_u32 v[38:39], s[0:1], v38, s5, v[34:35]
	v_mad_u64_u32 v[34:35], s[0:1], v40, s5, v[34:35]
	v_lshl_add_u64 v[34:35], v[34:35], 0, v[88:89]
	v_lshl_add_u64 v[38:39], v[38:39], 0, v[88:89]
	global_load_ushort v66, v[36:37], off offset:208
	global_load_dword v68, v[38:39], off offset:192
	global_load_dword v69, v[34:35], off offset:192
	v_add_u32_e32 v36, v48, v57
	scratch_load_dwordx2 v[34:35], off, off offset:176 ; 8-byte Folded Reload
	v_add_u32_e32 v38, v48, v85
	v_add_u32_e32 v40, v48, v87
	v_mad_i64_i32 v[36:37], s[0:1], v36, 36, v[0:1]
	v_mad_i64_i32 v[38:39], s[0:1], v38, 36, v[0:1]
	;; [unrolled: 1-line block ×3, first 2 shown]
	s_waitcnt vmcnt(0)
	v_add_u32_e32 v219, s18, v34
	scratch_load_dword v34, off, off offset:4 ; 4-byte Folded Reload
	v_mad_u64_u32 v[50:51], s[0:1], v219, 36, s[2:3]
	s_waitcnt vmcnt(0)
	v_add_u32_e32 v34, v48, v34
	v_mad_i64_i32 v[34:35], s[0:1], v34, 36, v[0:1]
	v_add_u32_e32 v48, v48, v184
	v_mad_i64_i32 v[48:49], s[0:1], v48, 36, v[0:1]
	global_load_dword v50, v[50:51], off
	s_nop 0
	global_load_dword v34, v[34:35], off offset:4
	s_nop 0
	global_load_dword v35, v[36:37], off offset:4
	s_nop 0
	global_load_dword v36, v[38:39], off offset:4
	global_load_dword v37, v[40:41], off offset:4
	s_nop 0
	global_load_dword v38, v[42:43], off offset:4
	global_load_dword v39, v[44:45], off offset:4
	;; [unrolled: 1-line block ×4, first 2 shown]
	v_add_u16_sdwa v42, v65, s16 dst_sel:WORD_1 dst_unused:UNUSED_PAD src0_sel:DWORD src1_sel:DWORD
	v_add_u32_e32 v43, 0x69a0, v63
	v_or_b32_e32 v42, v64, v42
	v_ashrrev_i32_e32 v44, v61, v58
	ds_write2_b32 v43, v62, v42 offset1:16
	v_and_b32_e32 v42, 0xf0f0f0f, v56
	v_lshlrev_b32_e32 v45, 4, v44
	v_and_or_b32 v42, v45, s15, v42
	v_lshlrev_b16_e32 v46, 8, v42
	v_add_u16_e32 v46, 0xe000, v46
	v_lshrrev_b32_e32 v45, 16, v42
	v_lshrrev_b16_e32 v46, 8, v46
	v_bitop3_b16 v42, v42, v46, s17 bitop3:0xec
	v_lshlrev_b16_e32 v46, 8, v45
	v_add_u16_e32 v46, 0xe000, v46
	v_lshrrev_b32_e32 v43, 4, v56
	v_lshrrev_b16_e32 v46, 8, v46
	v_and_b32_e32 v43, 0xf0f0f0f, v43
	v_bitop3_b16 v45, v45, v46, s17 bitop3:0xec
	v_add_u16_e32 v42, 0xe000, v42
	v_add_u16_sdwa v45, v45, s16 dst_sel:WORD_1 dst_unused:UNUSED_PAD src0_sel:DWORD src1_sel:DWORD
	v_and_or_b32 v43, v44, s15, v43
	v_or_b32_e32 v42, v42, v45
	v_lshlrev_b16_e32 v45, 8, v43
	v_add_u16_e32 v45, 0xe000, v45
	v_lshrrev_b32_e32 v44, 16, v43
	v_lshrrev_b16_e32 v45, 8, v45
	v_bitop3_b16 v43, v43, v45, s17 bitop3:0xec
	v_lshlrev_b16_e32 v45, 8, v44
	v_add_u16_e32 v45, 0xe000, v45
	v_lshrrev_b16_e32 v45, 8, v45
	v_bitop3_b16 v44, v44, v45, s17 bitop3:0xec
	v_add_u16_e32 v43, 0xe000, v43
	v_add_u16_sdwa v44, v44, s16 dst_sel:WORD_1 dst_unused:UNUSED_PAD src0_sel:DWORD src1_sel:DWORD
	s_mov_b64 s[0:1], -1
	v_or_b32_e32 v43, v43, v44
	v_add_u32_e32 v44, 0x71c0, v63
	ds_write2_b32 v44, v42, v43 offset1:16
	v_ashrrev_i32_e32 v44, v61, v60
	v_and_b32_e32 v42, 0xf0f0f0f, v59
	v_lshlrev_b32_e32 v45, 4, v44
	v_and_or_b32 v42, v45, s15, v42
	v_lshlrev_b16_e32 v46, 8, v42
	v_add_u16_e32 v46, 0xe000, v46
	v_lshrrev_b32_e32 v45, 16, v42
	v_lshrrev_b16_e32 v46, 8, v46
	v_bitop3_b16 v42, v42, v46, s17 bitop3:0xec
	v_lshlrev_b16_e32 v46, 8, v45
	v_add_u16_e32 v46, 0xe000, v46
	v_lshrrev_b32_e32 v43, 4, v59
	v_lshrrev_b16_e32 v46, 8, v46
	v_and_b32_e32 v43, 0xf0f0f0f, v43
	v_bitop3_b16 v45, v45, v46, s17 bitop3:0xec
	v_add_u16_e32 v42, 0xe000, v42
	v_add_u16_sdwa v45, v45, s16 dst_sel:WORD_1 dst_unused:UNUSED_PAD src0_sel:DWORD src1_sel:DWORD
	v_and_or_b32 v43, v44, s15, v43
	v_or_b32_e32 v42, v42, v45
	v_lshlrev_b16_e32 v45, 8, v43
	v_add_u16_e32 v45, 0xe000, v45
	v_lshrrev_b32_e32 v44, 16, v43
	v_lshrrev_b16_e32 v45, 8, v45
	v_bitop3_b16 v43, v43, v45, s17 bitop3:0xec
	v_lshlrev_b16_e32 v45, 8, v44
	v_add_u16_e32 v45, 0xe000, v45
	v_lshrrev_b16_e32 v45, 8, v45
	v_bitop3_b16 v44, v44, v45, s17 bitop3:0xec
	v_add_u16_e32 v43, 0xe000, v43
	v_add_u16_sdwa v44, v44, s16 dst_sel:WORD_1 dst_unused:UNUSED_PAD src0_sel:DWORD src1_sel:DWORD
	v_cvt_f32_f16_e32 v45, v66
	v_or_b32_e32 v43, v43, v44
	v_add_u32_e32 v44, 0x79e0, v63
	ds_write2_b32 v44, v42, v43 offset1:16
	scratch_load_dword v42, off, off offset:148 ; 4-byte Folded Reload
	s_waitcnt vmcnt(0)
	ds_write_b32 v42, v45
	scratch_load_dword v42, off, off offset:160 ; 4-byte Folded Reload
	s_waitcnt vmcnt(0)
	ds_write_b32 v42, v68
	;; [unrolled: 3-line block ×3, first 2 shown]
	ds_write_b32 v203, v34
	ds_write_b32 v204, v35
	ds_write_b32 v205, v36
	ds_write_b32 v206, v37
	ds_write_b32 v207, v38
	ds_write_b32 v208, v39
	ds_write_b32 v209, v40
	ds_write_b32 v210, v41
	scratch_load_dword v35, off, off        ; 4-byte Folded Reload
	v_cvt_f32_f16_e32 v34, v50
	s_waitcnt vmcnt(0)
	ds_write_b32 v35, v34
	s_waitcnt lgkmcnt(0)
	s_barrier
	ds_read_b32 v96, v185
	ds_read_b32 v98, v187 offset:128
	ds_read_b32 v100, v189 offset:256
	;; [unrolled: 1-line block ×3, first 2 shown]
	s_waitcnt lgkmcnt(3)
	v_mov_b32_e32 v97, v96
	v_mov_b32_e32 v104, v96
	v_mov_b32_e32 v105, v96
	s_waitcnt lgkmcnt(2)
	v_mov_b32_e32 v99, v98
	v_mov_b32_e32 v106, v98
	v_mov_b32_e32 v107, v98
	;; [unrolled: 4-line block ×4, first 2 shown]
.LBB175_6:                              ;   Parent Loop BB175_5 Depth=1
                                        ; =>  This Inner Loop Header: Depth=2
	s_lshl_b32 s19, s20, 1
	v_or_b32_e32 v34, s19, v67
	s_lshr_b32 s21, s20, 1
	s_lshl_b32 s20, s20, 3
	v_lshlrev_b32_e32 v46, 2, v34
	v_add_u32_e32 v50, s20, v199
	v_lshrrev_b32_e32 v176, 1, v34
	ds_read_b128 v[34:37], v46 offset:33280
	ds_read_b128 v[38:41], v46 offset:33296
	;; [unrolled: 1-line block ×4, first 2 shown]
	ds_read2_b32 v[162:163], v50 offset0:6 offset1:7
	ds_read2_b32 v[166:167], v50 offset0:4 offset1:5
	;; [unrolled: 1-line block ×3, first 2 shown]
	ds_read2_b32 v[164:165], v50 offset1:1
	ds_read2_b32 v[168:169], v50 offset0:14 offset1:15
	ds_read2_b32 v[170:171], v50 offset0:12 offset1:13
	;; [unrolled: 1-line block ×4, first 2 shown]
	v_add_u32_e32 v50, s20, v200
	ds_read2_b32 v[146:147], v50 offset0:6 offset1:7
	ds_read2_b32 v[150:151], v50 offset0:4 offset1:5
	;; [unrolled: 1-line block ×3, first 2 shown]
	ds_read2_b32 v[148:149], v50 offset1:1
	ds_read2_b32 v[152:153], v50 offset0:14 offset1:15
	ds_read2_b32 v[154:155], v50 offset0:12 offset1:13
	;; [unrolled: 1-line block ×4, first 2 shown]
	v_add_u32_e32 v50, s20, v201
	v_add_u32_e32 v56, s20, v202
	ds_read2_b32 v[130:131], v50 offset0:6 offset1:7
	ds_read2_b32 v[134:135], v50 offset0:4 offset1:5
	;; [unrolled: 1-line block ×3, first 2 shown]
	ds_read2_b32 v[132:133], v50 offset1:1
	ds_read2_b32 v[136:137], v50 offset0:14 offset1:15
	ds_read2_b32 v[138:139], v50 offset0:12 offset1:13
	;; [unrolled: 1-line block ×7, first 2 shown]
	ds_read2_b32 v[114:115], v56 offset1:1
	ds_read2_b32 v[124:125], v56 offset0:14 offset1:15
	ds_read2_b32 v[126:127], v56 offset0:12 offset1:13
	;; [unrolled: 1-line block ×4, first 2 shown]
	v_mov_b32_e32 v64, 0
	v_mov_b32_e32 v221, 0
	;; [unrolled: 1-line block ×16, first 2 shown]
	s_waitcnt lgkmcnt(14)
	v_dot4c_i32_i8_e32 v64, v170, v46
	v_dot4c_i32_i8_e32 v221, v174, v42
	;; [unrolled: 1-line block ×8, first 2 shown]
	s_waitcnt lgkmcnt(10)
	v_dot4c_i32_i8_e32 v71, v138, v46
	s_waitcnt lgkmcnt(8)
	v_dot4c_i32_i8_e32 v73, v142, v42
	v_dot4c_i32_i8_e32 v84, v134, v38
	;; [unrolled: 1-line block ×3, first 2 shown]
	s_waitcnt lgkmcnt(2)
	v_dot4c_i32_i8_e32 v50, v126, v46
	s_waitcnt lgkmcnt(0)
	v_dot4c_i32_i8_e32 v56, v122, v42
	v_dot4c_i32_i8_e32 v58, v118, v38
	;; [unrolled: 1-line block ×19, first 2 shown]
	v_or_b32_e32 v34, s19, v192
	v_dot4c_i32_i8_e32 v64, v168, v48
	v_dot4c_i32_i8_e32 v221, v172, v44
	;; [unrolled: 1-line block ×16, first 2 shown]
	v_lshlrev_b32_e32 v46, 2, v34
	v_dot4c_i32_i8_e32 v64, v169, v49
	v_dot4c_i32_i8_e32 v221, v173, v45
	;; [unrolled: 1-line block ×16, first 2 shown]
	v_lshrrev_b32_e32 v179, 1, v34
	ds_read_b128 v[34:37], v46 offset:33280
	ds_read_b128 v[38:41], v46 offset:33296
	;; [unrolled: 1-line block ×4, first 2 shown]
	v_mov_b32_e32 v82, 0
	v_mov_b32_e32 v230, 0
	;; [unrolled: 1-line block ×16, first 2 shown]
	s_waitcnt lgkmcnt(0)
	v_dot4c_i32_i8_e32 v82, v170, v46
	v_dot4c_i32_i8_e32 v230, v174, v42
	;; [unrolled: 1-line block ×32, first 2 shown]
	v_or_b32_e32 v34, s19, v193
	v_dot4c_i32_i8_e32 v82, v168, v48
	v_dot4c_i32_i8_e32 v230, v172, v44
	;; [unrolled: 1-line block ×16, first 2 shown]
	v_lshlrev_b32_e32 v46, 2, v34
	v_dot4c_i32_i8_e32 v82, v169, v49
	v_dot4c_i32_i8_e32 v230, v173, v45
	v_dot4c_i32_i8_e32 v183, v163, v41
	v_dot4c_i32_i8_e32 v182, v161, v37
	v_dot4c_i32_i8_e32 v76, v153, v49
	v_dot4c_i32_i8_e32 v78, v157, v45
	v_dot4c_i32_i8_e32 v223, v147, v41
	v_dot4c_i32_i8_e32 v226, v145, v37
	v_dot4c_i32_i8_e32 v70, v137, v49
	v_dot4c_i32_i8_e32 v72, v141, v45
	v_dot4c_i32_i8_e32 v74, v131, v41
	v_dot4c_i32_i8_e32 v222, v129, v37
	v_dot4c_i32_i8_e32 v62, v125, v49
	v_dot4c_i32_i8_e32 v66, v121, v45
	v_dot4c_i32_i8_e32 v68, v117, v41
	v_dot4c_i32_i8_e32 v224, v113, v37
	v_lshrrev_b32_e32 v65, 1, v34
	ds_read_b128 v[34:37], v46 offset:33280
	ds_read_b128 v[38:41], v46 offset:33296
	;; [unrolled: 1-line block ×4, first 2 shown]
	v_mov_b32_e32 v232, 0
	v_mov_b32_e32 v77, 0
	;; [unrolled: 1-line block ×16, first 2 shown]
	s_waitcnt lgkmcnt(0)
	v_dot4c_i32_i8_e32 v232, v170, v46
	v_dot4c_i32_i8_e32 v77, v174, v42
	;; [unrolled: 1-line block ×16, first 2 shown]
	s_add_i32 s21, s21, 0xa200
	v_lshlrev_b32_e32 v214, 2, v79
	v_lshlrev_b32_e32 v215, 2, v75
	v_dot4c_i32_i8_e32 v232, v171, v47
	v_dot4c_i32_i8_e32 v77, v175, v43
	;; [unrolled: 1-line block ×16, first 2 shown]
	v_or_b32_e32 v34, s19, v194
	v_add3_u32 v178, s21, v214, v215
	v_dot4c_i32_i8_e32 v232, v168, v48
	v_dot4c_i32_i8_e32 v77, v172, v44
	;; [unrolled: 1-line block ×16, first 2 shown]
	v_lshlrev_b32_e32 v46, 2, v34
	v_dot4c_i32_i8_e32 v232, v169, v49
	v_dot4c_i32_i8_e32 v77, v173, v45
	;; [unrolled: 1-line block ×16, first 2 shown]
	v_lshrrev_b32_e32 v246, 1, v34
	ds_read_b128 v[34:37], v46 offset:33280
	ds_read_b128 v[38:41], v46 offset:33296
	ds_read_b128 v[42:45], v46 offset:33312
	ds_read_b128 v[46:49], v46 offset:33328
	ds_read_b64 v[176:177], v176 offset:43584
	ds_read_b32 v178, v178
	v_mov_b32_e32 v249, 0
	s_waitcnt lgkmcnt(4)
	v_dot4c_i32_i8_e32 v249, v166, v38
	v_dot4c_i32_i8_e32 v249, v167, v39
	;; [unrolled: 1-line block ×3, first 2 shown]
	s_waitcnt lgkmcnt(0)
	v_bfe_i32 v233, v178, 0, 8
	v_mul_lo_u32 v248, v181, v233
	v_mov_b32_e32 v181, 0
	v_dot4c_i32_i8_e32 v181, v164, v34
	v_dot4c_i32_i8_e32 v181, v165, v35
	v_bfe_i32 v231, v178, 8, 8
	v_dot4c_i32_i8_e32 v249, v163, v41
	v_dot4c_i32_i8_e32 v181, v160, v36
	v_lshlrev_b32_e32 v216, 2, v186
	v_lshlrev_b32_e32 v217, 2, v188
	;; [unrolled: 1-line block ×3, first 2 shown]
	v_ashrrev_i32_e32 v228, 24, v178
	v_bfe_i32 v229, v178, 16, 8
	ds_read_b64 v[234:235], v179 offset:43584
	ds_read_b64 v[178:179], v65 offset:43584
	;; [unrolled: 1-line block ×3, first 2 shown]
	v_mul_lo_u32 v250, v183, v231
	v_mul_lo_u32 v252, v245, v233
	;; [unrolled: 1-line block ×3, first 2 shown]
	v_dot4c_i32_i8_e32 v181, v161, v37
	v_add3_u32 v90, s21, v216, v211
	v_add3_u32 v69, s21, v217, v212
	;; [unrolled: 1-line block ×3, first 2 shown]
	v_mov_b32_e32 v65, 0
	v_mad_u64_u32 v[254:255], s[20:21], v181, v233, v[254:255]
	v_mad_u64_u32 v[252:253], s[20:21], v83, v231, v[252:253]
	;; [unrolled: 1-line block ×3, first 2 shown]
	v_dot4c_i32_i8_e32 v65, v170, v46
	v_mov_b32_e32 v81, 0
	v_mad_u64_u32 v[180:181], s[20:21], v180, v231, v[248:249]
	v_cvt_f32_i32_e32 v248, v182
	v_cvt_f32_i32_e32 v183, v252
	;; [unrolled: 1-line block ×3, first 2 shown]
	v_dot4c_i32_i8_e32 v65, v171, v47
	v_dot4c_i32_i8_e32 v81, v174, v42
	;; [unrolled: 1-line block ×6, first 2 shown]
	v_cvt_f32_i32_e32 v249, v180
	s_waitcnt lgkmcnt(0)
	v_mov_b32_e32 v180, v246
	v_mov_b32_e32 v181, v178
	v_dot4c_i32_i8_e32 v81, v173, v45
	v_pk_fma_f32 v[250:251], v[180:181], v[182:183], 0 op_sel_hi:[1,1,0]
	v_mov_b32_e32 v182, v234
	v_mov_b32_e32 v183, v176
	v_mul_lo_u32 v176, v77, v229
	v_mul_lo_u32 v178, v65, v228
	;; [unrolled: 1-line block ×4, first 2 shown]
	v_mad_u64_u32 v[252:253], s[20:21], v230, v229, v[82:83]
	v_mad_u64_u32 v[254:255], s[20:21], v64, v228, v[234:235]
	;; [unrolled: 1-line block ×4, first 2 shown]
	v_cvt_f32_i32_e32 v65, v82
	v_cvt_f32_i32_e32 v64, v64
	;; [unrolled: 1-line block ×4, first 2 shown]
	v_mov_b32_e32 v178, v247
	v_pk_fma_f32 v[64:65], v[178:179], v[64:65], v[250:251]
	v_pk_fma_f32 v[248:249], v[182:183], v[248:249], 0 op_sel_hi:[1,1,0]
	v_mov_b32_e32 v176, v235
	v_pk_fma_f32 v[32:33], v[104:105], v[64:65], v[32:33]
	ds_read_b32 v64, v90
	v_pk_fma_f32 v[82:83], v[176:177], v[82:83], v[248:249]
	v_mov_b32_e32 v65, 0
	v_pk_fma_f32 v[30:31], v[96:97], v[82:83], v[30:31]
	v_dot4c_i32_i8_e32 v65, v150, v38
	v_mov_b32_e32 v83, 0
	v_mov_b32_e32 v77, 0
	v_dot4c_i32_i8_e32 v65, v151, v39
	v_dot4c_i32_i8_e32 v83, v148, v34
	;; [unrolled: 1-line block ×8, first 2 shown]
	s_waitcnt lgkmcnt(0)
	v_bfe_i32 v234, v64, 8, 8
	v_bfe_i32 v235, v64, 0, 8
	v_dot4c_i32_i8_e32 v77, v152, v48
	v_dot4c_i32_i8_e32 v83, v145, v37
	v_ashrrev_i32_e32 v230, 24, v64
	v_bfe_i32 v232, v64, 16, 8
	v_mul_lo_u32 v64, v220, v235
	v_mul_lo_u32 v82, v223, v234
	;; [unrolled: 1-line block ×4, first 2 shown]
	v_dot4c_i32_i8_e32 v77, v153, v49
	v_mad_u64_u32 v[220:221], s[20:21], v83, v235, v[220:221]
	v_mad_u64_u32 v[238:239], s[20:21], v238, v234, v[90:91]
	;; [unrolled: 1-line block ×4, first 2 shown]
	v_mul_lo_u32 v92, v92, v232
	v_mul_lo_u32 v76, v76, v230
	v_mov_b32_e32 v81, 0
	v_cvt_f32_i32_e32 v65, v64
	v_cvt_f32_i32_e32 v64, v82
	v_cvt_f32_i32_e32 v83, v238
	v_cvt_f32_i32_e32 v82, v220
	v_mad_u64_u32 v[220:221], s[20:21], v78, v232, v[76:77]
	v_mad_u64_u32 v[238:239], s[20:21], v60, v230, v[92:93]
	v_dot4c_i32_i8_e32 v81, v158, v42
	v_cvt_f32_i32_e32 v221, v238
	v_cvt_f32_i32_e32 v220, v220
	v_dot4c_i32_i8_e32 v81, v159, v43
	v_dot4c_i32_i8_e32 v81, v156, v44
	;; [unrolled: 1-line block ×3, first 2 shown]
	v_pk_fma_f32 v[64:65], v[182:183], v[64:65], 0 op_sel_hi:[1,1,0]
	v_mul_lo_u32 v90, v237, v232
	v_mul_lo_u32 v94, v77, v230
	ds_read_b32 v60, v69
	v_mad_u64_u32 v[246:247], s[20:21], v81, v232, v[94:95]
	v_mad_u64_u32 v[236:237], s[20:21], v236, v230, v[90:91]
	v_pk_fma_f32 v[64:65], v[176:177], v[220:221], v[64:65]
	v_cvt_f32_i32_e32 v237, v236
	v_cvt_f32_i32_e32 v236, v246
	v_pk_fma_f32 v[26:27], v[98:99], v[64:65], v[26:27]
	v_mov_b32_e32 v65, 0
	v_dot4c_i32_i8_e32 v65, v134, v38
	v_dot4c_i32_i8_e32 v65, v135, v39
	v_pk_fma_f32 v[82:83], v[180:181], v[82:83], 0 op_sel_hi:[1,1,0]
	v_dot4c_i32_i8_e32 v65, v130, v40
	s_waitcnt lgkmcnt(0)
	v_bfe_i32 v238, v60, 8, 8
	v_bfe_i32 v239, v60, 0, 8
	v_pk_fma_f32 v[82:83], v[178:179], v[236:237], v[82:83]
	v_dot4c_i32_i8_e32 v65, v131, v41
	v_ashrrev_i32_e32 v236, 24, v60
	v_bfe_i32 v237, v60, 16, 8
	v_mul_lo_u32 v60, v86, v239
	v_mul_lo_u32 v64, v74, v238
	;; [unrolled: 1-line block ×3, first 2 shown]
	v_mad_u64_u32 v[64:65], s[20:21], v222, v239, v[64:65]
	v_mad_u64_u32 v[222:223], s[20:21], v84, v238, v[60:61]
	v_mul_lo_u32 v60, v242, v237
	v_mov_b32_e32 v77, 0
	v_mov_b32_e32 v81, 0
	v_cvt_f32_i32_e32 v65, v222
	v_mad_u64_u32 v[222:223], s[20:21], v241, v236, v[60:61]
	v_mov_b32_e32 v60, 0
	v_dot4c_i32_i8_e32 v77, v138, v46
	v_mov_b32_e32 v78, 0
	v_dot4c_i32_i8_e32 v81, v132, v34
	v_dot4c_i32_i8_e32 v60, v126, v46
	v_mov_b32_e32 v46, 0
	v_dot4c_i32_i8_e32 v77, v139, v47
	v_dot4c_i32_i8_e32 v78, v142, v42
	;; [unrolled: 1-line block ×4, first 2 shown]
	v_mov_b32_e32 v42, 0
	v_dot4c_i32_i8_e32 v77, v136, v48
	v_dot4c_i32_i8_e32 v78, v143, v43
	;; [unrolled: 1-line block ×7, first 2 shown]
	v_mul_lo_u32 v74, v244, v239
	v_dot4c_i32_i8_e32 v42, v119, v39
	v_mov_b32_e32 v39, 0
	v_pk_fma_f32 v[28:29], v[106:107], v[82:83], v[28:29]
	v_dot4c_i32_i8_e32 v78, v141, v45
	v_mad_u64_u32 v[82:83], s[20:21], v81, v239, v[76:77]
	v_mad_u64_u32 v[220:221], s[20:21], v243, v238, v[74:75]
	v_mul_lo_u32 v74, v77, v236
	v_mul_lo_u32 v76, v73, v237
	;; [unrolled: 1-line block ×3, first 2 shown]
	v_dot4c_i32_i8_e32 v39, v114, v34
	ds_read_b32 v34, v51
	v_cvt_f32_i32_e32 v64, v64
	v_cvt_f32_i32_e32 v83, v220
	;; [unrolled: 1-line block ×3, first 2 shown]
	v_mad_u64_u32 v[72:73], s[20:21], v72, v237, v[70:71]
	v_mad_u64_u32 v[70:71], s[20:21], v71, v236, v[76:77]
	;; [unrolled: 1-line block ×3, first 2 shown]
	v_cvt_f32_i32_e32 v221, v222
	v_cvt_f32_i32_e32 v220, v220
	;; [unrolled: 1-line block ×4, first 2 shown]
	v_dot4c_i32_i8_e32 v42, v116, v40
	v_dot4c_i32_i8_e32 v39, v115, v35
	v_pk_fma_f32 v[82:83], v[180:181], v[82:83], 0 op_sel_hi:[1,1,0]
	v_pk_fma_f32 v[64:65], v[182:183], v[64:65], 0 op_sel_hi:[1,1,0]
	v_dot4c_i32_i8_e32 v60, v127, v47
	v_dot4c_i32_i8_e32 v42, v117, v41
	;; [unrolled: 1-line block ×3, first 2 shown]
	s_waitcnt lgkmcnt(0)
	v_bfe_i32 v222, v34, 8, 8
	v_bfe_i32 v223, v34, 0, 8
	v_pk_fma_f32 v[64:65], v[176:177], v[70:71], v[64:65]
	v_pk_fma_f32 v[70:71], v[178:179], v[220:221], v[82:83]
	v_dot4c_i32_i8_e32 v60, v124, v48
	v_dot4c_i32_i8_e32 v46, v123, v43
	;; [unrolled: 1-line block ×3, first 2 shown]
	v_ashrrev_i32_e32 v220, 24, v34
	v_bfe_i32 v221, v34, 16, 8
	v_mul_lo_u32 v34, v59, v223
	v_mul_lo_u32 v36, v68, v222
	;; [unrolled: 1-line block ×4, first 2 shown]
	v_dot4c_i32_i8_e32 v60, v125, v49
	v_dot4c_i32_i8_e32 v46, v120, v44
	v_mad_u64_u32 v[40:41], s[20:21], v39, v223, v[40:41]
	v_mad_u64_u32 v[38:39], s[20:21], v227, v222, v[38:39]
	v_mad_u64_u32 v[36:37], s[20:21], v224, v223, v[36:37]
	v_mad_u64_u32 v[34:35], s[20:21], v58, v222, v[34:35]
	v_dot4c_i32_i8_e32 v46, v121, v45
	v_cvt_f32_i32_e32 v35, v34
	v_cvt_f32_i32_e32 v34, v36
	;; [unrolled: 1-line block ×4, first 2 shown]
	v_mul_lo_u32 v38, v225, v221
	v_mul_lo_u32 v40, v60, v220
	;; [unrolled: 1-line block ×4, first 2 shown]
	v_mad_u64_u32 v[44:45], s[20:21], v66, v221, v[44:45]
	v_mad_u64_u32 v[42:43], s[20:21], v50, v220, v[42:43]
	;; [unrolled: 1-line block ×4, first 2 shown]
	v_cvt_f32_i32_e32 v39, v38
	v_cvt_f32_i32_e32 v38, v40
	v_cvt_f32_i32_e32 v41, v42
	v_cvt_f32_i32_e32 v40, v44
	v_pk_fma_f32 v[34:35], v[182:183], v[34:35], 0 op_sel_hi:[1,1,0]
	v_pk_fma_f32 v[36:37], v[180:181], v[36:37], 0 op_sel_hi:[1,1,0]
	v_pk_fma_f32 v[24:25], v[108:109], v[70:71], v[24:25]
	v_pk_fma_f32 v[34:35], v[176:177], v[40:41], v[34:35]
	v_pk_fma_f32 v[36:37], v[178:179], v[38:39], v[36:37]
	v_pk_fma_f32 v[18:19], v[102:103], v[34:35], v[18:19]
	v_or_b32_e32 v34, s19, v195
	v_lshlrev_b32_e32 v46, 2, v34
	v_pk_fma_f32 v[20:21], v[110:111], v[36:37], v[20:21]
	v_lshrrev_b32_e32 v62, 1, v34
	ds_read_b128 v[34:37], v46 offset:33280
	ds_read_b128 v[38:41], v46 offset:33296
	;; [unrolled: 1-line block ×4, first 2 shown]
	v_pk_fma_f32 v[22:23], v[100:101], v[64:65], v[22:23]
	v_mov_b32_e32 v64, 0
	v_mov_b32_e32 v66, 0
	;; [unrolled: 1-line block ×16, first 2 shown]
	s_waitcnt lgkmcnt(0)
	v_dot4c_i32_i8_e32 v64, v170, v46
	v_dot4c_i32_i8_e32 v66, v174, v42
	v_dot4c_i32_i8_e32 v68, v166, v38
	v_dot4c_i32_i8_e32 v92, v164, v34
	v_dot4c_i32_i8_e32 v50, v154, v46
	v_dot4c_i32_i8_e32 v56, v158, v42
	v_dot4c_i32_i8_e32 v58, v150, v38
	v_dot4c_i32_i8_e32 v73, v148, v34
	v_dot4c_i32_i8_e32 v51, v138, v46
	v_dot4c_i32_i8_e32 v59, v142, v42
	v_dot4c_i32_i8_e32 v69, v134, v38
	v_dot4c_i32_i8_e32 v71, v132, v34
	v_dot4c_i32_i8_e32 v176, v126, v46
	v_dot4c_i32_i8_e32 v177, v122, v42
	v_dot4c_i32_i8_e32 v178, v118, v38
	v_dot4c_i32_i8_e32 v179, v114, v34
	v_dot4c_i32_i8_e32 v64, v171, v47
	v_dot4c_i32_i8_e32 v66, v175, v43
	v_dot4c_i32_i8_e32 v68, v167, v39
	v_dot4c_i32_i8_e32 v92, v165, v35
	v_dot4c_i32_i8_e32 v50, v155, v47
	v_dot4c_i32_i8_e32 v56, v159, v43
	v_dot4c_i32_i8_e32 v58, v151, v39
	v_dot4c_i32_i8_e32 v73, v149, v35
	v_dot4c_i32_i8_e32 v51, v139, v47
	v_dot4c_i32_i8_e32 v59, v143, v43
	v_dot4c_i32_i8_e32 v69, v135, v39
	v_dot4c_i32_i8_e32 v71, v133, v35
	v_dot4c_i32_i8_e32 v176, v127, v47
	v_dot4c_i32_i8_e32 v177, v123, v43
	v_dot4c_i32_i8_e32 v178, v119, v39
	v_dot4c_i32_i8_e32 v179, v115, v35
	v_or_b32_e32 v34, s19, v196
	v_dot4c_i32_i8_e32 v64, v168, v48
	v_dot4c_i32_i8_e32 v66, v172, v44
	;; [unrolled: 1-line block ×16, first 2 shown]
	v_lshlrev_b32_e32 v46, 2, v34
	v_dot4c_i32_i8_e32 v64, v169, v49
	v_dot4c_i32_i8_e32 v66, v173, v45
	;; [unrolled: 1-line block ×16, first 2 shown]
	v_lshrrev_b32_e32 v78, 1, v34
	ds_read_b128 v[34:37], v46 offset:33280
	ds_read_b128 v[38:41], v46 offset:33296
	;; [unrolled: 1-line block ×4, first 2 shown]
	v_mov_b32_e32 v80, 0
	v_mov_b32_e32 v243, 0
	;; [unrolled: 1-line block ×16, first 2 shown]
	s_waitcnt lgkmcnt(0)
	v_dot4c_i32_i8_e32 v80, v170, v46
	v_dot4c_i32_i8_e32 v243, v174, v42
	;; [unrolled: 1-line block ×32, first 2 shown]
	v_or_b32_e32 v34, s19, v197
	v_dot4c_i32_i8_e32 v80, v168, v48
	v_dot4c_i32_i8_e32 v243, v172, v44
	;; [unrolled: 1-line block ×16, first 2 shown]
	v_lshlrev_b32_e32 v46, 2, v34
	v_dot4c_i32_i8_e32 v80, v169, v49
	v_dot4c_i32_i8_e32 v243, v173, v45
	v_dot4c_i32_i8_e32 v244, v163, v41
	v_dot4c_i32_i8_e32 v245, v161, v37
	v_dot4c_i32_i8_e32 v94, v153, v49
	v_dot4c_i32_i8_e32 v240, v157, v45
	v_dot4c_i32_i8_e32 v241, v147, v41
	v_dot4c_i32_i8_e32 v242, v145, v37
	v_dot4c_i32_i8_e32 v60, v137, v49
	v_dot4c_i32_i8_e32 v84, v141, v45
	v_dot4c_i32_i8_e32 v86, v131, v41
	v_dot4c_i32_i8_e32 v90, v129, v37
	v_dot4c_i32_i8_e32 v180, v125, v49
	v_dot4c_i32_i8_e32 v181, v121, v45
	v_dot4c_i32_i8_e32 v183, v117, v41
	v_dot4c_i32_i8_e32 v182, v113, v37
	v_lshrrev_b32_e32 v82, 1, v34
	ds_read_b128 v[34:37], v46 offset:33280
	ds_read_b128 v[38:41], v46 offset:33296
	;; [unrolled: 1-line block ×4, first 2 shown]
	v_mov_b32_e32 v250, 0
	v_mov_b32_e32 v251, 0
	v_mov_b32_e32 v252, 0
	v_mov_b32_e32 v253, 0
	v_mov_b32_e32 v246, 0
	v_mov_b32_e32 v247, 0
	v_mov_b32_e32 v248, 0
	v_mov_b32_e32 v249, 0
	v_mov_b32_e32 v70, 0
	v_mov_b32_e32 v72, 0
	v_mov_b32_e32 v74, 0
	v_mov_b32_e32 v76, 0
	v_mov_b32_e32 v224, 0
	v_mov_b32_e32 v225, 0
	v_mov_b32_e32 v226, 0
	v_mov_b32_e32 v227, 0
	s_waitcnt lgkmcnt(0)
	v_dot4c_i32_i8_e32 v250, v170, v46
	v_dot4c_i32_i8_e32 v251, v174, v42
	;; [unrolled: 1-line block ×32, first 2 shown]
	v_or_b32_e32 v34, s19, v198
	v_dot4c_i32_i8_e32 v250, v168, v48
	v_dot4c_i32_i8_e32 v251, v172, v44
	v_dot4c_i32_i8_e32 v252, v162, v40
	v_dot4c_i32_i8_e32 v253, v160, v36
	v_dot4c_i32_i8_e32 v246, v152, v48
	v_dot4c_i32_i8_e32 v247, v156, v44
	v_dot4c_i32_i8_e32 v248, v146, v40
	v_dot4c_i32_i8_e32 v249, v144, v36
	v_dot4c_i32_i8_e32 v70, v136, v48
	v_dot4c_i32_i8_e32 v72, v140, v44
	v_dot4c_i32_i8_e32 v74, v130, v40
	v_dot4c_i32_i8_e32 v76, v128, v36
	v_dot4c_i32_i8_e32 v224, v124, v48
	v_dot4c_i32_i8_e32 v225, v120, v44
	v_dot4c_i32_i8_e32 v226, v116, v40
	v_dot4c_i32_i8_e32 v227, v112, v36
	v_lshlrev_b32_e32 v46, 2, v34
	v_dot4c_i32_i8_e32 v250, v169, v49
	v_dot4c_i32_i8_e32 v251, v173, v45
	;; [unrolled: 1-line block ×16, first 2 shown]
	v_lshrrev_b32_e32 v65, 1, v34
	ds_read_b128 v[34:37], v46 offset:33280
	ds_read_b128 v[38:41], v46 offset:33296
	;; [unrolled: 1-line block ×4, first 2 shown]
	v_mov_b32_e32 v77, 0
	v_mov_b32_e32 v81, 0
	v_mul_lo_u32 v66, v66, v229
	s_waitcnt lgkmcnt(1)
	v_dot4c_i32_i8_e32 v81, v174, v42
	s_waitcnt lgkmcnt(0)
	v_dot4c_i32_i8_e32 v77, v170, v46
	v_mov_b32_e32 v170, 0
	v_dot4c_i32_i8_e32 v170, v166, v38
	v_mov_b32_e32 v166, 0
	v_dot4c_i32_i8_e32 v170, v167, v39
	v_dot4c_i32_i8_e32 v166, v164, v34
	;; [unrolled: 1-line block ×11, first 2 shown]
	ds_read_b64 v[160:161], v62 offset:43584
	ds_read_b64 v[168:169], v78 offset:43584
	;; [unrolled: 1-line block ×4, first 2 shown]
	v_mul_lo_u32 v62, v92, v233
	v_mul_lo_u32 v92, v253, v233
	;; [unrolled: 1-line block ×3, first 2 shown]
	v_dot4c_i32_i8_e32 v81, v172, v44
	v_mul_lo_u32 v78, v244, v231
	v_mad_u64_u32 v[164:165], s[20:21], v166, v233, v[164:165]
	v_mad_u64_u32 v[166:167], s[20:21], v252, v231, v[92:93]
	v_dot4c_i32_i8_e32 v81, v173, v45
	v_mad_u64_u32 v[170:171], s[20:21], v245, v233, v[78:79]
	v_mad_u64_u32 v[172:173], s[20:21], v68, v231, v[62:63]
	v_cvt_f32_i32_e32 v167, v166
	v_cvt_f32_i32_e32 v166, v164
	v_mul_lo_u32 v78, v80, v228
	v_cvt_f32_i32_e32 v171, v172
	v_cvt_f32_i32_e32 v170, v170
	v_mad_u64_u32 v[174:175], s[20:21], v243, v229, v[78:79]
	v_mad_u64_u32 v[64:65], s[20:21], v64, v228, v[66:67]
	v_cvt_f32_i32_e32 v65, v64
	v_cvt_f32_i32_e32 v64, v174
	s_waitcnt lgkmcnt(0)
	v_mov_b32_e32 v164, v82
	v_mov_b32_e32 v165, v162
	v_pk_fma_f32 v[172:173], v[164:165], v[166:167], 0 op_sel_hi:[1,1,0]
	v_mov_b32_e32 v166, v168
	v_mov_b32_e32 v167, v160
	v_pk_fma_f32 v[170:171], v[166:167], v[170:171], 0 op_sel_hi:[1,1,0]
	v_mov_b32_e32 v160, v169
	v_mul_lo_u32 v62, v251, v229
	v_mul_lo_u32 v68, v77, v228
	v_pk_fma_f32 v[64:65], v[160:161], v[64:65], v[170:171]
	v_mad_u64_u32 v[244:245], s[20:21], v81, v229, v[68:69]
	v_mad_u64_u32 v[228:229], s[20:21], v250, v228, v[62:63]
	v_pk_fma_f32 v[14:15], v[96:97], v[64:65], v[14:15]
	v_mov_b32_e32 v65, 0
	v_cvt_f32_i32_e32 v229, v228
	v_cvt_f32_i32_e32 v228, v244
	v_dot4c_i32_i8_e32 v65, v150, v38
	v_mov_b32_e32 v80, 0
	v_dot4c_i32_i8_e32 v65, v151, v39
	v_dot4c_i32_i8_e32 v80, v148, v34
	;; [unrolled: 1-line block ×4, first 2 shown]
	v_mov_b32_e32 v162, v83
	v_dot4c_i32_i8_e32 v65, v147, v41
	v_dot4c_i32_i8_e32 v80, v144, v36
	v_pk_fma_f32 v[82:83], v[162:163], v[228:229], v[172:173]
	v_dot4c_i32_i8_e32 v80, v145, v37
	v_mul_lo_u32 v62, v73, v235
	v_mul_lo_u32 v64, v241, v234
	;; [unrolled: 1-line block ×4, first 2 shown]
	v_pk_fma_f32 v[16:17], v[104:105], v[82:83], v[16:17]
	v_mov_b32_e32 v77, 0
	v_mad_u64_u32 v[82:83], s[20:21], v80, v235, v[68:69]
	v_mad_u64_u32 v[144:145], s[20:21], v248, v234, v[66:67]
	;; [unrolled: 1-line block ×4, first 2 shown]
	v_mul_lo_u32 v56, v56, v232
	v_mul_lo_u32 v66, v94, v230
	v_dot4c_i32_i8_e32 v77, v154, v46
	v_mov_b32_e32 v78, 0
	v_cvt_f32_i32_e32 v65, v146
	v_cvt_f32_i32_e32 v64, v64
	;; [unrolled: 1-line block ×3, first 2 shown]
	v_mad_u64_u32 v[144:145], s[20:21], v240, v232, v[66:67]
	v_mad_u64_u32 v[146:147], s[20:21], v50, v230, v[56:57]
	v_dot4c_i32_i8_e32 v77, v155, v47
	v_dot4c_i32_i8_e32 v78, v158, v42
	v_cvt_f32_i32_e32 v145, v146
	v_cvt_f32_i32_e32 v144, v144
	v_dot4c_i32_i8_e32 v77, v152, v48
	v_dot4c_i32_i8_e32 v78, v159, v43
	v_dot4c_i32_i8_e32 v77, v153, v49
	v_dot4c_i32_i8_e32 v78, v156, v44
	v_dot4c_i32_i8_e32 v78, v157, v45
	v_pk_fma_f32 v[64:65], v[166:167], v[64:65], 0 op_sel_hi:[1,1,0]
	v_mul_lo_u32 v58, v247, v232
	v_mul_lo_u32 v62, v77, v230
	v_cvt_f32_i32_e32 v82, v82
	v_mad_u64_u32 v[148:149], s[20:21], v78, v232, v[62:63]
	v_mad_u64_u32 v[150:151], s[20:21], v246, v230, v[58:59]
	v_pk_fma_f32 v[64:65], v[160:161], v[144:145], v[64:65]
	v_mov_b32_e32 v62, 0
	v_cvt_f32_i32_e32 v149, v150
	v_cvt_f32_i32_e32 v148, v148
	v_pk_fma_f32 v[10:11], v[98:99], v[64:65], v[10:11]
	v_mov_b32_e32 v66, 0
	v_dot4c_i32_i8_e32 v62, v134, v38
	v_mov_b32_e32 v64, 0
	v_dot4c_i32_i8_e32 v66, v138, v46
	v_mov_b32_e32 v77, 0
	v_dot4c_i32_i8_e32 v62, v135, v39
	v_dot4c_i32_i8_e32 v64, v132, v34
	v_dot4c_i32_i8_e32 v66, v139, v47
	;; [unrolled: 1-line block ×5, first 2 shown]
	v_pk_fma_f32 v[82:83], v[164:165], v[82:83], 0 op_sel_hi:[1,1,0]
	v_dot4c_i32_i8_e32 v66, v136, v48
	v_dot4c_i32_i8_e32 v77, v143, v43
	;; [unrolled: 1-line block ×4, first 2 shown]
	v_pk_fma_f32 v[82:83], v[162:163], v[148:149], v[82:83]
	v_dot4c_i32_i8_e32 v66, v137, v49
	v_dot4c_i32_i8_e32 v77, v140, v44
	;; [unrolled: 1-line block ×3, first 2 shown]
	v_mul_lo_u32 v50, v71, v239
	v_mul_lo_u32 v56, v86, v238
	;; [unrolled: 1-line block ×4, first 2 shown]
	v_pk_fma_f32 v[12:13], v[106:107], v[82:83], v[12:13]
	v_dot4c_i32_i8_e32 v77, v141, v45
	v_mad_u64_u32 v[64:65], s[20:21], v64, v239, v[62:63]
	v_mad_u64_u32 v[82:83], s[20:21], v74, v238, v[58:59]
	;; [unrolled: 1-line block ×4, first 2 shown]
	v_mul_lo_u32 v50, v72, v237
	v_mul_lo_u32 v56, v66, v236
	;; [unrolled: 1-line block ×3, first 2 shown]
	v_cvt_f32_i32_e32 v65, v82
	v_cvt_f32_i32_e32 v64, v64
	v_mad_u64_u32 v[58:59], s[20:21], v51, v236, v[58:59]
	v_mad_u64_u32 v[82:83], s[20:21], v77, v237, v[56:57]
	;; [unrolled: 1-line block ×3, first 2 shown]
	v_cvt_f32_i32_e32 v51, v50
	v_cvt_f32_i32_e32 v50, v82
	v_pk_fma_f32 v[64:65], v[164:165], v[64:65], 0 op_sel_hi:[1,1,0]
	v_mul_lo_u32 v60, v60, v236
	v_cvt_f32_i32_e32 v69, v68
	v_pk_fma_f32 v[50:51], v[162:163], v[50:51], v[64:65]
	v_cvt_f32_i32_e32 v68, v128
	v_pk_fma_f32 v[8:9], v[108:109], v[50:51], v[8:9]
	v_mov_b32_e32 v51, 0
	v_dot4c_i32_i8_e32 v51, v126, v46
	v_mov_b32_e32 v46, 0
	v_dot4c_i32_i8_e32 v46, v122, v42
	;; [unrolled: 2-line block ×3, first 2 shown]
	v_dot4c_i32_i8_e32 v42, v119, v39
	v_mov_b32_e32 v39, 0
	v_dot4c_i32_i8_e32 v39, v114, v34
	v_dot4c_i32_i8_e32 v42, v116, v40
	;; [unrolled: 1-line block ×9, first 2 shown]
	v_mul_lo_u32 v34, v179, v223
	v_mul_lo_u32 v36, v183, v222
	;; [unrolled: 1-line block ×4, first 2 shown]
	v_dot4c_i32_i8_e32 v51, v125, v49
	v_dot4c_i32_i8_e32 v46, v120, v44
	v_mad_u64_u32 v[40:41], s[20:21], v39, v223, v[40:41]
	v_mad_u64_u32 v[38:39], s[20:21], v226, v222, v[38:39]
	;; [unrolled: 1-line block ×4, first 2 shown]
	v_dot4c_i32_i8_e32 v46, v121, v45
	v_cvt_f32_i32_e32 v35, v34
	v_cvt_f32_i32_e32 v34, v36
	;; [unrolled: 1-line block ×4, first 2 shown]
	v_mul_lo_u32 v38, v225, v221
	v_mul_lo_u32 v40, v51, v220
	v_mul_lo_u32 v42, v177, v221
	v_mul_lo_u32 v44, v180, v220
	v_mad_u64_u32 v[72:73], s[20:21], v84, v237, v[60:61]
	v_mad_u64_u32 v[44:45], s[20:21], v181, v221, v[44:45]
	;; [unrolled: 1-line block ×5, first 2 shown]
	v_cvt_f32_i32_e32 v59, v58
	v_cvt_f32_i32_e32 v58, v72
	;; [unrolled: 1-line block ×6, first 2 shown]
	v_pk_fma_f32 v[68:69], v[166:167], v[68:69], 0 op_sel_hi:[1,1,0]
	v_pk_fma_f32 v[36:37], v[164:165], v[36:37], 0 op_sel_hi:[1,1,0]
	;; [unrolled: 1-line block ×3, first 2 shown]
	v_pk_fma_f32 v[58:59], v[160:161], v[58:59], v[68:69]
	v_pk_fma_f32 v[34:35], v[160:161], v[40:41], v[34:35]
	;; [unrolled: 1-line block ×6, first 2 shown]
	s_mov_b32 s20, 8
	s_and_b64 vcc, exec, s[0:1]
	s_mov_b64 s[0:1], 0
	s_cbranch_vccnz .LBB175_6
; %bb.7:                                ;   in Loop: Header=BB175_5 Depth=1
	s_barrier
	scratch_load_dword v34, off, off offset:4 ; 4-byte Folded Reload
	v_add_u32_e32 v48, s18, v186
	v_add_u32_e32 v36, v48, v57
	;; [unrolled: 1-line block ×5, first 2 shown]
	v_mad_i64_i32 v[36:37], s[0:1], v36, 36, v[0:1]
	v_mad_i64_i32 v[38:39], s[0:1], v38, 36, v[0:1]
	;; [unrolled: 1-line block ×3, first 2 shown]
	v_add_u32_e32 v42, v48, v91
	v_add_u32_e32 v44, v48, v93
	;; [unrolled: 1-line block ×3, first 2 shown]
	v_mad_u64_u32 v[50:51], s[0:1], v50, 36, s[2:3]
	v_mad_i64_i32 v[42:43], s[0:1], v42, 36, v[0:1]
	v_mad_i64_i32 v[44:45], s[0:1], v44, 36, v[0:1]
	;; [unrolled: 1-line block ×3, first 2 shown]
	s_waitcnt vmcnt(0)
	v_add_u32_e32 v34, v48, v34
	v_mad_i64_i32 v[34:35], s[0:1], v34, 36, v[0:1]
	v_add_u32_e32 v48, v48, v184
	v_mad_i64_i32 v[48:49], s[0:1], v48, 36, v[0:1]
	global_load_dword v50, v[50:51], off
	s_nop 0
	global_load_dword v34, v[34:35], off offset:4
	s_nop 0
	global_load_dword v35, v[36:37], off offset:4
	;; [unrolled: 2-line block ×3, first 2 shown]
	global_load_dword v37, v[40:41], off offset:4
	s_nop 0
	global_load_dword v38, v[42:43], off offset:4
	global_load_dword v39, v[44:45], off offset:4
	;; [unrolled: 1-line block ×4, first 2 shown]
	s_mov_b32 s0, 16
	s_waitcnt vmcnt(7)
	ds_write_b32 v203, v34
	s_waitcnt vmcnt(6)
	ds_write_b32 v204, v35
	;; [unrolled: 2-line block ×8, first 2 shown]
	scratch_load_dword v34, off, off        ; 4-byte Folded Reload
	v_cvt_f32_f16_e32 v42, v50
	s_waitcnt vmcnt(0)
	ds_write_b32 v34, v42
	s_waitcnt lgkmcnt(0)
	s_barrier
	ds_read_b32 v96, v185
	ds_read_b32 v98, v187 offset:128
	ds_read_b32 v100, v189 offset:256
	;; [unrolled: 1-line block ×3, first 2 shown]
	s_waitcnt lgkmcnt(3)
	v_mov_b32_e32 v97, v96
	v_mov_b32_e32 v104, v96
	v_mov_b32_e32 v105, v96
	s_waitcnt lgkmcnt(2)
	v_mov_b32_e32 v99, v98
	v_mov_b32_e32 v106, v98
	v_mov_b32_e32 v107, v98
	;; [unrolled: 4-line block ×4, first 2 shown]
.LBB175_8:                              ;   Parent Loop BB175_5 Depth=1
                                        ; =>  This Inner Loop Header: Depth=2
	s_lshl_b32 s1, s0, 1
	s_and_b32 s1, s1, 16
	v_or_b32_e32 v34, s1, v67
	s_lshl_b32 s19, s0, 3
	v_lshlrev_b32_e32 v46, 2, v34
	v_add_u32_e32 v50, s19, v199
	v_lshrrev_b32_e32 v176, 1, v34
	ds_read_b128 v[34:37], v46 offset:33280
	ds_read_b128 v[38:41], v46 offset:33296
	;; [unrolled: 1-line block ×4, first 2 shown]
	ds_read2_b32 v[162:163], v50 offset0:6 offset1:7
	ds_read2_b32 v[166:167], v50 offset0:4 offset1:5
	;; [unrolled: 1-line block ×3, first 2 shown]
	ds_read2_b32 v[164:165], v50 offset1:1
	ds_read2_b32 v[168:169], v50 offset0:14 offset1:15
	ds_read2_b32 v[170:171], v50 offset0:12 offset1:13
	ds_read2_b32 v[172:173], v50 offset0:10 offset1:11
	ds_read2_b32 v[174:175], v50 offset0:8 offset1:9
	v_add_u32_e32 v50, s19, v200
	ds_read2_b32 v[148:149], v50 offset0:6 offset1:7
	ds_read2_b32 v[150:151], v50 offset0:4 offset1:5
	;; [unrolled: 1-line block ×3, first 2 shown]
	ds_read2_b32 v[146:147], v50 offset1:1
	ds_read2_b32 v[152:153], v50 offset0:14 offset1:15
	ds_read2_b32 v[154:155], v50 offset0:12 offset1:13
	;; [unrolled: 1-line block ×4, first 2 shown]
	v_add_u32_e32 v50, s19, v201
	v_add_u32_e32 v56, s19, v202
	ds_read2_b32 v[132:133], v50 offset0:6 offset1:7
	ds_read2_b32 v[134:135], v50 offset0:4 offset1:5
	;; [unrolled: 1-line block ×3, first 2 shown]
	ds_read2_b32 v[130:131], v50 offset1:1
	ds_read2_b32 v[136:137], v50 offset0:14 offset1:15
	ds_read2_b32 v[138:139], v50 offset0:12 offset1:13
	;; [unrolled: 1-line block ×7, first 2 shown]
	ds_read2_b32 v[114:115], v56 offset1:1
	ds_read2_b32 v[124:125], v56 offset0:14 offset1:15
	ds_read2_b32 v[126:127], v56 offset0:12 offset1:13
	;; [unrolled: 1-line block ×4, first 2 shown]
	v_mov_b32_e32 v68, 0
	v_mov_b32_e32 v219, 0
	;; [unrolled: 1-line block ×16, first 2 shown]
	s_waitcnt lgkmcnt(14)
	v_dot4c_i32_i8_e32 v68, v170, v46
	v_dot4c_i32_i8_e32 v219, v174, v42
	;; [unrolled: 1-line block ×8, first 2 shown]
	s_waitcnt lgkmcnt(10)
	v_dot4c_i32_i8_e32 v71, v138, v46
	s_waitcnt lgkmcnt(8)
	v_dot4c_i32_i8_e32 v73, v142, v42
	v_dot4c_i32_i8_e32 v84, v134, v38
	v_dot4c_i32_i8_e32 v86, v130, v34
	s_waitcnt lgkmcnt(2)
	v_dot4c_i32_i8_e32 v51, v126, v46
	s_waitcnt lgkmcnt(0)
	v_dot4c_i32_i8_e32 v56, v122, v42
	v_dot4c_i32_i8_e32 v58, v118, v38
	;; [unrolled: 1-line block ×19, first 2 shown]
	v_or_b32_e32 v34, s1, v192
	v_dot4c_i32_i8_e32 v68, v168, v48
	v_dot4c_i32_i8_e32 v219, v172, v44
	;; [unrolled: 1-line block ×16, first 2 shown]
	v_lshlrev_b32_e32 v46, 2, v34
	v_dot4c_i32_i8_e32 v68, v169, v49
	v_dot4c_i32_i8_e32 v219, v173, v45
	;; [unrolled: 1-line block ×16, first 2 shown]
	v_lshrrev_b32_e32 v179, 1, v34
	ds_read_b128 v[34:37], v46 offset:33280
	ds_read_b128 v[38:41], v46 offset:33296
	;; [unrolled: 1-line block ×4, first 2 shown]
	v_mov_b32_e32 v82, 0
	v_mov_b32_e32 v223, 0
	v_mov_b32_e32 v183, 0
	v_mov_b32_e32 v182, 0
	v_mov_b32_e32 v76, 0
	v_mov_b32_e32 v80, 0
	v_mov_b32_e32 v221, 0
	v_mov_b32_e32 v222, 0
	v_mov_b32_e32 v220, 0
	v_mov_b32_e32 v70, 0
	v_mov_b32_e32 v72, 0
	v_mov_b32_e32 v74, 0
	v_mov_b32_e32 v66, 0
	v_mov_b32_e32 v94, 0
	v_mov_b32_e32 v233, 0
	v_mov_b32_e32 v234, 0
	s_waitcnt lgkmcnt(0)
	v_dot4c_i32_i8_e32 v82, v170, v46
	v_dot4c_i32_i8_e32 v223, v174, v42
	;; [unrolled: 1-line block ×32, first 2 shown]
	v_or_b32_e32 v34, s1, v193
	v_dot4c_i32_i8_e32 v82, v168, v48
	v_dot4c_i32_i8_e32 v223, v172, v44
	;; [unrolled: 1-line block ×16, first 2 shown]
	v_lshlrev_b32_e32 v46, 2, v34
	v_dot4c_i32_i8_e32 v82, v169, v49
	v_dot4c_i32_i8_e32 v223, v173, v45
	;; [unrolled: 1-line block ×16, first 2 shown]
	v_lshrrev_b32_e32 v65, 1, v34
	ds_read_b128 v[34:37], v46 offset:33280
	ds_read_b128 v[38:41], v46 offset:33296
	;; [unrolled: 1-line block ×4, first 2 shown]
	v_mov_b32_e32 v224, 0
	v_mov_b32_e32 v225, 0
	;; [unrolled: 1-line block ×16, first 2 shown]
	s_waitcnt lgkmcnt(0)
	v_dot4c_i32_i8_e32 v224, v170, v46
	v_dot4c_i32_i8_e32 v225, v174, v42
	;; [unrolled: 1-line block ×16, first 2 shown]
	s_lshr_b32 s18, s0, 1
	v_dot4c_i32_i8_e32 v224, v171, v47
	v_dot4c_i32_i8_e32 v225, v175, v43
	;; [unrolled: 1-line block ×16, first 2 shown]
	v_or_b32_e32 v34, s1, v194
	s_add_i32 s18, s18, 0xa200
	v_dot4c_i32_i8_e32 v224, v168, v48
	v_dot4c_i32_i8_e32 v225, v172, v44
	;; [unrolled: 1-line block ×16, first 2 shown]
	v_lshlrev_b32_e32 v46, 2, v34
	v_add3_u32 v178, s18, v214, v215
	v_dot4c_i32_i8_e32 v224, v169, v49
	v_dot4c_i32_i8_e32 v225, v173, v45
	;; [unrolled: 1-line block ×16, first 2 shown]
	v_lshrrev_b32_e32 v81, 1, v34
	ds_read_b128 v[34:37], v46 offset:33280
	ds_read_b128 v[38:41], v46 offset:33296
	;; [unrolled: 1-line block ×4, first 2 shown]
	ds_read_b64 v[176:177], v176 offset:43584
	ds_read_b32 v83, v178
	ds_read_b64 v[244:245], v179 offset:43584
	ds_read_b64 v[178:179], v65 offset:43584
	;; [unrolled: 1-line block ×3, first 2 shown]
	v_add3_u32 v90, s18, v216, v211
	v_add3_u32 v69, s18, v217, v212
	;; [unrolled: 1-line block ×3, first 2 shown]
	s_waitcnt lgkmcnt(3)
	v_bfe_i32 v239, v83, 8, 8
	v_bfe_i32 v240, v83, 0, 8
	v_ashrrev_i32_e32 v231, 24, v83
	v_bfe_i32 v232, v83, 16, 8
	v_mov_b32_e32 v83, 0
	v_dot4c_i32_i8_e32 v83, v166, v38
	v_mul_lo_u32 v252, v77, v240
	v_mov_b32_e32 v77, 0
	v_dot4c_i32_i8_e32 v83, v167, v39
	v_dot4c_i32_i8_e32 v77, v164, v34
	;; [unrolled: 1-line block ×6, first 2 shown]
	v_mul_lo_u32 v250, v183, v239
	v_dot4c_i32_i8_e32 v77, v161, v37
	v_mul_lo_u32 v254, v83, v239
	v_mov_b32_e32 v65, 0
	v_mul_lo_u32 v248, v181, v240
	v_mad_u64_u32 v[254:255], s[18:19], v77, v240, v[254:255]
	v_mad_u64_u32 v[252:253], s[18:19], v226, v239, v[252:253]
	;; [unrolled: 1-line block ×3, first 2 shown]
	v_dot4c_i32_i8_e32 v65, v170, v46
	v_mov_b32_e32 v81, 0
	v_mad_u64_u32 v[180:181], s[18:19], v180, v239, v[248:249]
	v_cvt_f32_i32_e32 v248, v182
	v_cvt_f32_i32_e32 v183, v252
	;; [unrolled: 1-line block ×3, first 2 shown]
	v_dot4c_i32_i8_e32 v65, v171, v47
	v_dot4c_i32_i8_e32 v81, v174, v42
	v_mul_lo_u32 v226, v219, v232
	v_mul_lo_u32 v82, v82, v231
	v_dot4c_i32_i8_e32 v65, v168, v48
	v_dot4c_i32_i8_e32 v81, v175, v43
	v_cvt_f32_i32_e32 v249, v180
	v_mad_u64_u32 v[82:83], s[18:19], v223, v232, v[82:83]
	v_mad_u64_u32 v[252:253], s[18:19], v68, v231, v[226:227]
	v_dot4c_i32_i8_e32 v65, v169, v49
	v_dot4c_i32_i8_e32 v81, v172, v44
	s_waitcnt lgkmcnt(0)
	v_mov_b32_e32 v180, v246
	v_mov_b32_e32 v181, v178
	v_cvt_f32_i32_e32 v83, v252
	v_cvt_f32_i32_e32 v82, v82
	v_dot4c_i32_i8_e32 v81, v173, v45
	v_pk_fma_f32 v[250:251], v[180:181], v[182:183], 0 op_sel_hi:[1,1,0]
	v_mov_b32_e32 v183, v176
	v_mul_lo_u32 v176, v225, v232
	v_mul_lo_u32 v178, v65, v231
	v_mov_b32_e32 v182, v244
	v_mad_u64_u32 v[254:255], s[18:19], v81, v232, v[178:179]
	v_mad_u64_u32 v[224:225], s[18:19], v224, v231, v[176:177]
	v_pk_fma_f32 v[248:249], v[182:183], v[248:249], 0 op_sel_hi:[1,1,0]
	v_cvt_f32_i32_e32 v225, v224
	v_cvt_f32_i32_e32 v224, v254
	v_mov_b32_e32 v176, v245
	ds_read_b32 v68, v90
	v_pk_fma_f32 v[82:83], v[176:177], v[82:83], v[248:249]
	v_mov_b32_e32 v65, 0
	v_pk_fma_f32 v[30:31], v[96:97], v[82:83], v[30:31]
	v_dot4c_i32_i8_e32 v65, v150, v38
	v_mov_b32_e32 v83, 0
	v_mov_b32_e32 v178, v247
	;; [unrolled: 1-line block ×3, first 2 shown]
	v_dot4c_i32_i8_e32 v65, v151, v39
	v_dot4c_i32_i8_e32 v83, v146, v34
	v_pk_fma_f32 v[224:225], v[178:179], v[224:225], v[250:251]
	v_dot4c_i32_i8_e32 v77, v154, v46
	v_dot4c_i32_i8_e32 v65, v148, v40
	;; [unrolled: 1-line block ×3, first 2 shown]
	v_pk_fma_f32 v[32:33], v[104:105], v[224:225], v[32:33]
	v_dot4c_i32_i8_e32 v77, v155, v47
	v_dot4c_i32_i8_e32 v65, v149, v41
	;; [unrolled: 1-line block ×3, first 2 shown]
	s_waitcnt lgkmcnt(0)
	v_bfe_i32 v225, v68, 8, 8
	v_bfe_i32 v226, v68, 0, 8
	v_dot4c_i32_i8_e32 v77, v152, v48
	v_dot4c_i32_i8_e32 v83, v145, v37
	v_ashrrev_i32_e32 v223, 24, v68
	v_bfe_i32 v224, v68, 16, 8
	v_mul_lo_u32 v64, v64, v226
	v_mul_lo_u32 v68, v221, v225
	;; [unrolled: 1-line block ×4, first 2 shown]
	v_dot4c_i32_i8_e32 v77, v153, v49
	v_mad_u64_u32 v[244:245], s[18:19], v83, v226, v[90:91]
	v_mad_u64_u32 v[82:83], s[18:19], v229, v225, v[82:83]
	v_mad_u64_u32 v[246:247], s[18:19], v222, v226, v[68:69]
	v_mad_u64_u32 v[64:65], s[18:19], v62, v225, v[64:65]
	v_mul_lo_u32 v90, v92, v224
	v_mul_lo_u32 v76, v76, v223
	v_cvt_f32_i32_e32 v65, v64
	v_cvt_f32_i32_e32 v64, v246
	;; [unrolled: 1-line block ×4, first 2 shown]
	v_mul_lo_u32 v62, v228, v224
	v_mad_u64_u32 v[228:229], s[18:19], v80, v224, v[76:77]
	v_mad_u64_u32 v[244:245], s[18:19], v60, v223, v[90:91]
	v_mov_b32_e32 v81, 0
	v_cvt_f32_i32_e32 v229, v244
	v_cvt_f32_i32_e32 v228, v228
	v_dot4c_i32_i8_e32 v81, v158, v42
	v_dot4c_i32_i8_e32 v81, v159, v43
	;; [unrolled: 1-line block ×3, first 2 shown]
	v_pk_fma_f32 v[64:65], v[182:183], v[64:65], 0 op_sel_hi:[1,1,0]
	ds_read_b32 v60, v69
	v_dot4c_i32_i8_e32 v81, v157, v45
	v_mul_lo_u32 v68, v77, v223
	v_pk_fma_f32 v[64:65], v[176:177], v[228:229], v[64:65]
	v_mad_u64_u32 v[248:249], s[18:19], v227, v223, v[62:63]
	v_mad_u64_u32 v[246:247], s[18:19], v81, v224, v[68:69]
	v_pk_fma_f32 v[26:27], v[98:99], v[64:65], v[26:27]
	v_mov_b32_e32 v65, 0
	v_cvt_f32_i32_e32 v247, v248
	v_cvt_f32_i32_e32 v246, v246
	v_dot4c_i32_i8_e32 v65, v134, v38
	v_dot4c_i32_i8_e32 v65, v135, v39
	;; [unrolled: 1-line block ×3, first 2 shown]
	s_waitcnt lgkmcnt(0)
	v_bfe_i32 v230, v60, 0, 8
	v_pk_fma_f32 v[82:83], v[180:181], v[82:83], 0 op_sel_hi:[1,1,0]
	v_dot4c_i32_i8_e32 v65, v133, v41
	v_bfe_i32 v229, v60, 8, 8
	v_ashrrev_i32_e32 v227, 24, v60
	v_bfe_i32 v228, v60, 16, 8
	v_mul_lo_u32 v60, v86, v230
	v_mul_lo_u32 v64, v243, v230
	v_pk_fma_f32 v[82:83], v[178:179], v[246:247], v[82:83]
	v_mul_lo_u32 v62, v72, v229
	v_mul_lo_u32 v68, v65, v229
	v_mad_u64_u32 v[64:65], s[18:19], v242, v229, v[64:65]
	v_mad_u64_u32 v[242:243], s[18:19], v84, v229, v[60:61]
	v_mul_lo_u32 v60, v241, v228
	v_pk_fma_f32 v[28:29], v[106:107], v[82:83], v[28:29]
	v_mov_b32_e32 v76, 0
	v_mad_u64_u32 v[82:83], s[18:19], v74, v230, v[62:63]
	v_mul_lo_u32 v74, v220, v227
	v_mad_u64_u32 v[220:221], s[18:19], v238, v227, v[60:61]
	v_mov_b32_e32 v60, 0
	v_dot4c_i32_i8_e32 v76, v138, v46
	v_mov_b32_e32 v77, 0
	v_dot4c_i32_i8_e32 v60, v126, v46
	v_mov_b32_e32 v46, 0
	v_dot4c_i32_i8_e32 v77, v142, v42
	v_dot4c_i32_i8_e32 v46, v122, v42
	v_mov_b32_e32 v42, 0
	v_dot4c_i32_i8_e32 v42, v118, v38
	v_mov_b32_e32 v80, 0
	;; [unrolled: 2-line block ×3, first 2 shown]
	v_dot4c_i32_i8_e32 v80, v130, v34
	v_dot4c_i32_i8_e32 v39, v114, v34
	ds_read_b32 v34, v50
	v_dot4c_i32_i8_e32 v76, v139, v47
	v_dot4c_i32_i8_e32 v80, v131, v35
	v_cvt_f32_i32_e32 v83, v242
	v_cvt_f32_i32_e32 v82, v82
	v_dot4c_i32_i8_e32 v76, v136, v48
	v_dot4c_i32_i8_e32 v77, v143, v43
	;; [unrolled: 1-line block ×7, first 2 shown]
	v_mul_lo_u32 v62, v76, v227
	v_mul_lo_u32 v72, v73, v228
	v_mad_u64_u32 v[68:69], s[18:19], v80, v230, v[68:69]
	v_dot4c_i32_i8_e32 v42, v116, v40
	v_dot4c_i32_i8_e32 v39, v115, v35
	v_cvt_f32_i32_e32 v65, v64
	v_cvt_f32_i32_e32 v64, v68
	v_pk_fma_f32 v[68:69], v[182:183], v[82:83], 0 op_sel_hi:[1,1,0]
	v_mad_u64_u32 v[82:83], s[18:19], v70, v228, v[74:75]
	v_mad_u64_u32 v[70:71], s[18:19], v71, v227, v[72:73]
	;; [unrolled: 1-line block ×3, first 2 shown]
	v_dot4c_i32_i8_e32 v60, v127, v47
	v_dot4c_i32_i8_e32 v42, v117, v41
	;; [unrolled: 1-line block ×3, first 2 shown]
	s_waitcnt lgkmcnt(0)
	v_bfe_i32 v221, v34, 8, 8
	v_bfe_i32 v222, v34, 0, 8
	v_cvt_f32_i32_e32 v73, v220
	v_dot4c_i32_i8_e32 v60, v124, v48
	v_dot4c_i32_i8_e32 v46, v123, v43
	;; [unrolled: 1-line block ×3, first 2 shown]
	v_ashrrev_i32_e32 v219, 24, v34
	v_bfe_i32 v220, v34, 16, 8
	v_mul_lo_u32 v34, v59, v222
	v_mul_lo_u32 v36, v233, v221
	;; [unrolled: 1-line block ×4, first 2 shown]
	v_dot4c_i32_i8_e32 v60, v125, v49
	v_dot4c_i32_i8_e32 v46, v120, v44
	v_mad_u64_u32 v[40:41], s[18:19], v39, v222, v[40:41]
	v_mad_u64_u32 v[38:39], s[18:19], v236, v221, v[38:39]
	v_mad_u64_u32 v[36:37], s[18:19], v234, v222, v[36:37]
	v_mad_u64_u32 v[34:35], s[18:19], v58, v221, v[34:35]
	v_dot4c_i32_i8_e32 v46, v121, v45
	v_cvt_f32_i32_e32 v35, v34
	v_cvt_f32_i32_e32 v34, v36
	;; [unrolled: 1-line block ×4, first 2 shown]
	v_mul_lo_u32 v38, v235, v220
	v_mul_lo_u32 v40, v60, v219
	;; [unrolled: 1-line block ×4, first 2 shown]
	v_mad_u64_u32 v[44:45], s[18:19], v94, v220, v[44:45]
	v_mad_u64_u32 v[42:43], s[18:19], v51, v219, v[42:43]
	;; [unrolled: 1-line block ×4, first 2 shown]
	v_cvt_f32_i32_e32 v39, v38
	v_cvt_f32_i32_e32 v38, v40
	;; [unrolled: 1-line block ×4, first 2 shown]
	v_pk_fma_f32 v[34:35], v[182:183], v[34:35], 0 op_sel_hi:[1,1,0]
	v_pk_fma_f32 v[36:37], v[180:181], v[36:37], 0 op_sel_hi:[1,1,0]
	v_cvt_f32_i32_e32 v72, v72
	v_pk_fma_f32 v[34:35], v[176:177], v[40:41], v[34:35]
	v_pk_fma_f32 v[36:37], v[178:179], v[38:39], v[36:37]
	;; [unrolled: 1-line block ×3, first 2 shown]
	v_or_b32_e32 v34, s1, v195
	v_lshlrev_b32_e32 v46, 2, v34
	v_cvt_f32_i32_e32 v71, v70
	v_cvt_f32_i32_e32 v70, v82
	v_pk_fma_f32 v[20:21], v[110:111], v[36:37], v[20:21]
	v_lshrrev_b32_e32 v74, 1, v34
	ds_read_b128 v[34:37], v46 offset:33280
	ds_read_b128 v[38:41], v46 offset:33296
	;; [unrolled: 1-line block ×4, first 2 shown]
	v_pk_fma_f32 v[64:65], v[180:181], v[64:65], 0 op_sel_hi:[1,1,0]
	v_pk_fma_f32 v[68:69], v[176:177], v[70:71], v[68:69]
	v_pk_fma_f32 v[64:65], v[178:179], v[72:73], v[64:65]
	v_mov_b32_e32 v90, 0
	v_mov_b32_e32 v73, 0
	;; [unrolled: 1-line block ×16, first 2 shown]
	s_waitcnt lgkmcnt(0)
	v_dot4c_i32_i8_e32 v90, v170, v46
	v_dot4c_i32_i8_e32 v73, v174, v42
	;; [unrolled: 1-line block ×32, first 2 shown]
	v_or_b32_e32 v34, s1, v196
	v_dot4c_i32_i8_e32 v90, v168, v48
	v_dot4c_i32_i8_e32 v73, v172, v44
	;; [unrolled: 1-line block ×16, first 2 shown]
	v_lshlrev_b32_e32 v46, 2, v34
	v_dot4c_i32_i8_e32 v90, v169, v49
	v_dot4c_i32_i8_e32 v73, v173, v45
	;; [unrolled: 1-line block ×16, first 2 shown]
	v_lshrrev_b32_e32 v60, 1, v34
	ds_read_b128 v[34:37], v46 offset:33280
	ds_read_b128 v[38:41], v46 offset:33296
	;; [unrolled: 1-line block ×4, first 2 shown]
	v_pk_fma_f32 v[24:25], v[108:109], v[64:65], v[24:25]
	v_pk_fma_f32 v[22:23], v[100:101], v[68:69], v[22:23]
	v_mov_b32_e32 v50, 0
	v_mov_b32_e32 v58, 0
	v_mov_b32_e32 v64, 0
	v_mov_b32_e32 v68, 0
	v_mov_b32_e32 v251, 0
	v_mov_b32_e32 v252, 0
	v_mov_b32_e32 v253, 0
	v_mov_b32_e32 v254, 0
	v_mov_b32_e32 v247, 0
	v_mov_b32_e32 v248, 0
	v_mov_b32_e32 v249, 0
	v_mov_b32_e32 v250, 0
	v_mov_b32_e32 v180, 0
	v_mov_b32_e32 v181, 0
	v_mov_b32_e32 v182, 0
	v_mov_b32_e32 v183, 0
	s_waitcnt lgkmcnt(0)
	v_dot4c_i32_i8_e32 v50, v170, v46
	v_dot4c_i32_i8_e32 v58, v174, v42
	;; [unrolled: 1-line block ×32, first 2 shown]
	v_or_b32_e32 v34, s1, v197
	v_dot4c_i32_i8_e32 v50, v168, v48
	v_dot4c_i32_i8_e32 v58, v172, v44
	;; [unrolled: 1-line block ×16, first 2 shown]
	v_lshlrev_b32_e32 v46, 2, v34
	v_dot4c_i32_i8_e32 v50, v169, v49
	v_dot4c_i32_i8_e32 v58, v173, v45
	;; [unrolled: 1-line block ×16, first 2 shown]
	v_lshrrev_b32_e32 v76, 1, v34
	ds_read_b128 v[34:37], v46 offset:33280
	ds_read_b128 v[38:41], v46 offset:33296
	;; [unrolled: 1-line block ×4, first 2 shown]
	v_mov_b32_e32 v62, 0
	v_mov_b32_e32 v66, 0
	;; [unrolled: 1-line block ×16, first 2 shown]
	s_waitcnt lgkmcnt(0)
	v_dot4c_i32_i8_e32 v62, v170, v46
	v_dot4c_i32_i8_e32 v66, v174, v42
	;; [unrolled: 1-line block ×32, first 2 shown]
	v_or_b32_e32 v34, s1, v198
	v_dot4c_i32_i8_e32 v62, v168, v48
	v_dot4c_i32_i8_e32 v66, v172, v44
	;; [unrolled: 1-line block ×16, first 2 shown]
	v_lshlrev_b32_e32 v46, 2, v34
	v_dot4c_i32_i8_e32 v62, v169, v49
	v_dot4c_i32_i8_e32 v66, v173, v45
	;; [unrolled: 1-line block ×16, first 2 shown]
	v_lshrrev_b32_e32 v82, 1, v34
	ds_read_b128 v[34:37], v46 offset:33280
	ds_read_b128 v[38:41], v46 offset:33296
	;; [unrolled: 1-line block ×4, first 2 shown]
	v_mov_b32_e32 v70, 0
	v_mov_b32_e32 v72, 0
	v_mul_lo_u32 v56, v56, v240
	s_waitcnt lgkmcnt(1)
	v_dot4c_i32_i8_e32 v72, v174, v42
	s_waitcnt lgkmcnt(0)
	v_dot4c_i32_i8_e32 v70, v170, v46
	v_mov_b32_e32 v170, 0
	v_dot4c_i32_i8_e32 v170, v166, v38
	v_mov_b32_e32 v166, 0
	v_dot4c_i32_i8_e32 v170, v167, v39
	v_dot4c_i32_i8_e32 v166, v164, v34
	;; [unrolled: 1-line block ×13, first 2 shown]
	ds_read_b64 v[160:161], v74 offset:43584
	ds_read_b64 v[172:173], v60 offset:43584
	;; [unrolled: 1-line block ×4, first 2 shown]
	v_mul_lo_u32 v60, v64, v239
	v_mul_lo_u32 v64, v80, v240
	;; [unrolled: 1-line block ×3, first 2 shown]
	v_mad_u64_u32 v[82:83], s[18:19], v166, v240, v[74:75]
	v_mad_u64_u32 v[64:65], s[18:19], v78, v239, v[64:65]
	;; [unrolled: 1-line block ×4, first 2 shown]
	v_cvt_f32_i32_e32 v175, v166
	v_cvt_f32_i32_e32 v174, v164
	;; [unrolled: 1-line block ×4, first 2 shown]
	s_waitcnt lgkmcnt(0)
	v_mov_b32_e32 v164, v168
	v_mov_b32_e32 v165, v162
	;; [unrolled: 1-line block ×4, first 2 shown]
	v_mul_lo_u32 v56, v66, v232
	v_mul_lo_u32 v60, v70, v231
	;; [unrolled: 1-line block ×4, first 2 shown]
	v_pk_fma_f32 v[170:171], v[164:165], v[64:65], 0 op_sel_hi:[1,1,0]
	v_pk_fma_f32 v[64:65], v[166:167], v[174:175], 0 op_sel_hi:[1,1,0]
	v_mad_u64_u32 v[82:83], s[18:19], v58, v232, v[50:51]
	v_mad_u64_u32 v[174:175], s[18:19], v90, v231, v[66:67]
	;; [unrolled: 1-line block ×4, first 2 shown]
	v_cvt_f32_i32_e32 v73, v76
	v_cvt_f32_i32_e32 v77, v174
	;; [unrolled: 1-line block ×3, first 2 shown]
	v_mov_b32_e32 v160, v173
	v_mov_b32_e32 v60, 0
	v_cvt_f32_i32_e32 v72, v72
	v_pk_fma_f32 v[64:65], v[160:161], v[76:77], v[64:65]
	v_mov_b32_e32 v62, 0
	v_pk_fma_f32 v[14:15], v[96:97], v[64:65], v[14:15]
	v_dot4c_i32_i8_e32 v60, v150, v38
	v_mov_b32_e32 v64, 0
	v_dot4c_i32_i8_e32 v62, v154, v46
	v_mov_b32_e32 v66, 0
	v_dot4c_i32_i8_e32 v60, v151, v39
	v_dot4c_i32_i8_e32 v64, v146, v34
	;; [unrolled: 1-line block ×6, first 2 shown]
	v_mov_b32_e32 v162, v169
	v_dot4c_i32_i8_e32 v62, v152, v48
	v_dot4c_i32_i8_e32 v66, v159, v43
	;; [unrolled: 1-line block ×4, first 2 shown]
	v_pk_fma_f32 v[72:73], v[162:163], v[72:73], v[170:171]
	v_dot4c_i32_i8_e32 v62, v153, v49
	v_dot4c_i32_i8_e32 v66, v156, v44
	;; [unrolled: 1-line block ×3, first 2 shown]
	v_mul_lo_u32 v50, v246, v226
	v_mul_lo_u32 v56, v253, v225
	;; [unrolled: 1-line block ×4, first 2 shown]
	v_pk_fma_f32 v[16:17], v[104:105], v[72:73], v[16:17]
	v_dot4c_i32_i8_e32 v66, v157, v45
	v_mad_u64_u32 v[64:65], s[18:19], v64, v226, v[60:61]
	v_mad_u64_u32 v[70:71], s[18:19], v71, v225, v[58:59]
	;; [unrolled: 1-line block ×4, first 2 shown]
	v_mul_lo_u32 v50, v69, v224
	v_mul_lo_u32 v56, v62, v223
	v_cvt_f32_i32_e32 v73, v76
	v_cvt_f32_i32_e32 v65, v70
	v_cvt_f32_i32_e32 v64, v64
	v_mad_u64_u32 v[76:77], s[18:19], v66, v224, v[56:57]
	v_mad_u64_u32 v[82:83], s[18:19], v86, v223, v[50:51]
	v_cvt_f32_i32_e32 v72, v72
	v_cvt_f32_i32_e32 v77, v82
	;; [unrolled: 1-line block ×3, first 2 shown]
	v_pk_fma_f32 v[64:65], v[164:165], v[64:65], 0 op_sel_hi:[1,1,0]
	v_mul_lo_u32 v58, v244, v224
	v_mul_lo_u32 v60, v251, v223
	v_pk_fma_f32 v[70:71], v[166:167], v[72:73], 0 op_sel_hi:[1,1,0]
	v_mad_u64_u32 v[68:69], s[18:19], v252, v224, v[60:61]
	v_mad_u64_u32 v[72:73], s[18:19], v243, v223, v[58:59]
	v_pk_fma_f32 v[64:65], v[162:163], v[76:77], v[64:65]
	v_mov_b32_e32 v60, 0
	v_cvt_f32_i32_e32 v69, v72
	v_cvt_f32_i32_e32 v68, v68
	v_pk_fma_f32 v[12:13], v[106:107], v[64:65], v[12:13]
	v_mov_b32_e32 v62, 0
	v_dot4c_i32_i8_e32 v60, v134, v38
	v_mov_b32_e32 v64, 0
	v_dot4c_i32_i8_e32 v62, v138, v46
	;; [unrolled: 2-line block ×3, first 2 shown]
	v_dot4c_i32_i8_e32 v64, v130, v34
	v_dot4c_i32_i8_e32 v62, v139, v47
	;; [unrolled: 1-line block ×9, first 2 shown]
	v_pk_fma_f32 v[68:69], v[160:161], v[68:69], v[70:71]
	v_dot4c_i32_i8_e32 v62, v137, v49
	v_dot4c_i32_i8_e32 v66, v140, v44
	v_dot4c_i32_i8_e32 v64, v129, v37
	v_mul_lo_u32 v50, v242, v230
	v_mul_lo_u32 v56, v249, v229
	;; [unrolled: 1-line block ×4, first 2 shown]
	v_pk_fma_f32 v[10:11], v[98:99], v[68:69], v[10:11]
	v_dot4c_i32_i8_e32 v66, v141, v45
	v_mad_u64_u32 v[64:65], s[18:19], v64, v230, v[60:61]
	v_mad_u64_u32 v[58:59], s[18:19], v59, v229, v[58:59]
	;; [unrolled: 1-line block ×4, first 2 shown]
	v_mul_lo_u32 v50, v51, v228
	v_mul_lo_u32 v56, v62, v227
	v_cvt_f32_i32_e32 v59, v58
	v_cvt_f32_i32_e32 v58, v64
	v_mad_u64_u32 v[72:73], s[18:19], v66, v228, v[56:57]
	v_mad_u64_u32 v[50:51], s[18:19], v255, v227, v[50:51]
	v_cvt_f32_i32_e32 v51, v50
	v_cvt_f32_i32_e32 v50, v72
	v_pk_fma_f32 v[58:59], v[164:165], v[58:59], 0 op_sel_hi:[1,1,0]
	v_cvt_f32_i32_e32 v69, v70
	v_cvt_f32_i32_e32 v68, v68
	v_pk_fma_f32 v[50:51], v[162:163], v[50:51], v[58:59]
	v_mul_lo_u32 v60, v236, v228
	v_pk_fma_f32 v[8:9], v[108:109], v[50:51], v[8:9]
	v_mov_b32_e32 v50, 0
	v_dot4c_i32_i8_e32 v50, v126, v46
	v_mov_b32_e32 v46, 0
	v_dot4c_i32_i8_e32 v46, v122, v42
	;; [unrolled: 2-line block ×3, first 2 shown]
	v_dot4c_i32_i8_e32 v42, v119, v39
	v_mov_b32_e32 v39, 0
	v_dot4c_i32_i8_e32 v39, v114, v34
	v_dot4c_i32_i8_e32 v42, v116, v40
	;; [unrolled: 1-line block ×9, first 2 shown]
	v_mul_lo_u32 v34, v179, v222
	v_mul_lo_u32 v36, v182, v221
	;; [unrolled: 1-line block ×4, first 2 shown]
	v_dot4c_i32_i8_e32 v50, v125, v49
	v_dot4c_i32_i8_e32 v46, v120, v44
	v_mad_u64_u32 v[40:41], s[18:19], v39, v222, v[40:41]
	v_mad_u64_u32 v[38:39], s[18:19], v237, v221, v[38:39]
	;; [unrolled: 1-line block ×4, first 2 shown]
	v_mul_lo_u32 v62, v247, v227
	v_dot4c_i32_i8_e32 v46, v121, v45
	v_cvt_f32_i32_e32 v35, v34
	v_cvt_f32_i32_e32 v34, v36
	;; [unrolled: 1-line block ×4, first 2 shown]
	v_mul_lo_u32 v38, v235, v220
	v_mul_lo_u32 v40, v50, v219
	;; [unrolled: 1-line block ×4, first 2 shown]
	v_pk_fma_f32 v[64:65], v[166:167], v[68:69], 0 op_sel_hi:[1,1,0]
	v_mad_u64_u32 v[68:69], s[18:19], v248, v228, v[62:63]
	v_mad_u64_u32 v[70:71], s[18:19], v233, v227, v[60:61]
	;; [unrolled: 1-line block ×6, first 2 shown]
	v_cvt_f32_i32_e32 v69, v70
	v_cvt_f32_i32_e32 v68, v68
	;; [unrolled: 1-line block ×6, first 2 shown]
	v_pk_fma_f32 v[36:37], v[164:165], v[36:37], 0 op_sel_hi:[1,1,0]
	v_pk_fma_f32 v[34:35], v[166:167], v[34:35], 0 op_sel_hi:[1,1,0]
	v_pk_fma_f32 v[64:65], v[160:161], v[68:69], v[64:65]
	v_pk_fma_f32 v[34:35], v[160:161], v[40:41], v[34:35]
	v_pk_fma_f32 v[36:37], v[162:163], v[38:39], v[36:37]
	s_add_i32 s1, s0, 8
	v_pk_fma_f32 v[6:7], v[100:101], v[64:65], v[6:7]
	v_pk_fma_f32 v[4:5], v[110:111], v[36:37], v[4:5]
	;; [unrolled: 1-line block ×3, first 2 shown]
	s_cmp_lt_u32 s0, 24
	s_mov_b32 s0, s1
	s_cbranch_scc1 .LBB175_8
; %bb.9:                                ;   in Loop: Header=BB175_5 Depth=1
	s_add_i32 s14, s14, 1
	s_cmp_eq_u32 s14, s4
	s_barrier
	s_cbranch_scc0 .LBB175_5
; %bb.10:
	scratch_load_dword v1, off, off offset:8 ; 4-byte Folded Reload
	scratch_load_dword v34, off, off offset:184 ; 4-byte Folded Reload
	scratch_load_dword v35, off, off offset:188 ; 4-byte Folded Reload
.LBB175_11:
	s_waitcnt vmcnt(0)
	v_cmp_gt_u32_e32 vcc, s8, v35
	s_and_saveexec_b64 s[0:1], vcc
	s_cbranch_execz .LBB175_62
; %bb.12:
	v_add_u32_e32 v0, s6, v34
	v_mul_lo_u32 v34, v35, s10
	v_cmp_gt_u32_e64 s[0:1], s10, v0
	s_and_saveexec_b64 s[2:3], s[0:1]
	s_cbranch_execz .LBB175_14
; %bb.13:
	v_bfe_u32 v35, v31, 16, 1
	s_movk_i32 s4, 0x7fff
	v_add3_u32 v35, v31, v35, s4
	v_cmp_o_f32_e32 vcc, v31, v31
	v_mov_b32_e32 v31, 0x7fc0
	v_add_u32_e32 v36, v0, v34
	v_mov_b32_e32 v37, 0
	v_cndmask_b32_sdwa v31, v31, v35, vcc dst_sel:DWORD dst_unused:UNUSED_PAD src0_sel:DWORD src1_sel:WORD_1
	s_waitcnt lgkmcnt(0)
	v_lshl_add_u64 v[36:37], v[36:37], 1, s[12:13]
	global_store_short v[36:37], v31, off
.LBB175_14:
	s_or_b64 exec, exec, s[2:3]
	v_add_u32_e32 v31, 32, v0
	v_cmp_gt_u32_e64 s[2:3], s10, v31
	s_and_saveexec_b64 s[4:5], s[2:3]
	s_cbranch_execz .LBB175_16
; %bb.15:
	v_bfe_u32 v35, v27, 16, 1
	s_movk_i32 s6, 0x7fff
	v_add3_u32 v35, v27, v35, s6
	v_cmp_o_f32_e32 vcc, v27, v27
	v_mov_b32_e32 v27, 0x7fc0
	v_add_u32_e32 v36, v31, v34
	v_mov_b32_e32 v37, 0
	v_cndmask_b32_sdwa v27, v27, v35, vcc dst_sel:DWORD dst_unused:UNUSED_PAD src0_sel:DWORD src1_sel:WORD_1
	s_waitcnt lgkmcnt(0)
	v_lshl_add_u64 v[36:37], v[36:37], 1, s[12:13]
	global_store_short v[36:37], v27, off
.LBB175_16:
	s_or_b64 exec, exec, s[4:5]
	v_add_u32_e32 v27, 64, v0
	;; [unrolled: 18-line block ×3, first 2 shown]
	v_cmp_gt_u32_e64 s[6:7], s10, v23
	s_and_saveexec_b64 s[14:15], s[6:7]
	s_cbranch_execz .LBB175_20
; %bb.19:
	v_bfe_u32 v35, v19, 16, 1
	s_movk_i32 s9, 0x7fff
	v_add3_u32 v35, v19, v35, s9
	v_cmp_o_f32_e32 vcc, v19, v19
	v_mov_b32_e32 v19, 0x7fc0
	v_add_u32_e32 v34, v23, v34
	v_cndmask_b32_sdwa v19, v19, v35, vcc dst_sel:DWORD dst_unused:UNUSED_PAD src0_sel:DWORD src1_sel:WORD_1
	v_mov_b32_e32 v35, 0
	s_waitcnt lgkmcnt(0)
	v_lshl_add_u64 v[34:35], v[34:35], 1, s[12:13]
	global_store_short v[34:35], v19, off
.LBB175_20:
	s_or_b64 exec, exec, s[14:15]
	v_add3_u32 v19, v1, s11, 8
	v_cmp_gt_u32_e32 vcc, s8, v19
	s_and_b64 exec, exec, vcc
	s_cbranch_execz .LBB175_62
; %bb.21:
	v_mul_lo_u32 v19, v19, s10
	s_and_saveexec_b64 s[14:15], s[0:1]
	s_cbranch_execnz .LBB175_63
; %bb.22:
	s_or_b64 exec, exec, s[14:15]
	s_and_saveexec_b64 s[14:15], s[2:3]
	s_cbranch_execnz .LBB175_64
.LBB175_23:
	s_or_b64 exec, exec, s[14:15]
	s_and_saveexec_b64 s[14:15], s[4:5]
	s_cbranch_execnz .LBB175_65
.LBB175_24:
	s_or_b64 exec, exec, s[14:15]
	s_and_saveexec_b64 s[14:15], s[6:7]
	s_cbranch_execz .LBB175_26
.LBB175_25:
	v_bfe_u32 v22, v18, 16, 1
	s_movk_i32 s9, 0x7fff
	v_add3_u32 v22, v18, v22, s9
	v_cmp_o_f32_e32 vcc, v18, v18
	v_mov_b32_e32 v18, 0x7fc0
	s_nop 0
	v_cndmask_b32_sdwa v22, v18, v22, vcc dst_sel:DWORD dst_unused:UNUSED_PAD src0_sel:DWORD src1_sel:WORD_1
	v_add_u32_e32 v18, v19, v23
	v_mov_b32_e32 v19, 0
	s_waitcnt lgkmcnt(0)
	v_lshl_add_u64 v[18:19], v[18:19], 1, s[12:13]
	global_store_short v[18:19], v22, off
.LBB175_26:
	s_or_b64 exec, exec, s[14:15]
	v_add3_u32 v18, v1, s11, 16
	v_cmp_gt_u32_e32 vcc, s8, v18
	s_and_b64 exec, exec, vcc
	s_cbranch_execz .LBB175_62
; %bb.27:
	v_mul_lo_u32 v18, v18, s10
	s_and_saveexec_b64 s[14:15], s[0:1]
	s_cbranch_execnz .LBB175_66
; %bb.28:
	s_or_b64 exec, exec, s[14:15]
	s_and_saveexec_b64 s[14:15], s[2:3]
	s_cbranch_execnz .LBB175_67
.LBB175_29:
	s_or_b64 exec, exec, s[14:15]
	s_and_saveexec_b64 s[14:15], s[4:5]
	s_cbranch_execnz .LBB175_68
.LBB175_30:
	s_or_b64 exec, exec, s[14:15]
	s_and_saveexec_b64 s[14:15], s[6:7]
	s_cbranch_execz .LBB175_32
.LBB175_31:
	v_bfe_u32 v19, v21, 16, 1
	s_movk_i32 s9, 0x7fff
	v_add3_u32 v19, v21, v19, s9
	v_cmp_o_f32_e32 vcc, v21, v21
	v_mov_b32_e32 v21, 0x7fc0
	v_add_u32_e32 v18, v18, v23
	v_cndmask_b32_sdwa v21, v21, v19, vcc dst_sel:DWORD dst_unused:UNUSED_PAD src0_sel:DWORD src1_sel:WORD_1
	v_mov_b32_e32 v19, 0
	s_waitcnt lgkmcnt(0)
	v_lshl_add_u64 v[18:19], v[18:19], 1, s[12:13]
	global_store_short v[18:19], v21, off
.LBB175_32:
	s_or_b64 exec, exec, s[14:15]
	v_add3_u32 v18, v1, s11, 24
	v_cmp_gt_u32_e32 vcc, s8, v18
	s_and_b64 exec, exec, vcc
	s_cbranch_execz .LBB175_62
; %bb.33:
	v_mul_lo_u32 v18, v18, s10
	s_and_saveexec_b64 s[14:15], s[0:1]
	s_cbranch_execnz .LBB175_69
; %bb.34:
	s_or_b64 exec, exec, s[14:15]
	s_and_saveexec_b64 s[14:15], s[2:3]
	s_cbranch_execnz .LBB175_70
.LBB175_35:
	s_or_b64 exec, exec, s[14:15]
	s_and_saveexec_b64 s[14:15], s[4:5]
	s_cbranch_execnz .LBB175_71
.LBB175_36:
	s_or_b64 exec, exec, s[14:15]
	s_and_saveexec_b64 s[14:15], s[6:7]
	s_cbranch_execz .LBB175_38
.LBB175_37:
	v_bfe_u32 v19, v20, 16, 1
	s_movk_i32 s9, 0x7fff
	v_add3_u32 v19, v20, v19, s9
	v_cmp_o_f32_e32 vcc, v20, v20
	v_mov_b32_e32 v20, 0x7fc0
	v_add_u32_e32 v18, v18, v23
	v_cndmask_b32_sdwa v20, v20, v19, vcc dst_sel:DWORD dst_unused:UNUSED_PAD src0_sel:DWORD src1_sel:WORD_1
	v_mov_b32_e32 v19, 0
	s_waitcnt lgkmcnt(0)
	v_lshl_add_u64 v[18:19], v[18:19], 1, s[12:13]
	global_store_short v[18:19], v20, off
.LBB175_38:
	s_or_b64 exec, exec, s[14:15]
	v_add3_u32 v18, v1, s11, 32
	v_cmp_gt_u32_e32 vcc, s8, v18
	s_and_b64 exec, exec, vcc
	s_cbranch_execz .LBB175_62
; %bb.39:
	v_mul_lo_u32 v18, v18, s10
	s_and_saveexec_b64 s[14:15], s[0:1]
	s_cbranch_execnz .LBB175_72
; %bb.40:
	s_or_b64 exec, exec, s[14:15]
	s_and_saveexec_b64 s[14:15], s[2:3]
	s_cbranch_execnz .LBB175_73
.LBB175_41:
	s_or_b64 exec, exec, s[14:15]
	s_and_saveexec_b64 s[14:15], s[4:5]
	s_cbranch_execnz .LBB175_74
.LBB175_42:
	s_or_b64 exec, exec, s[14:15]
	s_and_saveexec_b64 s[14:15], s[6:7]
	s_cbranch_execz .LBB175_44
.LBB175_43:
	v_bfe_u32 v7, v3, 16, 1
	s_movk_i32 s9, 0x7fff
	v_add3_u32 v7, v3, v7, s9
	v_cmp_o_f32_e32 vcc, v3, v3
	v_mov_b32_e32 v3, 0x7fc0
	v_add_u32_e32 v18, v18, v23
	v_mov_b32_e32 v19, 0
	v_cndmask_b32_sdwa v3, v3, v7, vcc dst_sel:DWORD dst_unused:UNUSED_PAD src0_sel:DWORD src1_sel:WORD_1
	s_waitcnt lgkmcnt(0)
	v_lshl_add_u64 v[18:19], v[18:19], 1, s[12:13]
	global_store_short v[18:19], v3, off
.LBB175_44:
	s_or_b64 exec, exec, s[14:15]
	v_add3_u32 v3, v1, s11, 40
	v_cmp_gt_u32_e32 vcc, s8, v3
	s_and_b64 exec, exec, vcc
	s_cbranch_execz .LBB175_62
; %bb.45:
	v_mul_lo_u32 v3, v3, s10
	s_and_saveexec_b64 s[14:15], s[0:1]
	s_cbranch_execnz .LBB175_75
; %bb.46:
	s_or_b64 exec, exec, s[14:15]
	s_and_saveexec_b64 s[14:15], s[2:3]
	s_cbranch_execnz .LBB175_76
.LBB175_47:
	s_or_b64 exec, exec, s[14:15]
	s_and_saveexec_b64 s[14:15], s[4:5]
	s_cbranch_execnz .LBB175_77
.LBB175_48:
	s_or_b64 exec, exec, s[14:15]
	s_and_saveexec_b64 s[14:15], s[6:7]
	s_cbranch_execz .LBB175_50
.LBB175_49:
	v_bfe_u32 v6, v2, 16, 1
	s_movk_i32 s9, 0x7fff
	v_add3_u32 v6, v2, v6, s9
	v_cmp_o_f32_e32 vcc, v2, v2
	v_mov_b32_e32 v2, 0x7fc0
	s_nop 0
	v_cndmask_b32_sdwa v6, v2, v6, vcc dst_sel:DWORD dst_unused:UNUSED_PAD src0_sel:DWORD src1_sel:WORD_1
	v_add_u32_e32 v2, v3, v23
	v_mov_b32_e32 v3, 0
	s_waitcnt lgkmcnt(0)
	v_lshl_add_u64 v[2:3], v[2:3], 1, s[12:13]
	global_store_short v[2:3], v6, off
.LBB175_50:
	s_or_b64 exec, exec, s[14:15]
	v_add3_u32 v2, v1, s11, 48
	v_cmp_gt_u32_e32 vcc, s8, v2
	s_and_b64 exec, exec, vcc
	s_cbranch_execz .LBB175_62
; %bb.51:
	v_mul_lo_u32 v2, v2, s10
	s_and_saveexec_b64 s[14:15], s[0:1]
	s_cbranch_execnz .LBB175_78
; %bb.52:
	s_or_b64 exec, exec, s[14:15]
	s_and_saveexec_b64 s[14:15], s[2:3]
	s_cbranch_execnz .LBB175_79
.LBB175_53:
	s_or_b64 exec, exec, s[14:15]
	s_and_saveexec_b64 s[14:15], s[4:5]
	s_cbranch_execnz .LBB175_80
.LBB175_54:
	s_or_b64 exec, exec, s[14:15]
	s_and_saveexec_b64 s[14:15], s[6:7]
	s_cbranch_execz .LBB175_56
.LBB175_55:
	v_bfe_u32 v3, v5, 16, 1
	s_movk_i32 s9, 0x7fff
	v_add3_u32 v3, v5, v3, s9
	v_cmp_o_f32_e32 vcc, v5, v5
	v_mov_b32_e32 v5, 0x7fc0
	v_add_u32_e32 v2, v2, v23
	v_cndmask_b32_sdwa v5, v5, v3, vcc dst_sel:DWORD dst_unused:UNUSED_PAD src0_sel:DWORD src1_sel:WORD_1
	v_mov_b32_e32 v3, 0
	s_waitcnt lgkmcnt(0)
	v_lshl_add_u64 v[2:3], v[2:3], 1, s[12:13]
	global_store_short v[2:3], v5, off
.LBB175_56:
	s_or_b64 exec, exec, s[14:15]
	v_add3_u32 v1, v1, s11, 56
	v_cmp_gt_u32_e32 vcc, s8, v1
	s_and_b64 exec, exec, vcc
	s_cbranch_execz .LBB175_62
; %bb.57:
	v_mul_lo_u32 v1, v1, s10
	s_and_saveexec_b64 s[8:9], s[0:1]
	s_cbranch_execnz .LBB175_81
; %bb.58:
	s_or_b64 exec, exec, s[8:9]
	s_and_saveexec_b64 s[0:1], s[2:3]
	s_cbranch_execnz .LBB175_82
.LBB175_59:
	s_or_b64 exec, exec, s[0:1]
	s_and_saveexec_b64 s[0:1], s[4:5]
	s_cbranch_execnz .LBB175_83
.LBB175_60:
	s_or_b64 exec, exec, s[0:1]
	s_and_b64 exec, exec, s[6:7]
	s_cbranch_execz .LBB175_62
.LBB175_61:
	v_bfe_u32 v0, v4, 16, 1
	s_movk_i32 s0, 0x7fff
	v_add3_u32 v0, v4, v0, s0
	v_cmp_o_f32_e32 vcc, v4, v4
	v_mov_b32_e32 v2, 0x7fc0
	s_nop 0
	v_cndmask_b32_sdwa v2, v2, v0, vcc dst_sel:DWORD dst_unused:UNUSED_PAD src0_sel:DWORD src1_sel:WORD_1
	v_add_u32_e32 v0, v1, v23
	v_mov_b32_e32 v1, 0
	s_waitcnt lgkmcnt(0)
	v_lshl_add_u64 v[0:1], v[0:1], 1, s[12:13]
	global_store_short v[0:1], v2, off
.LBB175_62:
	s_endpgm
.LBB175_63:
	v_bfe_u32 v34, v30, 16, 1
	s_movk_i32 s9, 0x7fff
	v_add3_u32 v34, v30, v34, s9
	v_cmp_o_f32_e32 vcc, v30, v30
	v_mov_b32_e32 v30, 0x7fc0
	v_mov_b32_e32 v35, 0
	v_cndmask_b32_sdwa v30, v30, v34, vcc dst_sel:DWORD dst_unused:UNUSED_PAD src0_sel:DWORD src1_sel:WORD_1
	v_add_u32_e32 v34, v19, v0
	s_waitcnt lgkmcnt(0)
	v_lshl_add_u64 v[34:35], v[34:35], 1, s[12:13]
	global_store_short v[34:35], v30, off
	s_or_b64 exec, exec, s[14:15]
	s_and_saveexec_b64 s[14:15], s[2:3]
	s_cbranch_execz .LBB175_23
.LBB175_64:
	v_bfe_u32 v30, v26, 16, 1
	s_movk_i32 s9, 0x7fff
	v_add3_u32 v30, v26, v30, s9
	v_cmp_o_f32_e32 vcc, v26, v26
	v_mov_b32_e32 v26, 0x7fc0
	v_add_u32_e32 v34, v19, v31
	v_mov_b32_e32 v35, 0
	v_cndmask_b32_sdwa v26, v26, v30, vcc dst_sel:DWORD dst_unused:UNUSED_PAD src0_sel:DWORD src1_sel:WORD_1
	s_waitcnt lgkmcnt(0)
	v_lshl_add_u64 v[34:35], v[34:35], 1, s[12:13]
	global_store_short v[34:35], v26, off
	s_or_b64 exec, exec, s[14:15]
	s_and_saveexec_b64 s[14:15], s[4:5]
	s_cbranch_execz .LBB175_24
.LBB175_65:
	v_bfe_u32 v26, v22, 16, 1
	s_movk_i32 s9, 0x7fff
	v_add3_u32 v26, v22, v26, s9
	v_cmp_o_f32_e32 vcc, v22, v22
	v_mov_b32_e32 v22, 0x7fc0
	v_add_u32_e32 v34, v19, v27
	v_mov_b32_e32 v35, 0
	v_cndmask_b32_sdwa v22, v22, v26, vcc dst_sel:DWORD dst_unused:UNUSED_PAD src0_sel:DWORD src1_sel:WORD_1
	s_waitcnt lgkmcnt(0)
	v_lshl_add_u64 v[34:35], v[34:35], 1, s[12:13]
	global_store_short v[34:35], v22, off
	s_or_b64 exec, exec, s[14:15]
	s_and_saveexec_b64 s[14:15], s[6:7]
	s_cbranch_execnz .LBB175_25
	s_branch .LBB175_26
.LBB175_66:
	v_bfe_u32 v19, v33, 16, 1
	s_movk_i32 s9, 0x7fff
	v_add3_u32 v19, v33, v19, s9
	v_cmp_o_f32_e32 vcc, v33, v33
	v_mov_b32_e32 v22, 0x7fc0
	v_add_u32_e32 v34, v18, v0
	v_mov_b32_e32 v35, 0
	v_cndmask_b32_sdwa v19, v22, v19, vcc dst_sel:DWORD dst_unused:UNUSED_PAD src0_sel:DWORD src1_sel:WORD_1
	s_waitcnt lgkmcnt(0)
	v_lshl_add_u64 v[34:35], v[34:35], 1, s[12:13]
	global_store_short v[34:35], v19, off
	s_or_b64 exec, exec, s[14:15]
	s_and_saveexec_b64 s[14:15], s[2:3]
	s_cbranch_execz .LBB175_29
.LBB175_67:
	v_bfe_u32 v19, v29, 16, 1
	s_movk_i32 s9, 0x7fff
	v_add3_u32 v19, v29, v19, s9
	v_cmp_o_f32_e32 vcc, v29, v29
	v_mov_b32_e32 v22, 0x7fc0
	v_add_u32_e32 v34, v18, v31
	v_mov_b32_e32 v35, 0
	v_cndmask_b32_sdwa v19, v22, v19, vcc dst_sel:DWORD dst_unused:UNUSED_PAD src0_sel:DWORD src1_sel:WORD_1
	s_waitcnt lgkmcnt(0)
	v_lshl_add_u64 v[34:35], v[34:35], 1, s[12:13]
	global_store_short v[34:35], v19, off
	s_or_b64 exec, exec, s[14:15]
	s_and_saveexec_b64 s[14:15], s[4:5]
	s_cbranch_execz .LBB175_30
.LBB175_68:
	v_bfe_u32 v19, v25, 16, 1
	s_movk_i32 s9, 0x7fff
	v_add3_u32 v19, v25, v19, s9
	v_cmp_o_f32_e32 vcc, v25, v25
	v_mov_b32_e32 v22, 0x7fc0
	v_add_u32_e32 v34, v18, v27
	v_mov_b32_e32 v35, 0
	v_cndmask_b32_sdwa v19, v22, v19, vcc dst_sel:DWORD dst_unused:UNUSED_PAD src0_sel:DWORD src1_sel:WORD_1
	s_waitcnt lgkmcnt(0)
	v_lshl_add_u64 v[34:35], v[34:35], 1, s[12:13]
	global_store_short v[34:35], v19, off
	s_or_b64 exec, exec, s[14:15]
	s_and_saveexec_b64 s[14:15], s[6:7]
	s_cbranch_execnz .LBB175_31
	s_branch .LBB175_32
.LBB175_69:
	v_bfe_u32 v19, v32, 16, 1
	s_movk_i32 s9, 0x7fff
	v_add3_u32 v19, v32, v19, s9
	v_cmp_o_f32_e32 vcc, v32, v32
	v_mov_b32_e32 v21, 0x7fc0
	v_add_u32_e32 v32, v18, v0
	v_mov_b32_e32 v33, 0
	v_cndmask_b32_sdwa v19, v21, v19, vcc dst_sel:DWORD dst_unused:UNUSED_PAD src0_sel:DWORD src1_sel:WORD_1
	s_waitcnt lgkmcnt(0)
	v_lshl_add_u64 v[32:33], v[32:33], 1, s[12:13]
	global_store_short v[32:33], v19, off
	s_or_b64 exec, exec, s[14:15]
	s_and_saveexec_b64 s[14:15], s[2:3]
	s_cbranch_execz .LBB175_35
.LBB175_70:
	v_bfe_u32 v19, v28, 16, 1
	s_movk_i32 s9, 0x7fff
	v_add3_u32 v19, v28, v19, s9
	v_cmp_o_f32_e32 vcc, v28, v28
	v_mov_b32_e32 v21, 0x7fc0
	v_add_u32_e32 v28, v18, v31
	v_mov_b32_e32 v29, 0
	v_cndmask_b32_sdwa v19, v21, v19, vcc dst_sel:DWORD dst_unused:UNUSED_PAD src0_sel:DWORD src1_sel:WORD_1
	s_waitcnt lgkmcnt(0)
	v_lshl_add_u64 v[28:29], v[28:29], 1, s[12:13]
	global_store_short v[28:29], v19, off
	s_or_b64 exec, exec, s[14:15]
	s_and_saveexec_b64 s[14:15], s[4:5]
	s_cbranch_execz .LBB175_36
.LBB175_71:
	v_bfe_u32 v19, v24, 16, 1
	s_movk_i32 s9, 0x7fff
	v_add3_u32 v19, v24, v19, s9
	v_cmp_o_f32_e32 vcc, v24, v24
	v_mov_b32_e32 v21, 0x7fc0
	v_add_u32_e32 v24, v18, v27
	v_mov_b32_e32 v25, 0
	v_cndmask_b32_sdwa v19, v21, v19, vcc dst_sel:DWORD dst_unused:UNUSED_PAD src0_sel:DWORD src1_sel:WORD_1
	s_waitcnt lgkmcnt(0)
	v_lshl_add_u64 v[24:25], v[24:25], 1, s[12:13]
	global_store_short v[24:25], v19, off
	s_or_b64 exec, exec, s[14:15]
	s_and_saveexec_b64 s[14:15], s[6:7]
	s_cbranch_execnz .LBB175_37
	s_branch .LBB175_38
.LBB175_72:
	v_bfe_u32 v19, v15, 16, 1
	s_movk_i32 s9, 0x7fff
	v_add3_u32 v19, v15, v19, s9
	v_cmp_o_f32_e32 vcc, v15, v15
	v_mov_b32_e32 v15, 0x7fc0
	v_add_u32_e32 v20, v18, v0
	v_mov_b32_e32 v21, 0
	v_cndmask_b32_sdwa v15, v15, v19, vcc dst_sel:DWORD dst_unused:UNUSED_PAD src0_sel:DWORD src1_sel:WORD_1
	s_waitcnt lgkmcnt(0)
	v_lshl_add_u64 v[20:21], v[20:21], 1, s[12:13]
	global_store_short v[20:21], v15, off
	s_or_b64 exec, exec, s[14:15]
	s_and_saveexec_b64 s[14:15], s[2:3]
	s_cbranch_execz .LBB175_41
.LBB175_73:
	v_bfe_u32 v15, v11, 16, 1
	s_movk_i32 s9, 0x7fff
	v_add3_u32 v15, v11, v15, s9
	v_cmp_o_f32_e32 vcc, v11, v11
	v_mov_b32_e32 v11, 0x7fc0
	v_add_u32_e32 v20, v18, v31
	v_mov_b32_e32 v21, 0
	v_cndmask_b32_sdwa v11, v11, v15, vcc dst_sel:DWORD dst_unused:UNUSED_PAD src0_sel:DWORD src1_sel:WORD_1
	s_waitcnt lgkmcnt(0)
	v_lshl_add_u64 v[20:21], v[20:21], 1, s[12:13]
	global_store_short v[20:21], v11, off
	s_or_b64 exec, exec, s[14:15]
	s_and_saveexec_b64 s[14:15], s[4:5]
	s_cbranch_execz .LBB175_42
.LBB175_74:
	v_bfe_u32 v11, v7, 16, 1
	s_movk_i32 s9, 0x7fff
	v_add3_u32 v11, v7, v11, s9
	v_cmp_o_f32_e32 vcc, v7, v7
	v_mov_b32_e32 v7, 0x7fc0
	v_add_u32_e32 v20, v18, v27
	v_mov_b32_e32 v21, 0
	v_cndmask_b32_sdwa v7, v7, v11, vcc dst_sel:DWORD dst_unused:UNUSED_PAD src0_sel:DWORD src1_sel:WORD_1
	s_waitcnt lgkmcnt(0)
	v_lshl_add_u64 v[20:21], v[20:21], 1, s[12:13]
	global_store_short v[20:21], v7, off
	s_or_b64 exec, exec, s[14:15]
	s_and_saveexec_b64 s[14:15], s[6:7]
	s_cbranch_execnz .LBB175_43
	s_branch .LBB175_44
.LBB175_75:
	v_bfe_u32 v7, v14, 16, 1
	s_movk_i32 s9, 0x7fff
	v_add3_u32 v7, v14, v7, s9
	v_cmp_o_f32_e32 vcc, v14, v14
	v_mov_b32_e32 v11, 0x7fc0
	v_add_u32_e32 v14, v3, v0
	v_mov_b32_e32 v15, 0
	v_cndmask_b32_sdwa v7, v11, v7, vcc dst_sel:DWORD dst_unused:UNUSED_PAD src0_sel:DWORD src1_sel:WORD_1
	s_waitcnt lgkmcnt(0)
	v_lshl_add_u64 v[14:15], v[14:15], 1, s[12:13]
	global_store_short v[14:15], v7, off
	s_or_b64 exec, exec, s[14:15]
	s_and_saveexec_b64 s[14:15], s[2:3]
	s_cbranch_execz .LBB175_47
.LBB175_76:
	v_bfe_u32 v7, v10, 16, 1
	s_movk_i32 s9, 0x7fff
	v_add3_u32 v7, v10, v7, s9
	v_cmp_o_f32_e32 vcc, v10, v10
	v_mov_b32_e32 v10, 0x7fc0
	v_mov_b32_e32 v11, 0
	v_cndmask_b32_sdwa v7, v10, v7, vcc dst_sel:DWORD dst_unused:UNUSED_PAD src0_sel:DWORD src1_sel:WORD_1
	v_add_u32_e32 v10, v3, v31
	s_waitcnt lgkmcnt(0)
	v_lshl_add_u64 v[10:11], v[10:11], 1, s[12:13]
	global_store_short v[10:11], v7, off
	s_or_b64 exec, exec, s[14:15]
	s_and_saveexec_b64 s[14:15], s[4:5]
	s_cbranch_execz .LBB175_48
.LBB175_77:
	v_bfe_u32 v7, v6, 16, 1
	s_movk_i32 s9, 0x7fff
	v_add3_u32 v7, v6, v7, s9
	v_cmp_o_f32_e32 vcc, v6, v6
	v_mov_b32_e32 v6, 0x7fc0
	s_nop 0
	v_cndmask_b32_sdwa v10, v6, v7, vcc dst_sel:DWORD dst_unused:UNUSED_PAD src0_sel:DWORD src1_sel:WORD_1
	v_add_u32_e32 v6, v3, v27
	v_mov_b32_e32 v7, 0
	s_waitcnt lgkmcnt(0)
	v_lshl_add_u64 v[6:7], v[6:7], 1, s[12:13]
	global_store_short v[6:7], v10, off
	s_or_b64 exec, exec, s[14:15]
	s_and_saveexec_b64 s[14:15], s[6:7]
	s_cbranch_execnz .LBB175_49
	s_branch .LBB175_50
.LBB175_78:
	v_bfe_u32 v3, v17, 16, 1
	s_movk_i32 s9, 0x7fff
	v_add3_u32 v3, v17, v3, s9
	v_cmp_o_f32_e32 vcc, v17, v17
	v_mov_b32_e32 v6, 0x7fc0
	v_mov_b32_e32 v7, 0
	v_cndmask_b32_sdwa v3, v6, v3, vcc dst_sel:DWORD dst_unused:UNUSED_PAD src0_sel:DWORD src1_sel:WORD_1
	v_add_u32_e32 v6, v2, v0
	s_waitcnt lgkmcnt(0)
	v_lshl_add_u64 v[6:7], v[6:7], 1, s[12:13]
	global_store_short v[6:7], v3, off
	s_or_b64 exec, exec, s[14:15]
	s_and_saveexec_b64 s[14:15], s[2:3]
	s_cbranch_execz .LBB175_53
.LBB175_79:
	v_bfe_u32 v3, v13, 16, 1
	s_movk_i32 s9, 0x7fff
	v_add3_u32 v3, v13, v3, s9
	v_cmp_o_f32_e32 vcc, v13, v13
	v_mov_b32_e32 v6, 0x7fc0
	v_mov_b32_e32 v7, 0
	v_cndmask_b32_sdwa v3, v6, v3, vcc dst_sel:DWORD dst_unused:UNUSED_PAD src0_sel:DWORD src1_sel:WORD_1
	v_add_u32_e32 v6, v2, v31
	s_waitcnt lgkmcnt(0)
	v_lshl_add_u64 v[6:7], v[6:7], 1, s[12:13]
	global_store_short v[6:7], v3, off
	s_or_b64 exec, exec, s[14:15]
	s_and_saveexec_b64 s[14:15], s[4:5]
	s_cbranch_execz .LBB175_54
.LBB175_80:
	v_bfe_u32 v3, v9, 16, 1
	s_movk_i32 s9, 0x7fff
	v_add3_u32 v3, v9, v3, s9
	v_cmp_o_f32_e32 vcc, v9, v9
	v_mov_b32_e32 v6, 0x7fc0
	v_mov_b32_e32 v7, 0
	v_cndmask_b32_sdwa v3, v6, v3, vcc dst_sel:DWORD dst_unused:UNUSED_PAD src0_sel:DWORD src1_sel:WORD_1
	v_add_u32_e32 v6, v2, v27
	s_waitcnt lgkmcnt(0)
	v_lshl_add_u64 v[6:7], v[6:7], 1, s[12:13]
	global_store_short v[6:7], v3, off
	s_or_b64 exec, exec, s[14:15]
	s_and_saveexec_b64 s[14:15], s[6:7]
	s_cbranch_execnz .LBB175_55
	s_branch .LBB175_56
.LBB175_81:
	v_bfe_u32 v2, v16, 16, 1
	s_movk_i32 s0, 0x7fff
	v_add3_u32 v2, v16, v2, s0
	v_cmp_o_f32_e32 vcc, v16, v16
	v_mov_b32_e32 v3, 0x7fc0
	s_nop 0
	v_cndmask_b32_sdwa v5, v3, v2, vcc dst_sel:DWORD dst_unused:UNUSED_PAD src0_sel:DWORD src1_sel:WORD_1
	v_add_u32_e32 v2, v1, v0
	v_mov_b32_e32 v3, 0
	s_waitcnt lgkmcnt(0)
	v_lshl_add_u64 v[2:3], v[2:3], 1, s[12:13]
	global_store_short v[2:3], v5, off
	s_or_b64 exec, exec, s[8:9]
	s_and_saveexec_b64 s[0:1], s[2:3]
	s_cbranch_execz .LBB175_59
.LBB175_82:
	v_bfe_u32 v0, v12, 16, 1
	s_movk_i32 s2, 0x7fff
	v_add3_u32 v0, v12, v0, s2
	v_cmp_o_f32_e32 vcc, v12, v12
	v_mov_b32_e32 v2, 0x7fc0
	v_mov_b32_e32 v3, 0
	v_cndmask_b32_sdwa v0, v2, v0, vcc dst_sel:DWORD dst_unused:UNUSED_PAD src0_sel:DWORD src1_sel:WORD_1
	v_add_u32_e32 v2, v1, v31
	s_waitcnt lgkmcnt(0)
	v_lshl_add_u64 v[2:3], v[2:3], 1, s[12:13]
	global_store_short v[2:3], v0, off
	s_or_b64 exec, exec, s[0:1]
	s_and_saveexec_b64 s[0:1], s[4:5]
	s_cbranch_execz .LBB175_60
.LBB175_83:
	v_bfe_u32 v0, v8, 16, 1
	s_movk_i32 s2, 0x7fff
	v_add3_u32 v0, v8, v0, s2
	v_cmp_o_f32_e32 vcc, v8, v8
	v_mov_b32_e32 v2, 0x7fc0
	v_mov_b32_e32 v3, 0
	v_cndmask_b32_sdwa v0, v2, v0, vcc dst_sel:DWORD dst_unused:UNUSED_PAD src0_sel:DWORD src1_sel:WORD_1
	v_add_u32_e32 v2, v1, v27
	s_waitcnt lgkmcnt(0)
	v_lshl_add_u64 v[2:3], v[2:3], 1, s[12:13]
	global_store_short v[2:3], v0, off
	s_or_b64 exec, exec, s[0:1]
	s_and_b64 exec, exec, s[6:7]
	s_cbranch_execnz .LBB175_61
	s_branch .LBB175_62
	.section	.rodata,"a",@progbits
	.p2align	6, 0x0
	.amdhsa_kernel _ZL12mul_mat_q6_KIN3c108BFloat16ELb0EEvPKvS3_PT_iiiii
		.amdhsa_group_segment_fixed_size 45136
		.amdhsa_private_segment_fixed_size 196
		.amdhsa_kernarg_size 44
		.amdhsa_user_sgpr_count 2
		.amdhsa_user_sgpr_dispatch_ptr 0
		.amdhsa_user_sgpr_queue_ptr 0
		.amdhsa_user_sgpr_kernarg_segment_ptr 1
		.amdhsa_user_sgpr_dispatch_id 0
		.amdhsa_user_sgpr_kernarg_preload_length 0
		.amdhsa_user_sgpr_kernarg_preload_offset 0
		.amdhsa_user_sgpr_private_segment_size 0
		.amdhsa_uses_dynamic_stack 0
		.amdhsa_enable_private_segment 1
		.amdhsa_system_sgpr_workgroup_id_x 1
		.amdhsa_system_sgpr_workgroup_id_y 1
		.amdhsa_system_sgpr_workgroup_id_z 0
		.amdhsa_system_sgpr_workgroup_info 0
		.amdhsa_system_vgpr_workitem_id 1
		.amdhsa_next_free_vgpr 256
		.amdhsa_next_free_sgpr 96
		.amdhsa_accum_offset 256
		.amdhsa_reserve_vcc 1
		.amdhsa_float_round_mode_32 0
		.amdhsa_float_round_mode_16_64 0
		.amdhsa_float_denorm_mode_32 3
		.amdhsa_float_denorm_mode_16_64 3
		.amdhsa_dx10_clamp 1
		.amdhsa_ieee_mode 1
		.amdhsa_fp16_overflow 0
		.amdhsa_tg_split 0
		.amdhsa_exception_fp_ieee_invalid_op 0
		.amdhsa_exception_fp_denorm_src 0
		.amdhsa_exception_fp_ieee_div_zero 0
		.amdhsa_exception_fp_ieee_overflow 0
		.amdhsa_exception_fp_ieee_underflow 0
		.amdhsa_exception_fp_ieee_inexact 0
		.amdhsa_exception_int_div_zero 0
	.end_amdhsa_kernel
	.section	.text._ZL12mul_mat_q6_KIN3c108BFloat16ELb0EEvPKvS3_PT_iiiii,"axG",@progbits,_ZL12mul_mat_q6_KIN3c108BFloat16ELb0EEvPKvS3_PT_iiiii,comdat
.Lfunc_end175:
	.size	_ZL12mul_mat_q6_KIN3c108BFloat16ELb0EEvPKvS3_PT_iiiii, .Lfunc_end175-_ZL12mul_mat_q6_KIN3c108BFloat16ELb0EEvPKvS3_PT_iiiii
                                        ; -- End function
	.set _ZL12mul_mat_q6_KIN3c108BFloat16ELb0EEvPKvS3_PT_iiiii.num_vgpr, 256
	.set _ZL12mul_mat_q6_KIN3c108BFloat16ELb0EEvPKvS3_PT_iiiii.num_agpr, 0
	.set _ZL12mul_mat_q6_KIN3c108BFloat16ELb0EEvPKvS3_PT_iiiii.numbered_sgpr, 22
	.set _ZL12mul_mat_q6_KIN3c108BFloat16ELb0EEvPKvS3_PT_iiiii.num_named_barrier, 0
	.set _ZL12mul_mat_q6_KIN3c108BFloat16ELb0EEvPKvS3_PT_iiiii.private_seg_size, 196
	.set _ZL12mul_mat_q6_KIN3c108BFloat16ELb0EEvPKvS3_PT_iiiii.uses_vcc, 1
	.set _ZL12mul_mat_q6_KIN3c108BFloat16ELb0EEvPKvS3_PT_iiiii.uses_flat_scratch, 0
	.set _ZL12mul_mat_q6_KIN3c108BFloat16ELb0EEvPKvS3_PT_iiiii.has_dyn_sized_stack, 0
	.set _ZL12mul_mat_q6_KIN3c108BFloat16ELb0EEvPKvS3_PT_iiiii.has_recursion, 0
	.set _ZL12mul_mat_q6_KIN3c108BFloat16ELb0EEvPKvS3_PT_iiiii.has_indirect_call, 0
	.section	.AMDGPU.csdata,"",@progbits
; Kernel info:
; codeLenInByte = 20532
; TotalNumSgprs: 28
; NumVgprs: 256
; NumAgprs: 0
; TotalNumVgprs: 256
; ScratchSize: 196
; MemoryBound: 0
; FloatMode: 240
; IeeeMode: 1
; LDSByteSize: 45136 bytes/workgroup (compile time only)
; SGPRBlocks: 12
; VGPRBlocks: 31
; NumSGPRsForWavesPerEU: 102
; NumVGPRsForWavesPerEU: 256
; AccumOffset: 256
; Occupancy: 2
; WaveLimiterHint : 0
; COMPUTE_PGM_RSRC2:SCRATCH_EN: 1
; COMPUTE_PGM_RSRC2:USER_SGPR: 2
; COMPUTE_PGM_RSRC2:TRAP_HANDLER: 0
; COMPUTE_PGM_RSRC2:TGID_X_EN: 1
; COMPUTE_PGM_RSRC2:TGID_Y_EN: 1
; COMPUTE_PGM_RSRC2:TGID_Z_EN: 0
; COMPUTE_PGM_RSRC2:TIDIG_COMP_CNT: 1
; COMPUTE_PGM_RSRC3_GFX90A:ACCUM_OFFSET: 63
; COMPUTE_PGM_RSRC3_GFX90A:TG_SPLIT: 0
	.section	.text._ZL12mul_mat_q6_KIN3c108BFloat16ELb1EEvPKvS3_PT_iiiii,"axG",@progbits,_ZL12mul_mat_q6_KIN3c108BFloat16ELb1EEvPKvS3_PT_iiiii,comdat
	.globl	_ZL12mul_mat_q6_KIN3c108BFloat16ELb1EEvPKvS3_PT_iiiii ; -- Begin function _ZL12mul_mat_q6_KIN3c108BFloat16ELb1EEvPKvS3_PT_iiiii
	.p2align	8
	.type	_ZL12mul_mat_q6_KIN3c108BFloat16ELb1EEvPKvS3_PT_iiiii,@function
_ZL12mul_mat_q6_KIN3c108BFloat16ELb1EEvPKvS3_PT_iiiii: ; @_ZL12mul_mat_q6_KIN3c108BFloat16ELb1EEvPKvS3_PT_iiiii
; %bb.0:
	s_load_dwordx4 s[8:11], s[0:1], 0x18
	s_load_dword s14, s[0:1], 0x28
	s_lshl_b32 s15, s3, 6
	v_bfe_u32 v35, v0, 10, 10
	s_waitcnt lgkmcnt(0)
	s_cmpk_gt_i32 s8, 0xff
	s_cbranch_scc1 .LBB176_2
; %bb.1:
	v_bfe_u32 v1, v0, 10, 10
	v_and_b32_e32 v34, 0x3ff, v0
	v_add_u32_e32 v36, s15, v1
	s_mov_b64 s[4:5], 0
	s_branch .LBB176_3
.LBB176_2:
	s_mov_b64 s[4:5], -1
                                        ; implicit-def: $vgpr1
                                        ; implicit-def: $vgpr34
                                        ; implicit-def: $vgpr36
.LBB176_3:
	s_load_dwordx2 s[12:13], s[0:1], 0x10
	s_lshl_b32 s6, s2, 7
	v_mov_b32_e32 v5, 0
	s_andn2_b64 vcc, exec, s[4:5]
	v_mov_b32_e32 v4, 0
	v_mov_b32_e32 v3, 0
	;; [unrolled: 1-line block ×31, first 2 shown]
	s_cbranch_vccnz .LBB176_11
; %bb.4:
	s_ashr_i32 s4, s8, 31
	s_load_dwordx4 s[0:3], s[0:1], 0x0
	s_lshr_b32 s4, s4, 24
	s_add_i32 s4, s8, s4
	s_ashr_i32 s5, s11, 31
	s_ashr_i32 s4, s4, 8
	s_lshr_b32 s5, s5, 27
	s_add_i32 s5, s11, s5
	s_mul_i32 s7, s4, s6
	v_lshrrev_b32_e32 v3, 1, v0
	v_and_b32_e32 v4, 7, v0
	s_ashr_i32 s11, s5, 5
	s_mul_hi_i32 s8, s7, 0xd2
	s_mulk_i32 s7, 0xd2
	v_and_b32_e32 v1, 31, v0
	v_and_or_b32 v3, v3, 8, v4
	s_waitcnt lgkmcnt(0)
	s_add_u32 s7, s0, s7
	v_lshlrev_b32_e32 v54, 2, v3
	v_add_u16_e32 v3, -16, v1
	v_cmp_gt_u32_e32 vcc, 16, v1
	s_addc_u32 s8, s1, s8
	s_not_b32 s0, s6
	v_lshlrev_b32_e32 v2, 1, v1
	v_lshlrev_b32_e32 v52, 2, v1
	v_cndmask_b32_e32 v1, v3, v1, vcc
	s_add_i32 s18, s9, s0
	v_cmp_lt_u16_e64 s[0:1], 7, v1
	v_add_u32_e32 v1, 0xe0, v2
	v_cndmask_b32_e32 v1, v1, v2, vcc
	v_and_b32_e32 v1, 0xfe, v1
	v_sub_u32_e32 v1, v2, v1
	v_and_b32_e32 v2, 15, v0
	v_min_i32_e32 v3, s18, v35
	v_cndmask_b32_e64 v61, 0, 2, s[0:1]
	v_mul_lo_u32 v4, v3, s4
	v_add_lshl_u32 v2, v1, v2, 2
	s_movk_i32 s0, 0x104
	scratch_store_dwordx2 off, v[4:5], off offset:16 ; 8-byte Folded Spill
	v_mad_u64_u32 v[4:5], s[16:17], v3, s0, v[2:3]
	v_add_u32_e32 v3, 8, v35
	v_min_i32_e32 v1, s18, v3
	scratch_store_dwordx2 off, v[4:5], off offset:24 ; 8-byte Folded Spill
	v_mul_lo_u32 v4, v1, s4
	v_add_u32_e32 v8, 16, v35
	scratch_store_dwordx2 off, v[4:5], off offset:32 ; 8-byte Folded Spill
	v_mad_u64_u32 v[4:5], s[16:17], v1, s0, v[2:3]
	v_min_i32_e32 v1, s18, v8
	scratch_store_dwordx2 off, v[4:5], off offset:40 ; 8-byte Folded Spill
	v_mul_lo_u32 v4, v1, s4
	v_add_u32_e32 v9, 24, v35
	scratch_store_dwordx2 off, v[4:5], off offset:48 ; 8-byte Folded Spill
	v_mad_u64_u32 v[4:5], s[16:17], v1, s0, v[2:3]
	;; [unrolled: 6-line block ×6, first 2 shown]
	v_min_i32_e32 v1, s18, v13
	scratch_store_dwordx2 off, v[4:5], off offset:120 ; 8-byte Folded Spill
	v_mul_lo_u32 v4, v1, s4
	scratch_store_dwordx2 off, v[4:5], off offset:128 ; 8-byte Folded Spill
	v_mad_u64_u32 v[4:5], s[16:17], v1, s0, v[2:3]
	v_add_u32_e32 v1, 64, v35
	v_min_i32_e32 v1, s18, v1
	scratch_store_dwordx2 off, v[4:5], off offset:136 ; 8-byte Folded Spill
	v_mul_lo_u32 v4, v1, s4
	scratch_store_dwordx2 off, v[4:5], off offset:144 ; 8-byte Folded Spill
	v_mad_u64_u32 v[4:5], s[16:17], v1, s0, v[2:3]
	v_add_u32_e32 v1, 0x48, v35
	;; [unrolled: 6-line block ×8, first 2 shown]
	v_min_i32_e32 v1, s18, v1
	v_and_b32_e32 v27, 0x3ff, v0
	scratch_store_dwordx2 off, v[4:5], off offset:248 ; 8-byte Folded Spill
	v_mul_lo_u32 v4, v1, s4
	v_lshlrev_b32_e32 v63, 5, v35
	scratch_store_dwordx2 off, v[4:5], off offset:256 ; 8-byte Folded Spill
	v_mad_u64_u32 v[4:5], s[16:17], v1, s0, v[2:3]
	v_add_u32_e32 v1, v63, v27
	v_and_b32_e32 v1, 0x7f, v1
	v_min_i32_e32 v1, s18, v1
	v_mul_lo_u32 v2, v1, s4
	scratch_store_dwordx2 off, v[2:3], off offset:272 ; 8-byte Folded Spill
	v_ashrrev_i32_e32 v2, 31, v1
	v_lshrrev_b32_e32 v2, 27, v2
	v_add_u32_e32 v2, v1, v2
	v_ashrrev_i32_e32 v2, 5, v2
	v_lshlrev_b32_e32 v2, 2, v2
	v_lshlrev_b32_e32 v1, 2, v1
	s_mov_b32 s1, 0xae40
	v_add3_u32 v1, v2, v1, s1
	scratch_store_dword off, v1, off offset:280 ; 4-byte Folded Spill
	v_bfe_u32 v1, v0, 2, 8
	v_lshl_add_u32 v1, v35, 3, v1
	scratch_store_dwordx2 off, v[4:5], off offset:264 ; 8-byte Folded Spill
	v_and_b32_e32 v4, 0x7f, v1
	v_min_i32_e32 v4, s18, v4
	v_ashrrev_i32_e32 v5, 31, v4
	v_lshrrev_b32_e32 v5, 29, v5
	v_mul_lo_u32 v6, v4, s4
	v_add_u32_e32 v5, v4, v5
	v_lshlrev_b32_e32 v15, 4, v4
	v_mov_b32_e32 v4, 0x7f
	v_and_b32_e32 v2, 3, v0
	v_ashrrev_i32_e32 v5, 3, v5
	v_bitop3_b32 v4, v1, 64, v4 bitop3:0x6c
	v_lshlrev_b32_e32 v122, 2, v2
	v_lshlrev_b32_e32 v5, 2, v5
	s_mov_b32 s16, 0xa200
	v_min_i32_e32 v4, s18, v4
	v_add3_u32 v14, v5, v122, s16
	v_ashrrev_i32_e32 v5, 31, v4
	v_lshrrev_b32_e32 v5, 29, v5
	v_add_u32_e32 v5, v4, v5
	v_ashrrev_i32_e32 v5, 3, v5
	v_and_b32_e32 v1, 63, v1
	v_lshlrev_b32_e32 v5, 2, v5
	v_or_b32_e32 v19, s15, v1
	v_lshl_or_b32 v1, v1, 4, v122
	v_add3_u32 v16, v5, v122, s16
	v_add_u32_e32 v25, s15, v35
	s_add_i32 s16, s10, -1
	v_add_u32_e32 v1, 0xaa40, v1
	v_bfe_u32 v26, v0, 5, 5
	scratch_store_dwordx2 off, v[6:7], off offset:284 ; 8-byte Folded Spill
	v_mul_lo_u32 v6, v4, s4
	v_lshlrev_b32_e32 v17, 4, v4
	v_cvt_f64_i32_e32 v[4:5], s16
	scratch_store_dword off, v1, off        ; 4-byte Folded Spill
	v_bfe_u32 v71, v0, 3, 7
	v_cvt_f64_u32_e32 v[0:1], v25
	v_min_f64 v[0:1], v[0:1], v[4:5]
	v_min_i32_e32 v19, s16, v19
	v_cvt_i32_f64_e32 v0, v[0:1]
	v_mad_u64_u32 v[20:21], s[16:17], v19, s11, v[2:3]
	v_mul_lo_u32 v0, s11, v0
	scratch_store_dwordx2 off, v[6:7], off offset:292 ; 8-byte Folded Spill
	scratch_store_dwordx2 off, v[20:21], off offset:300 ; 8-byte Folded Spill
	scratch_store_dword off, v0, off offset:4 ; 4-byte Folded Spill
	scratch_store_dword off, v35, off offset:320 ; 4-byte Folded Spill
	v_add_u32_e32 v0, 8, v25
	v_cvt_f64_u32_e32 v[0:1], v0
	v_min_f64 v[0:1], v[0:1], v[4:5]
	v_cvt_i32_f64_e32 v0, v[0:1]
	v_mul_lo_u32 v75, s11, v0
	v_add_u32_e32 v0, 16, v25
	v_cvt_f64_u32_e32 v[0:1], v0
	v_min_f64 v[0:1], v[0:1], v[4:5]
	v_cvt_i32_f64_e32 v0, v[0:1]
	v_mul_lo_u32 v77, s11, v0
	;; [unrolled: 5-line block ×7, first 2 shown]
	v_mov_b32_e32 v0, v26
	v_lshlrev_b32_e32 v67, 2, v27
	scratch_store_dwordx2 off, v[0:1], off offset:8 ; 8-byte Folded Spill
	v_lshlrev_b32_e32 v0, 2, v26
	v_add3_u32 v73, v0, v67, s1
	v_add_u32_e32 v0, 32, v27
	v_lshrrev_b32_e32 v91, 3, v0
	v_lshlrev_b32_e32 v5, 2, v0
	v_and_b32_e32 v0, 60, v91
	v_add3_u32 v93, v67, v0, s1
	v_add_u32_e32 v0, 64, v27
	v_lshrrev_b32_e32 v95, 3, v0
	scratch_store_dword off, v25, off offset:324 ; 4-byte Folded Spill
	v_lshlrev_b32_e32 v25, 2, v0
	v_and_b32_e32 v0, 60, v95
	v_add3_u32 v50, v67, v0, s1
	v_add_u32_e32 v0, 0x60, v27
	v_lshrrev_b32_e32 v99, 3, v0
	v_lshlrev_b32_e32 v26, 2, v0
	v_and_b32_e32 v0, 60, v99
	v_add3_u32 v101, v67, v0, s1
	v_mov_b32_e32 v0, 0x2080
	v_mov_b32_e32 v53, 0
	v_lshlrev_b32_e32 v19, 7, v3
	v_lshlrev_b32_e32 v103, 5, v3
	v_mad_u32_u24 v119, v27, s0, v0
	v_mov_b32_e32 v0, 0x4100
	v_add_u32_e32 v3, v14, v15
	v_and_b32_e32 v6, 28, v67
	v_mov_b32_e32 v7, v53
	v_or_b32_e32 v18, 0x8200, v52
	v_lshlrev_b32_e32 v2, 7, v35
	v_lshlrev_b32_e32 v20, 7, v8
	v_lshlrev_b32_e32 v21, 7, v9
	v_lshlrev_b32_e32 v22, 7, v10
	v_lshlrev_b32_e32 v23, 7, v11
	v_lshlrev_b32_e32 v24, 7, v12
	v_lshlrev_b32_e32 v4, 7, v13
	v_mad_u32_u24 v121, v27, s0, v0
	v_mov_b32_e32 v0, 0x6180
	v_mov_b32_e32 v30, v53
	;; [unrolled: 1-line block ×3, first 2 shown]
	scratch_store_dword off, v3, off offset:308 ; 4-byte Folded Spill
	v_add_u32_e32 v3, v16, v17
	v_lshlrev_b32_e32 v105, 5, v8
	v_lshlrev_b32_e32 v107, 5, v9
	;; [unrolled: 1-line block ×6, first 2 shown]
	v_mul_u32_u24_e32 v117, 0x104, v27
	scratch_store_dword off, v27, off offset:316 ; 4-byte Folded Spill
	v_mad_u32_u24 v125, v27, s0, v0
	v_lshl_add_u64 v[0:1], s[2:3], 0, v[6:7]
	v_mov_b32_e32 v32, v53
	v_mov_b32_e32 v33, v53
	scratch_store_dword off, v3, off offset:312 ; 4-byte Folded Spill
	v_add_u32_e32 v218, v18, v2
	v_add_u32_e32 v219, v18, v19
	;; [unrolled: 1-line block ×8, first 2 shown]
	v_lshlrev_b32_e32 v226, 2, v5
	v_lshlrev_b32_e32 v227, 2, v25
	;; [unrolled: 1-line block ×3, first 2 shown]
	v_mov_b64_e32 v[14:15], v[30:31]
	v_mov_b64_e32 v[26:27], v[30:31]
	;; [unrolled: 1-line block ×7, first 2 shown]
	s_movk_i32 s5, 0xd2
	v_mov_b32_e32 v55, v53
	s_mov_b32 s9, 0
	v_mov_b32_e32 v123, v53
	s_mov_b32 s11, 0x30303030
	s_movk_i32 s16, 0xe000
	s_movk_i32 s17, 0x3f00
	v_mov_b64_e32 v[16:17], v[32:33]
	v_mov_b64_e32 v[28:29], v[32:33]
	;; [unrolled: 1-line block ×7, first 2 shown]
.LBB176_5:                              ; =>This Loop Header: Depth=1
                                        ;     Child Loop BB176_6 Depth 2
                                        ;     Child Loop BB176_8 Depth 2
	scratch_load_dwordx2 v[36:37], off, off offset:8 ; 8-byte Folded Reload
	scratch_load_dwordx2 v[38:39], off, off offset:16 ; 8-byte Folded Reload
	;; [unrolled: 1-line block ×3, first 2 shown]
	s_mul_i32 s0, s9, 0xd2
	s_mul_hi_u32 s1, s9, 0xd2
	s_add_u32 s0, s7, s0
	s_addc_u32 s1, s8, s1
	v_mov_b64_e32 v[34:35], s[0:1]
	s_lshl_b32 s18, s9, 3
	s_mov_b32 s20, 0
	s_waitcnt vmcnt(2)
	v_mad_u64_u32 v[36:37], s[0:1], v36, s5, v[34:35]
	s_waitcnt vmcnt(1)
	v_mad_i64_i32 v[38:39], s[0:1], v38, s5, v[36:37]
	s_waitcnt vmcnt(0)
	v_mad_i64_i32 v[42:43], s[0:1], v42, s5, v[36:37]
	v_lshl_add_u64 v[40:41], v[38:39], 0, v[52:53]
	v_lshl_add_u64 v[44:45], v[42:43], 0, v[52:53]
	;; [unrolled: 1-line block ×3, first 2 shown]
	global_load_dword v46, v[40:41], off
	global_load_dword v47, v[38:39], off offset:128
	s_nop 0
	global_load_dword v44, v[44:45], off
	v_lshl_add_u64 v[38:39], v[42:43], 0, v[54:55]
	scratch_load_dwordx2 v[40:41], off, off offset:48 ; 8-byte Folded Reload
	s_waitcnt vmcnt(0)
	v_mad_i64_i32 v[40:41], s[0:1], v40, s5, v[36:37]
	v_lshl_add_u64 v[42:43], v[40:41], 0, v[52:53]
	global_load_dword v45, v[38:39], off offset:128
	s_nop 0
	global_load_dword v42, v[42:43], off
	v_lshl_add_u64 v[38:39], v[40:41], 0, v[54:55]
	global_load_dword v43, v[38:39], off offset:128
	s_nop 0
	scratch_load_dwordx2 v[38:39], off, off offset:64 ; 8-byte Folded Reload
	s_waitcnt vmcnt(3)
	v_ashrrev_i32_e32 v45, v61, v45
	v_lshlrev_b32_e32 v51, 4, v45
	s_waitcnt vmcnt(1)
	v_ashrrev_i32_e32 v43, v61, v43
	s_waitcnt vmcnt(0)
	v_mad_i64_i32 v[38:39], s[0:1], v38, s5, v[36:37]
	v_lshl_add_u64 v[40:41], v[38:39], 0, v[52:53]
	v_lshl_add_u64 v[38:39], v[38:39], 0, v[54:55]
	global_load_dword v48, v[40:41], off
	global_load_dword v49, v[38:39], off offset:128
	v_lshrrev_b32_e32 v39, 4, v46
	v_ashrrev_i32_e32 v40, v61, v47
	v_and_b32_e32 v38, 0xf0f0f0f, v46
	v_and_b32_e32 v41, 0xf0f0f0f, v44
	v_lshrrev_b32_e32 v44, 4, v44
	v_and_b32_e32 v39, 0xf0f0f0f, v39
	v_lshlrev_b32_e32 v47, 4, v40
	v_and_b32_e32 v44, 0xf0f0f0f, v44
	v_and_or_b32 v38, v47, s11, v38
	v_and_or_b32 v39, v40, s11, v39
	v_and_or_b32 v40, v51, s11, v41
	v_and_or_b32 v41, v45, s11, v44
	v_lshrrev_b32_e32 v44, 16, v38
	v_lshlrev_b16_e32 v45, 8, v38
	v_lshrrev_b32_e32 v47, 16, v39
	v_lshlrev_b16_e32 v51, 8, v39
	v_add_u16_e32 v45, 0xe000, v45
	v_lshlrev_b16_e32 v60, 8, v44
	v_add_u16_e32 v51, 0xe000, v51
	v_lshlrev_b16_e32 v62, 8, v47
	v_lshrrev_b16_e32 v45, 8, v45
	v_add_u16_e32 v60, 0xe000, v60
	v_lshrrev_b16_e32 v51, 8, v51
	v_add_u16_e32 v62, 0xe000, v62
	v_bitop3_b16 v38, v38, v45, s17 bitop3:0xec
	v_lshrrev_b16_e32 v45, 8, v60
	v_bitop3_b16 v39, v39, v51, s17 bitop3:0xec
	v_lshrrev_b16_e32 v51, 8, v62
	v_bitop3_b16 v44, v44, v45, s17 bitop3:0xec
	v_bitop3_b16 v45, v47, v51, s17 bitop3:0xec
	v_add_u16_e32 v38, 0xe000, v38
	v_add_u16_e32 v39, 0xe000, v39
	v_add_u16_sdwa v44, v44, s16 dst_sel:WORD_1 dst_unused:UNUSED_PAD src0_sel:DWORD src1_sel:DWORD
	v_add_u16_sdwa v45, v45, s16 dst_sel:WORD_1 dst_unused:UNUSED_PAD src0_sel:DWORD src1_sel:DWORD
	v_or_b32_e32 v38, v38, v44
	v_or_b32_e32 v39, v39, v45
	scratch_load_dwordx2 v[44:45], off, off offset:24 ; 8-byte Folded Reload
	v_lshrrev_b32_e32 v56, 16, v40
	v_lshlrev_b16_e32 v57, 8, v40
	v_lshrrev_b32_e32 v58, 16, v41
	v_lshlrev_b16_e32 v59, 8, v41
	v_add_u16_e32 v57, 0xe000, v57
	v_lshlrev_b16_e32 v64, 8, v56
	v_add_u16_e32 v59, 0xe000, v59
	v_lshlrev_b16_e32 v65, 8, v58
	v_lshrrev_b16_e32 v57, 8, v57
	v_add_u16_e32 v64, 0xe000, v64
	v_lshrrev_b16_e32 v59, 8, v59
	v_add_u16_e32 v65, 0xe000, v65
	v_bitop3_b16 v40, v40, v57, s17 bitop3:0xec
	v_lshrrev_b16_e32 v57, 8, v64
	v_bitop3_b16 v41, v41, v59, s17 bitop3:0xec
	v_lshrrev_b16_e32 v59, 8, v65
	v_bitop3_b16 v47, v56, v57, s17 bitop3:0xec
	v_bitop3_b16 v51, v58, v59, s17 bitop3:0xec
	v_add_u16_e32 v40, 0xe000, v40
	v_add_u16_e32 v41, 0xe000, v41
	v_add_u16_sdwa v47, v47, s16 dst_sel:WORD_1 dst_unused:UNUSED_PAD src0_sel:DWORD src1_sel:DWORD
	v_add_u16_sdwa v51, v51, s16 dst_sel:WORD_1 dst_unused:UNUSED_PAD src0_sel:DWORD src1_sel:DWORD
	v_or_b32_e32 v40, v40, v47
	v_or_b32_e32 v41, v41, v51
	v_and_b32_e32 v46, 0xf0f0f0f, v42
	v_lshrrev_b32_e32 v42, 4, v42
	v_and_b32_e32 v42, 0xf0f0f0f, v42
	v_add_u32_e32 v59, s18, v71
	s_waitcnt vmcnt(0)
	ds_write2_b32 v44, v38, v39 offset1:16
	scratch_load_dwordx2 v[38:39], off, off offset:40 ; 8-byte Folded Reload
	v_lshlrev_b32_e32 v44, 4, v43
	s_waitcnt vmcnt(0)
	ds_write2_b32 v38, v40, v41 offset1:16
	scratch_load_dwordx2 v[38:39], off, off offset:80 ; 8-byte Folded Reload
	s_waitcnt vmcnt(0)
	v_mad_i64_i32 v[38:39], s[0:1], v38, s5, v[36:37]
	v_lshl_add_u64 v[40:41], v[38:39], 0, v[52:53]
	global_load_dword v45, v[40:41], off
	v_and_or_b32 v40, v44, s11, v46
	v_lshl_add_u64 v[38:39], v[38:39], 0, v[54:55]
	global_load_dword v44, v[38:39], off offset:128
	v_lshlrev_b16_e32 v39, 8, v40
	v_add_u16_e32 v39, 0xe000, v39
	v_lshrrev_b32_e32 v38, 16, v40
	v_lshrrev_b16_e32 v39, 8, v39
	v_bitop3_b16 v39, v40, v39, s17 bitop3:0xec
	v_lshlrev_b16_e32 v40, 8, v38
	v_add_u16_e32 v40, 0xe000, v40
	v_lshrrev_b16_e32 v40, 8, v40
	v_bitop3_b16 v38, v38, v40, s17 bitop3:0xec
	v_add_u16_e32 v39, 0xe000, v39
	v_add_u16_sdwa v38, v38, s16 dst_sel:WORD_1 dst_unused:UNUSED_PAD src0_sel:DWORD src1_sel:DWORD
	s_nop 0
	v_or_b32_e32 v46, v39, v38
	v_and_or_b32 v38, v43, s11, v42
	v_lshlrev_b16_e32 v40, 8, v38
	v_add_u16_e32 v40, 0xe000, v40
	v_lshrrev_b32_e32 v39, 16, v38
	v_lshrrev_b16_e32 v40, 8, v40
	v_bitop3_b16 v38, v38, v40, s17 bitop3:0xec
	v_lshlrev_b16_e32 v40, 8, v39
	v_add_u16_e32 v40, 0xe000, v40
	v_lshrrev_b16_e32 v40, 8, v40
	v_bitop3_b16 v39, v39, v40, s17 bitop3:0xec
	v_add_u16_e32 v38, 0xe000, v38
	v_add_u16_sdwa v39, v39, s16 dst_sel:WORD_1 dst_unused:UNUSED_PAD src0_sel:DWORD src1_sel:DWORD
	s_nop 0
	v_or_b32_e32 v42, v38, v39
	scratch_load_dwordx2 v[38:39], off, off offset:96 ; 8-byte Folded Reload
	s_waitcnt vmcnt(0)
	v_mad_i64_i32 v[38:39], s[0:1], v38, s5, v[36:37]
	v_lshl_add_u64 v[40:41], v[38:39], 0, v[52:53]
	global_load_dword v43, v[40:41], off
	s_nop 0
	scratch_load_dwordx2 v[40:41], off, off offset:56 ; 8-byte Folded Reload
	v_lshl_add_u64 v[38:39], v[38:39], 0, v[54:55]
	s_waitcnt vmcnt(0)
	ds_write2_b32 v40, v46, v42 offset1:16
	v_ashrrev_i32_e32 v40, v61, v49
	global_load_dword v42, v[38:39], off offset:128
	v_and_b32_e32 v38, 0xf0f0f0f, v48
	v_lshlrev_b32_e32 v41, 4, v40
	v_and_or_b32 v38, v41, s11, v38
	v_lshlrev_b16_e32 v46, 8, v38
	v_add_u16_e32 v46, 0xe000, v46
	v_lshrrev_b32_e32 v41, 16, v38
	v_lshrrev_b16_e32 v46, 8, v46
	v_bitop3_b16 v38, v38, v46, s17 bitop3:0xec
	v_lshlrev_b16_e32 v46, 8, v41
	v_add_u16_e32 v46, 0xe000, v46
	v_lshrrev_b16_e32 v46, 8, v46
	v_lshrrev_b32_e32 v39, 4, v48
	v_bitop3_b16 v41, v41, v46, s17 bitop3:0xec
	v_and_b32_e32 v39, 0xf0f0f0f, v39
	v_add_u16_e32 v38, 0xe000, v38
	v_add_u16_sdwa v41, v41, s16 dst_sel:WORD_1 dst_unused:UNUSED_PAD src0_sel:DWORD src1_sel:DWORD
	s_nop 0
	v_or_b32_e32 v46, v38, v41
	v_and_or_b32 v38, v40, s11, v39
	v_lshlrev_b16_e32 v39, 8, v38
	v_add_u16_e32 v39, 0xe000, v39
	v_lshrrev_b16_e32 v39, 8, v39
	v_lshrrev_b32_e32 v47, 16, v38
	v_bitop3_b16 v38, v38, v39, s17 bitop3:0xec
	v_add_u16_e32 v48, 0xe000, v38
	scratch_load_dwordx2 v[38:39], off, off offset:112 ; 8-byte Folded Reload
	s_waitcnt vmcnt(0)
	v_mad_i64_i32 v[38:39], s[0:1], v38, s5, v[36:37]
	v_lshl_add_u64 v[40:41], v[38:39], 0, v[52:53]
	v_lshl_add_u64 v[38:39], v[38:39], 0, v[54:55]
	global_load_dword v49, v[40:41], off
	global_load_dword v51, v[38:39], off offset:128
	v_lshlrev_b16_e32 v40, 8, v47
	v_add_u16_e32 v38, 0xe000, v40
	scratch_load_dwordx2 v[40:41], off, off offset:72 ; 8-byte Folded Reload
	v_lshrrev_b16_e32 v38, 8, v38
	v_bitop3_b16 v38, v47, v38, s17 bitop3:0xec
	v_add_u16_sdwa v38, v38, s16 dst_sel:WORD_1 dst_unused:UNUSED_PAD src0_sel:DWORD src1_sel:DWORD
	s_nop 0
	v_or_b32_e32 v38, v48, v38
	s_waitcnt vmcnt(0)
	ds_write2_b32 v40, v46, v38 offset1:16
	scratch_load_dwordx2 v[38:39], off, off offset:128 ; 8-byte Folded Reload
	s_waitcnt vmcnt(0)
	v_mad_i64_i32 v[38:39], s[0:1], v38, s5, v[36:37]
	v_lshl_add_u64 v[40:41], v[38:39], 0, v[52:53]
	v_lshl_add_u64 v[38:39], v[38:39], 0, v[54:55]
	global_load_dword v46, v[40:41], off
	global_load_dword v47, v[38:39], off offset:128
	v_ashrrev_i32_e32 v40, v61, v44
	v_and_b32_e32 v38, 0xf0f0f0f, v45
	v_lshlrev_b32_e32 v41, 4, v40
	v_and_or_b32 v38, v41, s11, v38
	v_lshlrev_b16_e32 v44, 8, v38
	v_add_u16_e32 v44, 0xe000, v44
	v_lshrrev_b32_e32 v41, 16, v38
	v_lshrrev_b16_e32 v44, 8, v44
	v_bitop3_b16 v38, v38, v44, s17 bitop3:0xec
	v_lshlrev_b16_e32 v44, 8, v41
	v_add_u16_e32 v44, 0xe000, v44
	v_lshrrev_b32_e32 v39, 4, v45
	v_lshrrev_b16_e32 v44, 8, v44
	v_and_b32_e32 v39, 0xf0f0f0f, v39
	v_bitop3_b16 v41, v41, v44, s17 bitop3:0xec
	v_add_u16_e32 v38, 0xe000, v38
	v_add_u16_sdwa v41, v41, s16 dst_sel:WORD_1 dst_unused:UNUSED_PAD src0_sel:DWORD src1_sel:DWORD
	v_and_or_b32 v39, v40, s11, v39
	v_or_b32_e32 v38, v38, v41
	v_lshlrev_b16_e32 v41, 8, v39
	v_add_u16_e32 v41, 0xe000, v41
	v_lshrrev_b32_e32 v40, 16, v39
	v_lshrrev_b16_e32 v41, 8, v41
	v_bitop3_b16 v39, v39, v41, s17 bitop3:0xec
	v_lshlrev_b16_e32 v41, 8, v40
	v_add_u16_e32 v41, 0xe000, v41
	v_lshrrev_b16_e32 v41, 8, v41
	v_bitop3_b16 v40, v40, v41, s17 bitop3:0xec
	v_add_u16_e32 v39, 0xe000, v39
	v_add_u16_sdwa v40, v40, s16 dst_sel:WORD_1 dst_unused:UNUSED_PAD src0_sel:DWORD src1_sel:DWORD
	v_ashrrev_i32_e32 v44, v61, v51
	v_or_b32_e32 v39, v39, v40
	scratch_load_dwordx2 v[40:41], off, off offset:88 ; 8-byte Folded Reload
	v_lshlrev_b32_e32 v45, 4, v44
	s_waitcnt vmcnt(0)
	ds_write2_b32 v40, v38, v39 offset1:16
	v_ashrrev_i32_e32 v40, v61, v42
	v_and_b32_e32 v38, 0xf0f0f0f, v43
	v_lshlrev_b32_e32 v41, 4, v40
	v_and_or_b32 v38, v41, s11, v38
	v_lshlrev_b16_e32 v42, 8, v38
	v_add_u16_e32 v42, 0xe000, v42
	v_lshrrev_b32_e32 v41, 16, v38
	v_lshrrev_b16_e32 v42, 8, v42
	v_bitop3_b16 v38, v38, v42, s17 bitop3:0xec
	v_lshlrev_b16_e32 v42, 8, v41
	v_add_u16_e32 v42, 0xe000, v42
	v_lshrrev_b32_e32 v39, 4, v43
	v_lshrrev_b16_e32 v42, 8, v42
	v_and_b32_e32 v39, 0xf0f0f0f, v39
	v_bitop3_b16 v41, v41, v42, s17 bitop3:0xec
	v_add_u16_e32 v38, 0xe000, v38
	v_add_u16_sdwa v41, v41, s16 dst_sel:WORD_1 dst_unused:UNUSED_PAD src0_sel:DWORD src1_sel:DWORD
	v_and_or_b32 v39, v40, s11, v39
	v_or_b32_e32 v38, v38, v41
	v_lshlrev_b16_e32 v41, 8, v39
	v_add_u16_e32 v41, 0xe000, v41
	v_lshrrev_b32_e32 v40, 16, v39
	v_lshrrev_b16_e32 v41, 8, v41
	v_bitop3_b16 v39, v39, v41, s17 bitop3:0xec
	v_lshlrev_b16_e32 v41, 8, v40
	v_add_u16_e32 v41, 0xe000, v41
	v_lshrrev_b16_e32 v41, 8, v41
	v_bitop3_b16 v40, v40, v41, s17 bitop3:0xec
	v_add_u16_e32 v39, 0xe000, v39
	v_add_u16_sdwa v40, v40, s16 dst_sel:WORD_1 dst_unused:UNUSED_PAD src0_sel:DWORD src1_sel:DWORD
	v_and_b32_e32 v42, 0xf0f0f0f, v49
	v_or_b32_e32 v39, v39, v40
	scratch_load_dwordx2 v[40:41], off, off offset:104 ; 8-byte Folded Reload
	s_waitcnt vmcnt(0)
	ds_write2_b32 v40, v38, v39 offset1:16
	v_lshrrev_b32_e32 v38, 4, v49
	v_and_b32_e32 v43, 0xf0f0f0f, v38
	scratch_load_dwordx2 v[38:39], off, off offset:144 ; 8-byte Folded Reload
	s_waitcnt vmcnt(0)
	v_mad_i64_i32 v[38:39], s[0:1], v38, s5, v[36:37]
	v_lshl_add_u64 v[40:41], v[38:39], 0, v[52:53]
	global_load_dword v48, v[40:41], off
	v_and_or_b32 v40, v45, s11, v42
	v_lshl_add_u64 v[38:39], v[38:39], 0, v[54:55]
	global_load_dword v42, v[38:39], off offset:128
	v_lshlrev_b16_e32 v39, 8, v40
	v_add_u16_e32 v39, 0xe000, v39
	v_lshrrev_b32_e32 v38, 16, v40
	v_lshrrev_b16_e32 v39, 8, v39
	v_bitop3_b16 v39, v40, v39, s17 bitop3:0xec
	v_lshlrev_b16_e32 v40, 8, v38
	v_add_u16_e32 v40, 0xe000, v40
	v_lshrrev_b16_e32 v40, 8, v40
	v_bitop3_b16 v38, v38, v40, s17 bitop3:0xec
	v_add_u16_e32 v39, 0xe000, v39
	v_add_u16_sdwa v38, v38, s16 dst_sel:WORD_1 dst_unused:UNUSED_PAD src0_sel:DWORD src1_sel:DWORD
	s_nop 0
	v_or_b32_e32 v45, v39, v38
	v_and_or_b32 v38, v44, s11, v43
	v_lshlrev_b16_e32 v40, 8, v38
	v_add_u16_e32 v40, 0xe000, v40
	v_lshrrev_b32_e32 v39, 16, v38
	v_lshrrev_b16_e32 v40, 8, v40
	v_bitop3_b16 v38, v38, v40, s17 bitop3:0xec
	v_lshlrev_b16_e32 v40, 8, v39
	v_add_u16_e32 v40, 0xe000, v40
	v_lshrrev_b16_e32 v40, 8, v40
	v_bitop3_b16 v39, v39, v40, s17 bitop3:0xec
	v_add_u16_e32 v38, 0xe000, v38
	v_add_u16_sdwa v39, v39, s16 dst_sel:WORD_1 dst_unused:UNUSED_PAD src0_sel:DWORD src1_sel:DWORD
	s_nop 0
	v_or_b32_e32 v43, v38, v39
	scratch_load_dwordx2 v[38:39], off, off offset:160 ; 8-byte Folded Reload
	s_waitcnt vmcnt(0)
	v_mad_i64_i32 v[38:39], s[0:1], v38, s5, v[36:37]
	v_lshl_add_u64 v[40:41], v[38:39], 0, v[52:53]
	global_load_dword v44, v[40:41], off
	s_nop 0
	scratch_load_dwordx2 v[40:41], off, off offset:120 ; 8-byte Folded Reload
	v_lshl_add_u64 v[38:39], v[38:39], 0, v[54:55]
	s_waitcnt vmcnt(0)
	ds_write2_b32 v40, v45, v43 offset1:16
	v_ashrrev_i32_e32 v40, v61, v47
	global_load_dword v43, v[38:39], off offset:128
	v_and_b32_e32 v38, 0xf0f0f0f, v46
	v_lshlrev_b32_e32 v41, 4, v40
	v_and_or_b32 v38, v41, s11, v38
	v_lshlrev_b16_e32 v45, 8, v38
	v_add_u16_e32 v45, 0xe000, v45
	v_lshrrev_b32_e32 v41, 16, v38
	v_lshrrev_b16_e32 v45, 8, v45
	v_bitop3_b16 v38, v38, v45, s17 bitop3:0xec
	v_lshlrev_b16_e32 v45, 8, v41
	v_add_u16_e32 v45, 0xe000, v45
	v_lshrrev_b16_e32 v45, 8, v45
	v_lshrrev_b32_e32 v39, 4, v46
	v_bitop3_b16 v41, v41, v45, s17 bitop3:0xec
	v_and_b32_e32 v39, 0xf0f0f0f, v39
	v_add_u16_e32 v38, 0xe000, v38
	v_add_u16_sdwa v41, v41, s16 dst_sel:WORD_1 dst_unused:UNUSED_PAD src0_sel:DWORD src1_sel:DWORD
	s_nop 0
	v_or_b32_e32 v45, v38, v41
	v_and_or_b32 v38, v40, s11, v39
	v_lshlrev_b16_e32 v39, 8, v38
	v_add_u16_e32 v39, 0xe000, v39
	v_lshrrev_b16_e32 v39, 8, v39
	v_lshrrev_b32_e32 v46, 16, v38
	v_bitop3_b16 v38, v38, v39, s17 bitop3:0xec
	v_add_u16_e32 v47, 0xe000, v38
	scratch_load_dwordx2 v[38:39], off, off offset:176 ; 8-byte Folded Reload
	s_waitcnt vmcnt(0)
	v_mad_i64_i32 v[38:39], s[0:1], v38, s5, v[36:37]
	v_lshl_add_u64 v[40:41], v[38:39], 0, v[52:53]
	v_lshl_add_u64 v[38:39], v[38:39], 0, v[54:55]
	global_load_dword v49, v[40:41], off
	global_load_dword v51, v[38:39], off offset:128
	v_lshlrev_b16_e32 v40, 8, v46
	v_add_u16_e32 v38, 0xe000, v40
	scratch_load_dwordx2 v[40:41], off, off offset:136 ; 8-byte Folded Reload
	v_lshrrev_b16_e32 v38, 8, v38
	v_bitop3_b16 v38, v46, v38, s17 bitop3:0xec
	v_add_u16_sdwa v38, v38, s16 dst_sel:WORD_1 dst_unused:UNUSED_PAD src0_sel:DWORD src1_sel:DWORD
	s_nop 0
	v_or_b32_e32 v38, v47, v38
	s_waitcnt vmcnt(0)
	ds_write2_b32 v40, v45, v38 offset1:16
	scratch_load_dwordx2 v[38:39], off, off offset:192 ; 8-byte Folded Reload
	s_waitcnt vmcnt(0)
	v_mad_i64_i32 v[38:39], s[0:1], v38, s5, v[36:37]
	v_lshl_add_u64 v[40:41], v[38:39], 0, v[52:53]
	v_lshl_add_u64 v[38:39], v[38:39], 0, v[54:55]
	global_load_dword v45, v[40:41], off
	global_load_dword v46, v[38:39], off offset:128
	v_ashrrev_i32_e32 v40, v61, v42
	v_and_b32_e32 v38, 0xf0f0f0f, v48
	v_lshlrev_b32_e32 v41, 4, v40
	v_and_or_b32 v38, v41, s11, v38
	v_lshlrev_b16_e32 v42, 8, v38
	v_add_u16_e32 v42, 0xe000, v42
	v_lshrrev_b32_e32 v41, 16, v38
	v_lshrrev_b16_e32 v42, 8, v42
	v_bitop3_b16 v38, v38, v42, s17 bitop3:0xec
	v_lshlrev_b16_e32 v42, 8, v41
	v_add_u16_e32 v42, 0xe000, v42
	v_lshrrev_b32_e32 v39, 4, v48
	v_lshrrev_b16_e32 v42, 8, v42
	v_and_b32_e32 v39, 0xf0f0f0f, v39
	v_bitop3_b16 v41, v41, v42, s17 bitop3:0xec
	v_add_u16_e32 v38, 0xe000, v38
	v_add_u16_sdwa v41, v41, s16 dst_sel:WORD_1 dst_unused:UNUSED_PAD src0_sel:DWORD src1_sel:DWORD
	v_and_or_b32 v39, v40, s11, v39
	v_or_b32_e32 v38, v38, v41
	v_lshlrev_b16_e32 v41, 8, v39
	v_add_u16_e32 v41, 0xe000, v41
	v_lshrrev_b32_e32 v40, 16, v39
	v_lshrrev_b16_e32 v41, 8, v41
	v_bitop3_b16 v39, v39, v41, s17 bitop3:0xec
	v_lshlrev_b16_e32 v41, 8, v40
	v_add_u16_e32 v41, 0xe000, v41
	v_lshrrev_b16_e32 v41, 8, v41
	v_bitop3_b16 v40, v40, v41, s17 bitop3:0xec
	v_add_u16_e32 v39, 0xe000, v39
	v_add_u16_sdwa v40, v40, s16 dst_sel:WORD_1 dst_unused:UNUSED_PAD src0_sel:DWORD src1_sel:DWORD
	s_nop 0
	v_or_b32_e32 v39, v39, v40
	scratch_load_dwordx2 v[40:41], off, off offset:152 ; 8-byte Folded Reload
	s_waitcnt vmcnt(0)
	ds_write2_b32 v40, v38, v39 offset1:16
	v_ashrrev_i32_e32 v40, v61, v43
	v_and_b32_e32 v38, 0xf0f0f0f, v44
	v_lshlrev_b32_e32 v41, 4, v40
	v_and_or_b32 v38, v41, s11, v38
	v_lshlrev_b16_e32 v42, 8, v38
	v_add_u16_e32 v42, 0xe000, v42
	v_lshrrev_b32_e32 v41, 16, v38
	v_lshrrev_b16_e32 v42, 8, v42
	v_bitop3_b16 v38, v38, v42, s17 bitop3:0xec
	v_lshlrev_b16_e32 v42, 8, v41
	v_add_u16_e32 v42, 0xe000, v42
	v_lshrrev_b32_e32 v39, 4, v44
	v_lshrrev_b16_e32 v42, 8, v42
	v_and_b32_e32 v39, 0xf0f0f0f, v39
	v_bitop3_b16 v41, v41, v42, s17 bitop3:0xec
	v_add_u16_e32 v38, 0xe000, v38
	v_add_u16_sdwa v41, v41, s16 dst_sel:WORD_1 dst_unused:UNUSED_PAD src0_sel:DWORD src1_sel:DWORD
	v_and_or_b32 v39, v40, s11, v39
	v_or_b32_e32 v38, v38, v41
	v_lshlrev_b16_e32 v41, 8, v39
	v_add_u16_e32 v41, 0xe000, v41
	v_lshrrev_b32_e32 v40, 16, v39
	v_lshrrev_b16_e32 v41, 8, v41
	v_bitop3_b16 v39, v39, v41, s17 bitop3:0xec
	v_lshlrev_b16_e32 v41, 8, v40
	v_add_u16_e32 v41, 0xe000, v41
	v_lshrrev_b16_e32 v41, 8, v41
	v_bitop3_b16 v40, v40, v41, s17 bitop3:0xec
	v_add_u16_e32 v39, 0xe000, v39
	v_add_u16_sdwa v40, v40, s16 dst_sel:WORD_1 dst_unused:UNUSED_PAD src0_sel:DWORD src1_sel:DWORD
	v_ashrrev_i32_e32 v44, v61, v51
	v_or_b32_e32 v39, v39, v40
	scratch_load_dwordx2 v[40:41], off, off offset:168 ; 8-byte Folded Reload
	v_and_b32_e32 v42, 0xf0f0f0f, v49
	v_lshlrev_b32_e32 v47, 4, v44
	s_waitcnt vmcnt(0)
	ds_write2_b32 v40, v38, v39 offset1:16
	v_lshrrev_b32_e32 v38, 4, v49
	v_and_b32_e32 v43, 0xf0f0f0f, v38
	scratch_load_dwordx2 v[38:39], off, off offset:208 ; 8-byte Folded Reload
	s_waitcnt vmcnt(0)
	v_mad_i64_i32 v[38:39], s[0:1], v38, s5, v[36:37]
	v_lshl_add_u64 v[40:41], v[38:39], 0, v[52:53]
	global_load_dword v48, v[40:41], off
	v_and_or_b32 v40, v47, s11, v42
	v_lshl_add_u64 v[38:39], v[38:39], 0, v[54:55]
	global_load_dword v47, v[38:39], off offset:128
	v_lshlrev_b16_e32 v39, 8, v40
	v_add_u16_e32 v39, 0xe000, v39
	v_lshrrev_b32_e32 v38, 16, v40
	v_lshrrev_b16_e32 v39, 8, v39
	v_bitop3_b16 v39, v40, v39, s17 bitop3:0xec
	v_lshlrev_b16_e32 v40, 8, v38
	v_add_u16_e32 v40, 0xe000, v40
	v_lshrrev_b16_e32 v40, 8, v40
	v_bitop3_b16 v38, v38, v40, s17 bitop3:0xec
	v_add_u16_e32 v39, 0xe000, v39
	v_add_u16_sdwa v38, v38, s16 dst_sel:WORD_1 dst_unused:UNUSED_PAD src0_sel:DWORD src1_sel:DWORD
	s_nop 0
	v_or_b32_e32 v42, v39, v38
	v_and_or_b32 v38, v44, s11, v43
	v_lshlrev_b16_e32 v40, 8, v38
	v_add_u16_e32 v40, 0xe000, v40
	v_lshrrev_b32_e32 v39, 16, v38
	v_lshrrev_b16_e32 v40, 8, v40
	v_bitop3_b16 v38, v38, v40, s17 bitop3:0xec
	v_lshlrev_b16_e32 v40, 8, v39
	v_add_u16_e32 v40, 0xe000, v40
	v_lshrrev_b16_e32 v40, 8, v40
	v_bitop3_b16 v39, v39, v40, s17 bitop3:0xec
	v_add_u16_e32 v38, 0xe000, v38
	v_add_u16_sdwa v39, v39, s16 dst_sel:WORD_1 dst_unused:UNUSED_PAD src0_sel:DWORD src1_sel:DWORD
	s_nop 0
	v_or_b32_e32 v43, v38, v39
	scratch_load_dwordx2 v[38:39], off, off offset:224 ; 8-byte Folded Reload
	s_waitcnt vmcnt(0)
	v_mad_i64_i32 v[38:39], s[0:1], v38, s5, v[36:37]
	v_lshl_add_u64 v[40:41], v[38:39], 0, v[52:53]
	global_load_dword v44, v[40:41], off
	s_nop 0
	scratch_load_dwordx2 v[40:41], off, off offset:184 ; 8-byte Folded Reload
	v_lshl_add_u64 v[38:39], v[38:39], 0, v[54:55]
	global_load_dword v49, v[38:39], off offset:128
	v_and_b32_e32 v38, 0xf0f0f0f, v45
	v_lshrrev_b32_e32 v39, 4, v45
	v_and_b32_e32 v39, 0xf0f0f0f, v39
	s_waitcnt vmcnt(1)
	ds_write2_b32 v40, v42, v43 offset1:16
	v_ashrrev_i32_e32 v40, v61, v46
	v_lshlrev_b32_e32 v41, 4, v40
	v_and_or_b32 v38, v41, s11, v38
	v_lshlrev_b16_e32 v42, 8, v38
	v_add_u16_e32 v42, 0xe000, v42
	v_lshrrev_b32_e32 v41, 16, v38
	v_lshrrev_b16_e32 v42, 8, v42
	v_bitop3_b16 v38, v38, v42, s17 bitop3:0xec
	v_lshlrev_b16_e32 v42, 8, v41
	v_add_u16_e32 v42, 0xe000, v42
	v_lshrrev_b16_e32 v42, 8, v42
	v_bitop3_b16 v41, v41, v42, s17 bitop3:0xec
	v_add_u16_e32 v38, 0xe000, v38
	v_add_u16_sdwa v41, v41, s16 dst_sel:WORD_1 dst_unused:UNUSED_PAD src0_sel:DWORD src1_sel:DWORD
	v_and_or_b32 v39, v40, s11, v39
	v_or_b32_e32 v38, v38, v41
	v_lshlrev_b16_e32 v41, 8, v39
	v_add_u16_e32 v41, 0xe000, v41
	v_lshrrev_b32_e32 v40, 16, v39
	v_lshrrev_b16_e32 v41, 8, v41
	v_bitop3_b16 v39, v39, v41, s17 bitop3:0xec
	v_lshlrev_b16_e32 v41, 8, v40
	v_add_u16_e32 v41, 0xe000, v41
	v_lshrrev_b16_e32 v41, 8, v41
	v_bitop3_b16 v40, v40, v41, s17 bitop3:0xec
	v_add_u16_e32 v39, 0xe000, v39
	v_add_u16_sdwa v40, v40, s16 dst_sel:WORD_1 dst_unused:UNUSED_PAD src0_sel:DWORD src1_sel:DWORD
	scratch_load_dwordx2 v[42:43], off, off offset:256 ; 8-byte Folded Reload
	v_or_b32_e32 v39, v39, v40
	scratch_load_dwordx2 v[40:41], off, off offset:200 ; 8-byte Folded Reload
	s_waitcnt vmcnt(0)
	ds_write2_b32 v40, v38, v39 offset1:16
	scratch_load_dwordx2 v[38:39], off, off offset:240 ; 8-byte Folded Reload
	s_waitcnt vmcnt(0)
	v_mad_i64_i32 v[38:39], s[0:1], v38, s5, v[36:37]
	v_lshl_add_u64 v[40:41], v[38:39], 0, v[52:53]
	v_lshl_add_u64 v[38:39], v[38:39], 0, v[54:55]
	v_mad_i64_i32 v[36:37], s[0:1], v42, s5, v[36:37]
	v_lshl_add_u64 v[42:43], v[36:37], 0, v[52:53]
	v_lshl_add_u64 v[36:37], v[36:37], 0, v[54:55]
	global_load_dword v45, v[40:41], off
	global_load_dword v46, v[38:39], off offset:128
	global_load_dword v51, v[42:43], off
	global_load_dword v56, v[36:37], off offset:128
	v_ashrrev_i32_e32 v38, v61, v47
	v_and_b32_e32 v36, 0xf0f0f0f, v48
	v_lshlrev_b32_e32 v39, 4, v38
	v_and_or_b32 v36, v39, s11, v36
	v_lshlrev_b16_e32 v40, 8, v36
	v_add_u16_e32 v40, 0xe000, v40
	v_lshrrev_b32_e32 v39, 16, v36
	v_lshrrev_b16_e32 v40, 8, v40
	v_bitop3_b16 v36, v36, v40, s17 bitop3:0xec
	v_lshlrev_b16_e32 v40, 8, v39
	v_add_u16_e32 v40, 0xe000, v40
	v_lshrrev_b32_e32 v37, 4, v48
	v_lshrrev_b16_e32 v40, 8, v40
	v_and_b32_e32 v37, 0xf0f0f0f, v37
	v_bitop3_b16 v39, v39, v40, s17 bitop3:0xec
	v_add_u16_e32 v36, 0xe000, v36
	v_add_u16_sdwa v39, v39, s16 dst_sel:WORD_1 dst_unused:UNUSED_PAD src0_sel:DWORD src1_sel:DWORD
	v_and_or_b32 v37, v38, s11, v37
	v_or_b32_e32 v36, v36, v39
	v_lshlrev_b16_e32 v39, 8, v37
	v_add_u16_e32 v39, 0xe000, v39
	v_lshrrev_b32_e32 v38, 16, v37
	v_lshrrev_b16_e32 v39, 8, v39
	v_bitop3_b16 v37, v37, v39, s17 bitop3:0xec
	v_lshlrev_b16_e32 v39, 8, v38
	v_add_u16_e32 v39, 0xe000, v39
	v_lshrrev_b16_e32 v39, 8, v39
	v_bitop3_b16 v38, v38, v39, s17 bitop3:0xec
	v_add_u16_e32 v37, 0xe000, v37
	v_add_u16_sdwa v38, v38, s16 dst_sel:WORD_1 dst_unused:UNUSED_PAD src0_sel:DWORD src1_sel:DWORD
	v_add_u32_e32 v42, v59, v81
	v_or_b32_e32 v37, v37, v38
	scratch_load_dwordx2 v[38:39], off, off offset:216 ; 8-byte Folded Reload
	v_mad_i64_i32 v[42:43], s[0:1], v42, 36, v[0:1]
	s_waitcnt vmcnt(0)
	ds_write2_b32 v38, v36, v37 offset1:16
	v_ashrrev_i32_e32 v38, v61, v49
	v_and_b32_e32 v36, 0xf0f0f0f, v44
	v_lshlrev_b32_e32 v39, 4, v38
	v_and_or_b32 v36, v39, s11, v36
	v_lshlrev_b16_e32 v40, 8, v36
	v_add_u16_e32 v40, 0xe000, v40
	v_lshrrev_b32_e32 v39, 16, v36
	v_lshrrev_b16_e32 v40, 8, v40
	v_bitop3_b16 v36, v36, v40, s17 bitop3:0xec
	v_lshlrev_b16_e32 v40, 8, v39
	v_add_u16_e32 v40, 0xe000, v40
	v_lshrrev_b16_e32 v40, 8, v40
	v_lshrrev_b32_e32 v37, 4, v44
	v_bitop3_b16 v39, v39, v40, s17 bitop3:0xec
	v_and_b32_e32 v37, 0xf0f0f0f, v37
	v_add_u16_e32 v36, 0xe000, v36
	v_add_u16_sdwa v39, v39, s16 dst_sel:WORD_1 dst_unused:UNUSED_PAD src0_sel:DWORD src1_sel:DWORD
	scratch_load_dwordx2 v[40:41], off, off offset:292 ; 8-byte Folded Reload
	v_or_b32_e32 v44, v36, v39
	v_and_or_b32 v36, v38, s11, v37
	v_lshlrev_b16_e32 v38, 8, v36
	v_add_u16_e32 v38, 0xe000, v38
	v_lshrrev_b16_e32 v38, 8, v38
	v_lshrrev_b32_e32 v37, 16, v36
	v_bitop3_b16 v36, v36, v38, s17 bitop3:0xec
	v_add_u16_e32 v47, 0xe000, v36
	v_lshlrev_b16_e32 v36, 8, v37
	v_add_u16_e32 v36, 0xe000, v36
	v_lshrrev_b16_e32 v36, 8, v36
	v_bitop3_b16 v48, v37, v36, s17 bitop3:0xec
	scratch_load_dwordx2 v[36:37], off, off offset:272 ; 8-byte Folded Reload
	scratch_load_dwordx2 v[38:39], off, off offset:284 ; 8-byte Folded Reload
	s_waitcnt vmcnt(1)
	v_mad_i64_i32 v[36:37], s[0:1], v36, s5, v[34:35]
	s_waitcnt vmcnt(0)
	v_mad_i64_i32 v[38:39], s[0:1], v38, s5, v[34:35]
	v_mad_i64_i32 v[34:35], s[0:1], v40, s5, v[34:35]
	v_lshl_add_u64 v[34:35], v[34:35], 0, v[122:123]
	v_lshl_add_u64 v[38:39], v[38:39], 0, v[122:123]
	global_load_ushort v49, v[36:37], off offset:208
	global_load_dword v57, v[38:39], off offset:192
	global_load_dword v58, v[34:35], off offset:192
	v_add_u32_e32 v36, v59, v75
	scratch_load_dwordx2 v[34:35], off, off offset:300 ; 8-byte Folded Reload
	v_add_u32_e32 v38, v59, v77
	v_mad_i64_i32 v[36:37], s[0:1], v36, 36, v[0:1]
	v_mad_i64_i32 v[38:39], s[0:1], v38, 36, v[0:1]
	v_add_u32_e32 v40, v59, v79
	v_mad_i64_i32 v[40:41], s[0:1], v40, 36, v[0:1]
	s_waitcnt vmcnt(0)
	v_add_u32_e32 v234, s18, v34
	scratch_load_dword v34, off, off offset:4 ; 4-byte Folded Reload
	s_waitcnt vmcnt(0)
	v_add_u32_e32 v34, v59, v34
	v_mad_i64_i32 v[34:35], s[0:1], v34, 36, v[0:1]
	global_load_dword v60, v[34:35], off offset:4
	global_load_dword v62, v[36:37], off offset:4
	;; [unrolled: 1-line block ×4, first 2 shown]
	s_nop 0
	global_load_dword v42, v[42:43], off offset:4
	v_add_u32_e32 v34, v59, v83
	v_add_u32_e32 v36, v59, v69
	;; [unrolled: 1-line block ×3, first 2 shown]
	v_mad_i64_i32 v[34:35], s[0:1], v34, 36, v[0:1]
	v_mad_i64_i32 v[36:37], s[0:1], v36, 36, v[0:1]
	;; [unrolled: 1-line block ×3, first 2 shown]
	v_mad_u64_u32 v[40:41], s[0:1], v234, 36, s[2:3]
	global_load_dword v40, v[40:41], off
	s_nop 0
	global_load_dword v34, v[34:35], off offset:4
	s_nop 0
	global_load_dword v35, v[36:37], off offset:4
	;; [unrolled: 2-line block ×3, first 2 shown]
	v_add_u16_sdwa v37, v48, s16 dst_sel:WORD_1 dst_unused:UNUSED_PAD src0_sel:DWORD src1_sel:DWORD
	scratch_load_dwordx2 v[38:39], off, off offset:232 ; 8-byte Folded Reload
	v_or_b32_e32 v37, v47, v37
	s_waitcnt vmcnt(0)
	v_ashrrev_i32_e32 v39, v61, v46
	v_lshlrev_b32_e32 v41, 4, v39
	s_mov_b64 s[0:1], -1
	ds_write2_b32 v38, v44, v37 offset1:16
	v_and_b32_e32 v37, 0xf0f0f0f, v45
	v_lshrrev_b32_e32 v38, 4, v45
	scratch_load_dwordx2 v[44:45], off, off offset:248 ; 8-byte Folded Reload
	v_and_or_b32 v37, v41, s11, v37
	v_lshlrev_b16_e32 v43, 8, v37
	v_add_u16_e32 v43, 0xe000, v43
	v_lshrrev_b32_e32 v41, 16, v37
	v_lshrrev_b16_e32 v43, 8, v43
	v_bitop3_b16 v37, v37, v43, s17 bitop3:0xec
	v_lshlrev_b16_e32 v43, 8, v41
	v_add_u16_e32 v43, 0xe000, v43
	v_lshrrev_b16_e32 v43, 8, v43
	v_and_b32_e32 v38, 0xf0f0f0f, v38
	v_bitop3_b16 v41, v41, v43, s17 bitop3:0xec
	v_add_u16_e32 v37, 0xe000, v37
	v_add_u16_sdwa v41, v41, s16 dst_sel:WORD_1 dst_unused:UNUSED_PAD src0_sel:DWORD src1_sel:DWORD
	v_and_or_b32 v38, v39, s11, v38
	v_or_b32_e32 v37, v37, v41
	v_lshlrev_b16_e32 v41, 8, v38
	v_add_u16_e32 v41, 0xe000, v41
	v_lshrrev_b32_e32 v39, 16, v38
	v_lshrrev_b16_e32 v41, 8, v41
	v_bitop3_b16 v38, v38, v41, s17 bitop3:0xec
	v_lshlrev_b16_e32 v41, 8, v39
	v_add_u16_e32 v41, 0xe000, v41
	v_lshrrev_b16_e32 v41, 8, v41
	v_bitop3_b16 v39, v39, v41, s17 bitop3:0xec
	v_add_u16_e32 v38, 0xe000, v38
	v_add_u16_sdwa v39, v39, s16 dst_sel:WORD_1 dst_unused:UNUSED_PAD src0_sel:DWORD src1_sel:DWORD
	s_nop 0
	v_or_b32_e32 v38, v38, v39
	v_ashrrev_i32_e32 v39, v61, v56
	v_lshlrev_b32_e32 v41, 4, v39
	s_waitcnt vmcnt(0)
	ds_write2_b32 v44, v37, v38 offset1:16
	scratch_load_dwordx2 v[44:45], off, off offset:264 ; 8-byte Folded Reload
	v_and_b32_e32 v37, 0xf0f0f0f, v51
	v_and_or_b32 v37, v41, s11, v37
	v_lshlrev_b16_e32 v43, 8, v37
	v_add_u16_e32 v43, 0xe000, v43
	v_lshrrev_b32_e32 v41, 16, v37
	v_lshrrev_b16_e32 v43, 8, v43
	v_bitop3_b16 v37, v37, v43, s17 bitop3:0xec
	v_lshlrev_b16_e32 v43, 8, v41
	v_add_u16_e32 v43, 0xe000, v43
	v_lshrrev_b32_e32 v38, 4, v51
	v_lshrrev_b16_e32 v43, 8, v43
	v_and_b32_e32 v38, 0xf0f0f0f, v38
	v_bitop3_b16 v41, v41, v43, s17 bitop3:0xec
	v_add_u16_e32 v37, 0xe000, v37
	v_add_u16_sdwa v41, v41, s16 dst_sel:WORD_1 dst_unused:UNUSED_PAD src0_sel:DWORD src1_sel:DWORD
	v_and_or_b32 v38, v39, s11, v38
	v_or_b32_e32 v37, v37, v41
	v_lshlrev_b16_e32 v41, 8, v38
	v_add_u16_e32 v41, 0xe000, v41
	v_lshrrev_b32_e32 v39, 16, v38
	v_lshrrev_b16_e32 v41, 8, v41
	v_bitop3_b16 v38, v38, v41, s17 bitop3:0xec
	v_lshlrev_b16_e32 v41, 8, v39
	v_add_u16_e32 v41, 0xe000, v41
	v_lshrrev_b16_e32 v41, 8, v41
	v_bitop3_b16 v39, v39, v41, s17 bitop3:0xec
	v_add_u16_e32 v38, 0xe000, v38
	v_add_u16_sdwa v39, v39, s16 dst_sel:WORD_1 dst_unused:UNUSED_PAD src0_sel:DWORD src1_sel:DWORD
	v_cvt_f32_f16_e32 v41, v49
	v_or_b32_e32 v38, v38, v39
	s_waitcnt vmcnt(0)
	ds_write2_b32 v44, v37, v38 offset1:16
	scratch_load_dword v37, off, off offset:280 ; 4-byte Folded Reload
	s_waitcnt vmcnt(0)
	ds_write_b32 v37, v41
	scratch_load_dword v37, off, off offset:308 ; 4-byte Folded Reload
	s_waitcnt vmcnt(0)
	ds_write_b32 v37, v57
	;; [unrolled: 3-line block ×3, first 2 shown]
	ds_write_b32 v218, v60
	ds_write_b32 v219, v62
	;; [unrolled: 1-line block ×8, first 2 shown]
	scratch_load_dword v34, off, off        ; 4-byte Folded Reload
	v_cvt_f32_f16_e32 v37, v40
	s_waitcnt vmcnt(0)
	ds_write_b32 v34, v37
	s_waitcnt lgkmcnt(0)
	s_barrier
	ds_read_b32 v130, v73
	ds_read_b32 v132, v93 offset:128
	ds_read_b32 v134, v50 offset:256
	;; [unrolled: 1-line block ×3, first 2 shown]
	s_waitcnt lgkmcnt(3)
	v_mov_b32_e32 v131, v130
	v_mov_b32_e32 v138, v130
	v_mov_b32_e32 v139, v130
	s_waitcnt lgkmcnt(2)
	v_mov_b32_e32 v133, v132
	v_mov_b32_e32 v140, v132
	v_mov_b32_e32 v141, v132
	s_waitcnt lgkmcnt(1)
	v_mov_b32_e32 v135, v134
	v_mov_b32_e32 v142, v134
	v_mov_b32_e32 v143, v134
	s_waitcnt lgkmcnt(0)
	v_mov_b32_e32 v137, v136
	v_mov_b32_e32 v144, v136
	v_mov_b32_e32 v145, v136
.LBB176_6:                              ;   Parent Loop BB176_5 Depth=1
                                        ; =>  This Inner Loop Header: Depth=2
	s_lshl_b32 s19, s20, 1
	v_or_b32_e32 v34, s19, v63
	s_lshr_b32 s21, s20, 1
	s_lshl_b32 s20, s20, 3
	v_lshlrev_b32_e32 v46, 2, v34
	v_add_u32_e32 v51, s20, v117
	v_add_u32_e32 v59, s20, v119
	;; [unrolled: 1-line block ×4, first 2 shown]
	v_lshrrev_b32_e32 v62, 1, v34
	ds_read_b128 v[34:37], v46 offset:33280
	ds_read_b128 v[38:41], v46 offset:33296
	;; [unrolled: 1-line block ×4, first 2 shown]
	ds_read2_b32 v[196:197], v51 offset0:6 offset1:7
	ds_read2_b32 v[200:201], v51 offset0:4 offset1:5
	ds_read2_b32 v[194:195], v51 offset0:2 offset1:3
	ds_read2_b32 v[198:199], v51 offset1:1
	ds_read2_b32 v[202:203], v51 offset0:14 offset1:15
	ds_read2_b32 v[204:205], v51 offset0:12 offset1:13
	ds_read2_b32 v[206:207], v51 offset0:10 offset1:11
	ds_read2_b32 v[208:209], v51 offset0:8 offset1:9
	ds_read2_b32 v[180:181], v59 offset0:6 offset1:7
	ds_read2_b32 v[184:185], v59 offset0:4 offset1:5
	ds_read2_b32 v[178:179], v59 offset0:2 offset1:3
	ds_read2_b32 v[182:183], v59 offset1:1
	ds_read2_b32 v[186:187], v59 offset0:14 offset1:15
	ds_read2_b32 v[188:189], v59 offset0:12 offset1:13
	ds_read2_b32 v[190:191], v59 offset0:10 offset1:11
	ds_read2_b32 v[192:193], v59 offset0:8 offset1:9
	;; [unrolled: 8-line block ×4, first 2 shown]
	v_mov_b32_e32 v56, 0
	v_mov_b32_e32 v57, 0
	;; [unrolled: 1-line block ×16, first 2 shown]
	s_waitcnt lgkmcnt(14)
	v_dot4c_i32_i8_e32 v56, v204, v46
	v_dot4c_i32_i8_e32 v57, v208, v42
	;; [unrolled: 1-line block ×8, first 2 shown]
	s_waitcnt lgkmcnt(10)
	v_dot4c_i32_i8_e32 v74, v172, v46
	s_waitcnt lgkmcnt(8)
	v_dot4c_i32_i8_e32 v76, v176, v42
	v_dot4c_i32_i8_e32 v78, v168, v38
	;; [unrolled: 1-line block ×3, first 2 shown]
	s_waitcnt lgkmcnt(2)
	v_dot4c_i32_i8_e32 v66, v160, v46
	s_waitcnt lgkmcnt(0)
	v_dot4c_i32_i8_e32 v68, v156, v42
	v_dot4c_i32_i8_e32 v70, v152, v38
	;; [unrolled: 1-line block ×19, first 2 shown]
	v_or_b32_e32 v34, s19, v103
	v_dot4c_i32_i8_e32 v56, v202, v48
	v_dot4c_i32_i8_e32 v57, v206, v44
	;; [unrolled: 1-line block ×16, first 2 shown]
	v_lshlrev_b32_e32 v46, 2, v34
	v_dot4c_i32_i8_e32 v56, v203, v49
	v_dot4c_i32_i8_e32 v57, v207, v45
	;; [unrolled: 1-line block ×16, first 2 shown]
	v_lshrrev_b32_e32 v124, 1, v34
	ds_read_b128 v[34:37], v46 offset:33280
	ds_read_b128 v[38:41], v46 offset:33296
	;; [unrolled: 1-line block ×4, first 2 shown]
	v_mov_b32_e32 v236, 0
	v_mov_b32_e32 v237, 0
	;; [unrolled: 1-line block ×16, first 2 shown]
	s_waitcnt lgkmcnt(0)
	v_dot4c_i32_i8_e32 v236, v204, v46
	v_dot4c_i32_i8_e32 v237, v208, v42
	v_dot4c_i32_i8_e32 v65, v200, v38
	v_dot4c_i32_i8_e32 v120, v198, v34
	v_dot4c_i32_i8_e32 v108, v188, v46
	v_dot4c_i32_i8_e32 v110, v192, v42
	v_dot4c_i32_i8_e32 v116, v184, v38
	v_dot4c_i32_i8_e32 v235, v182, v34
	v_dot4c_i32_i8_e32 v100, v172, v46
	v_dot4c_i32_i8_e32 v102, v176, v42
	v_dot4c_i32_i8_e32 v104, v168, v38
	v_dot4c_i32_i8_e32 v106, v166, v34
	v_dot4c_i32_i8_e32 v88, v160, v46
	v_dot4c_i32_i8_e32 v90, v156, v42
	v_dot4c_i32_i8_e32 v92, v152, v38
	v_dot4c_i32_i8_e32 v94, v148, v34
	v_dot4c_i32_i8_e32 v236, v205, v47
	v_dot4c_i32_i8_e32 v237, v209, v43
	v_dot4c_i32_i8_e32 v65, v201, v39
	v_dot4c_i32_i8_e32 v120, v199, v35
	v_dot4c_i32_i8_e32 v108, v189, v47
	v_dot4c_i32_i8_e32 v110, v193, v43
	v_dot4c_i32_i8_e32 v116, v185, v39
	v_dot4c_i32_i8_e32 v235, v183, v35
	v_dot4c_i32_i8_e32 v100, v173, v47
	v_dot4c_i32_i8_e32 v102, v177, v43
	v_dot4c_i32_i8_e32 v104, v169, v39
	v_dot4c_i32_i8_e32 v106, v167, v35
	v_dot4c_i32_i8_e32 v88, v161, v47
	v_dot4c_i32_i8_e32 v90, v157, v43
	v_dot4c_i32_i8_e32 v92, v153, v39
	v_dot4c_i32_i8_e32 v94, v149, v35
	v_or_b32_e32 v34, s19, v105
	v_dot4c_i32_i8_e32 v236, v202, v48
	v_dot4c_i32_i8_e32 v237, v206, v44
	;; [unrolled: 1-line block ×16, first 2 shown]
	v_lshlrev_b32_e32 v46, 2, v34
	v_dot4c_i32_i8_e32 v236, v203, v49
	v_dot4c_i32_i8_e32 v237, v207, v45
	;; [unrolled: 1-line block ×16, first 2 shown]
	v_lshrrev_b32_e32 v85, 1, v34
	ds_read_b128 v[34:37], v46 offset:33280
	ds_read_b128 v[38:41], v46 offset:33296
	ds_read_b128 v[42:45], v46 offset:33312
	ds_read_b128 v[46:49], v46 offset:33328
	v_mov_b32_e32 v89, 0
	v_mov_b32_e32 v97, 0
	;; [unrolled: 1-line block ×16, first 2 shown]
	s_waitcnt lgkmcnt(0)
	v_dot4c_i32_i8_e32 v89, v204, v46
	v_dot4c_i32_i8_e32 v97, v208, v42
	v_dot4c_i32_i8_e32 v127, v200, v38
	v_dot4c_i32_i8_e32 v126, v198, v34
	v_dot4c_i32_i8_e32 v243, v188, v46
	v_dot4c_i32_i8_e32 v244, v192, v42
	v_dot4c_i32_i8_e32 v248, v184, v38
	v_dot4c_i32_i8_e32 v249, v182, v34
	v_dot4c_i32_i8_e32 v118, v172, v46
	v_dot4c_i32_i8_e32 v238, v176, v42
	v_dot4c_i32_i8_e32 v241, v168, v38
	v_dot4c_i32_i8_e32 v242, v166, v34
	v_dot4c_i32_i8_e32 v112, v160, v46
	v_dot4c_i32_i8_e32 v114, v156, v42
	v_dot4c_i32_i8_e32 v239, v152, v38
	v_dot4c_i32_i8_e32 v240, v148, v34
	s_add_i32 s21, s21, 0xa200
	v_lshlrev_b32_e32 v229, 2, v71
	v_lshlrev_b32_e32 v230, 2, v67
	v_dot4c_i32_i8_e32 v89, v205, v47
	v_dot4c_i32_i8_e32 v97, v209, v43
	;; [unrolled: 1-line block ×16, first 2 shown]
	v_or_b32_e32 v34, s19, v107
	v_add3_u32 v98, s21, v229, v230
	v_dot4c_i32_i8_e32 v89, v202, v48
	v_dot4c_i32_i8_e32 v97, v206, v44
	;; [unrolled: 1-line block ×16, first 2 shown]
	v_lshlrev_b32_e32 v46, 2, v34
	v_dot4c_i32_i8_e32 v89, v203, v49
	v_dot4c_i32_i8_e32 v97, v207, v45
	;; [unrolled: 1-line block ×16, first 2 shown]
	v_lshrrev_b32_e32 v128, 1, v34
	ds_read_b128 v[34:37], v46 offset:33280
	ds_read_b128 v[38:41], v46 offset:33296
	;; [unrolled: 1-line block ×4, first 2 shown]
	ds_read_b64 v[210:211], v62 offset:43584
	ds_read_b32 v98, v98
	v_mov_b32_e32 v129, 0
	s_waitcnt lgkmcnt(4)
	v_dot4c_i32_i8_e32 v129, v200, v38
	v_dot4c_i32_i8_e32 v129, v201, v39
	;; [unrolled: 1-line block ×3, first 2 shown]
	s_waitcnt lgkmcnt(0)
	v_bfe_i32 v62, v98, 8, 8
	v_bfe_i32 v247, v98, 0, 8
	v_ashrrev_i32_e32 v245, 24, v98
	v_bfe_i32 v246, v98, 16, 8
	v_mul_lo_u32 v98, v65, v62
	v_mov_b32_e32 v65, 0
	v_dot4c_i32_i8_e32 v65, v198, v34
	v_dot4c_i32_i8_e32 v65, v199, v35
	ds_read_b64 v[250:251], v124 offset:43584
	ds_read_b64 v[212:213], v85 offset:43584
	;; [unrolled: 1-line block ×3, first 2 shown]
	v_mov_b32_e32 v85, 0
	v_dot4c_i32_i8_e32 v129, v197, v41
	v_dot4c_i32_i8_e32 v65, v194, v36
	v_lshlrev_b32_e32 v231, 2, v91
	v_lshlrev_b32_e32 v232, 2, v95
	;; [unrolled: 1-line block ×3, first 2 shown]
	v_dot4c_i32_i8_e32 v85, v204, v46
	v_mov_b32_e32 v128, 0
	v_mul_lo_u32 v124, v126, v247
	v_mul_lo_u32 v126, v129, v62
	v_dot4c_i32_i8_e32 v65, v195, v37
	v_add3_u32 v51, s21, v231, v226
	v_add3_u32 v59, s21, v232, v227
	;; [unrolled: 1-line block ×3, first 2 shown]
	v_dot4c_i32_i8_e32 v85, v205, v47
	v_dot4c_i32_i8_e32 v128, v208, v42
	v_mul_lo_u32 v96, v96, v247
	v_mad_u64_u32 v[214:215], s[20:21], v65, v247, v[126:127]
	v_mad_u64_u32 v[216:217], s[20:21], v127, v62, v[124:125]
	v_dot4c_i32_i8_e32 v85, v202, v48
	v_dot4c_i32_i8_e32 v128, v209, v43
	v_mad_u64_u32 v[254:255], s[20:21], v120, v247, v[98:99]
	v_mad_u64_u32 v[126:127], s[20:21], v58, v62, v[96:97]
	v_cvt_f32_i32_e32 v217, v216
	v_cvt_f32_i32_e32 v216, v214
	v_mul_lo_u32 v98, v57, v246
	v_mul_lo_u32 v120, v236, v245
	v_dot4c_i32_i8_e32 v85, v203, v49
	v_dot4c_i32_i8_e32 v128, v206, v44
	v_cvt_f32_i32_e32 v127, v126
	v_cvt_f32_i32_e32 v126, v254
	v_mad_u64_u32 v[236:237], s[20:21], v237, v246, v[120:121]
	v_mad_u64_u32 v[56:57], s[20:21], v56, v245, v[98:99]
	v_dot4c_i32_i8_e32 v128, v207, v45
	v_mul_lo_u32 v58, v97, v246
	v_mul_lo_u32 v96, v85, v245
	v_cvt_f32_i32_e32 v57, v56
	v_cvt_f32_i32_e32 v56, v236
	s_waitcnt lgkmcnt(0)
	v_mov_b32_e32 v214, v252
	v_mov_b32_e32 v215, v212
	v_mad_u64_u32 v[128:129], s[20:21], v128, v246, v[96:97]
	v_mad_u64_u32 v[96:97], s[20:21], v89, v245, v[58:59]
	v_pk_fma_f32 v[254:255], v[214:215], v[216:217], 0 op_sel_hi:[1,1,0]
	v_mov_b32_e32 v216, v250
	v_mov_b32_e32 v217, v210
	v_cvt_f32_i32_e32 v97, v96
	v_cvt_f32_i32_e32 v96, v128
	v_pk_fma_f32 v[126:127], v[216:217], v[126:127], 0 op_sel_hi:[1,1,0]
	v_mov_b32_e32 v210, v251
	v_pk_fma_f32 v[56:57], v[210:211], v[56:57], v[126:127]
	v_mov_b32_e32 v212, v253
	v_pk_fma_f32 v[30:31], v[130:131], v[56:57], v[30:31]
	ds_read_b32 v56, v51
	v_pk_fma_f32 v[96:97], v[212:213], v[96:97], v[254:255]
	v_mov_b32_e32 v89, 0
	v_pk_fma_f32 v[32:33], v[138:139], v[96:97], v[32:33]
	v_dot4c_i32_i8_e32 v89, v184, v38
	v_mov_b32_e32 v97, 0
	v_dot4c_i32_i8_e32 v89, v185, v39
	v_dot4c_i32_i8_e32 v97, v182, v34
	;; [unrolled: 1-line block ×4, first 2 shown]
	v_mov_b32_e32 v65, 0
	v_dot4c_i32_i8_e32 v89, v181, v41
	v_dot4c_i32_i8_e32 v97, v178, v36
	s_waitcnt lgkmcnt(0)
	v_bfe_i32 v57, v56, 8, 8
	v_bfe_i32 v58, v56, 0, 8
	v_dot4c_i32_i8_e32 v65, v188, v46
	v_dot4c_i32_i8_e32 v97, v179, v37
	v_ashrrev_i32_e32 v51, 24, v56
	v_bfe_i32 v56, v56, 16, 8
	v_mul_lo_u32 v86, v86, v58
	v_mul_lo_u32 v96, v116, v57
	;; [unrolled: 1-line block ×3, first 2 shown]
	v_dot4c_i32_i8_e32 v65, v189, v47
	v_mad_u64_u32 v[126:127], s[20:21], v97, v58, v[116:117]
	v_mad_u64_u32 v[96:97], s[20:21], v235, v58, v[96:97]
	;; [unrolled: 1-line block ×3, first 2 shown]
	v_mul_lo_u32 v82, v82, v56
	v_dot4c_i32_i8_e32 v65, v186, v48
	v_cvt_f32_i32_e32 v97, v236
	v_mad_u64_u32 v[236:237], s[20:21], v60, v51, v[82:83]
	ds_read_b32 v60, v59
	v_dot4c_i32_i8_e32 v65, v187, v49
	v_mov_b32_e32 v85, 0
	v_dot4c_i32_i8_e32 v85, v192, v42
	v_dot4c_i32_i8_e32 v85, v193, v43
	v_mul_lo_u32 v86, v65, v51
	v_mov_b32_e32 v65, 0
	v_dot4c_i32_i8_e32 v65, v172, v46
	v_dot4c_i32_i8_e32 v85, v190, v44
	v_mul_lo_u32 v98, v249, v58
	v_dot4c_i32_i8_e32 v65, v173, v47
	v_dot4c_i32_i8_e32 v85, v191, v45
	v_mad_u64_u32 v[128:129], s[20:21], v248, v57, v[98:99]
	v_mul_lo_u32 v84, v244, v56
	v_mul_lo_u32 v98, v108, v51
	v_dot4c_i32_i8_e32 v65, v170, v48
	s_waitcnt lgkmcnt(0)
	v_bfe_i32 v244, v60, 0, 8
	v_cvt_f32_i32_e32 v127, v128
	v_mad_u64_u32 v[128:129], s[20:21], v110, v56, v[98:99]
	v_mad_u64_u32 v[250:251], s[20:21], v243, v51, v[84:85]
	v_dot4c_i32_i8_e32 v65, v171, v49
	v_bfe_i32 v243, v60, 8, 8
	v_ashrrev_i32_e32 v59, 24, v60
	v_mul_lo_u32 v80, v80, v244
	v_cvt_f32_i32_e32 v96, v96
	v_cvt_f32_i32_e32 v129, v236
	v_mad_u64_u32 v[236:237], s[20:21], v78, v243, v[80:81]
	v_mul_lo_u32 v80, v65, v59
	v_mov_b32_e32 v65, 0
	v_mad_u64_u32 v[248:249], s[20:21], v85, v56, v[86:87]
	v_cvt_f32_i32_e32 v128, v128
	v_mov_b32_e32 v85, 0
	v_dot4c_i32_i8_e32 v65, v160, v46
	v_mov_b32_e32 v46, 0
	v_dot4c_i32_i8_e32 v85, v176, v42
	;; [unrolled: 2-line block ×3, first 2 shown]
	v_mov_b32_e32 v42, 0
	v_cvt_f32_i32_e32 v126, v126
	v_dot4c_i32_i8_e32 v86, v168, v38
	v_dot4c_i32_i8_e32 v42, v152, v38
	v_pk_fma_f32 v[96:97], v[216:217], v[96:97], 0 op_sel_hi:[1,1,0]
	v_cvt_f32_i32_e32 v249, v250
	v_cvt_f32_i32_e32 v248, v248
	v_dot4c_i32_i8_e32 v86, v169, v39
	v_mov_b32_e32 v89, 0
	v_mul_lo_u32 v82, v104, v243
	v_dot4c_i32_i8_e32 v42, v153, v39
	v_mov_b32_e32 v39, 0
	v_pk_fma_f32 v[96:97], v[210:211], v[128:129], v[96:97]
	v_dot4c_i32_i8_e32 v89, v166, v34
	v_mad_u64_u32 v[128:129], s[20:21], v106, v244, v[82:83]
	v_dot4c_i32_i8_e32 v39, v148, v34
	ds_read_b32 v34, v64
	v_dot4c_i32_i8_e32 v85, v177, v43
	v_dot4c_i32_i8_e32 v86, v164, v40
	;; [unrolled: 1-line block ×3, first 2 shown]
	v_cvt_f32_i32_e32 v129, v236
	v_cvt_f32_i32_e32 v128, v128
	v_pk_fma_f32 v[126:127], v[214:215], v[126:127], 0 op_sel_hi:[1,1,0]
	v_dot4c_i32_i8_e32 v85, v174, v44
	v_dot4c_i32_i8_e32 v86, v165, v41
	;; [unrolled: 1-line block ×3, first 2 shown]
	v_bfe_i32 v60, v60, 16, 8
	v_pk_fma_f32 v[126:127], v[212:213], v[248:249], v[126:127]
	v_dot4c_i32_i8_e32 v85, v175, v45
	v_dot4c_i32_i8_e32 v89, v163, v37
	v_mul_lo_u32 v84, v242, v244
	v_mul_lo_u32 v86, v86, v243
	;; [unrolled: 1-line block ×3, first 2 shown]
	v_pk_fma_f32 v[28:29], v[140:141], v[126:127], v[28:29]
	v_pk_fma_f32 v[26:27], v[132:133], v[96:97], v[26:27]
	v_mad_u64_u32 v[96:97], s[20:21], v89, v244, v[86:87]
	v_mad_u64_u32 v[126:127], s[20:21], v241, v243, v[84:85]
	v_mul_lo_u32 v82, v100, v59
	v_mad_u64_u32 v[236:237], s[20:21], v74, v59, v[76:77]
	v_dot4c_i32_i8_e32 v42, v150, v40
	v_dot4c_i32_i8_e32 v39, v149, v35
	v_cvt_f32_i32_e32 v97, v126
	v_pk_fma_f32 v[126:127], v[216:217], v[128:129], 0 op_sel_hi:[1,1,0]
	v_mul_lo_u32 v78, v238, v60
	v_mad_u64_u32 v[128:129], s[20:21], v102, v60, v[82:83]
	v_dot4c_i32_i8_e32 v65, v161, v47
	v_dot4c_i32_i8_e32 v42, v151, v41
	;; [unrolled: 1-line block ×3, first 2 shown]
	s_waitcnt lgkmcnt(0)
	v_bfe_i32 v237, v34, 8, 8
	v_bfe_i32 v238, v34, 0, 8
	v_cvt_f32_i32_e32 v129, v236
	v_dot4c_i32_i8_e32 v65, v158, v48
	v_dot4c_i32_i8_e32 v46, v157, v43
	;; [unrolled: 1-line block ×3, first 2 shown]
	v_ashrrev_i32_e32 v235, 24, v34
	v_bfe_i32 v236, v34, 16, 8
	v_mul_lo_u32 v34, v72, v238
	v_mul_lo_u32 v36, v92, v237
	;; [unrolled: 1-line block ×4, first 2 shown]
	v_dot4c_i32_i8_e32 v65, v159, v49
	v_dot4c_i32_i8_e32 v46, v154, v44
	v_mad_u64_u32 v[40:41], s[20:21], v39, v238, v[40:41]
	v_mad_u64_u32 v[38:39], s[20:21], v239, v237, v[38:39]
	;; [unrolled: 1-line block ×4, first 2 shown]
	v_dot4c_i32_i8_e32 v46, v155, v45
	v_cvt_f32_i32_e32 v35, v34
	v_cvt_f32_i32_e32 v34, v36
	;; [unrolled: 1-line block ×4, first 2 shown]
	v_mul_lo_u32 v38, v114, v236
	v_mul_lo_u32 v40, v65, v235
	;; [unrolled: 1-line block ×4, first 2 shown]
	v_mad_u64_u32 v[44:45], s[20:21], v90, v236, v[44:45]
	v_mad_u64_u32 v[42:43], s[20:21], v66, v235, v[42:43]
	v_mad_u64_u32 v[40:41], s[20:21], v46, v236, v[40:41]
	v_mad_u64_u32 v[38:39], s[20:21], v112, v235, v[38:39]
	v_cvt_f32_i32_e32 v39, v38
	v_cvt_f32_i32_e32 v38, v40
	;; [unrolled: 1-line block ×4, first 2 shown]
	v_pk_fma_f32 v[34:35], v[216:217], v[34:35], 0 op_sel_hi:[1,1,0]
	v_pk_fma_f32 v[36:37], v[214:215], v[36:37], 0 op_sel_hi:[1,1,0]
	v_cvt_f32_i32_e32 v96, v96
	v_pk_fma_f32 v[34:35], v[210:211], v[40:41], v[34:35]
	v_mad_u64_u32 v[248:249], s[20:21], v85, v60, v[80:81]
	v_pk_fma_f32 v[18:19], v[136:137], v[34:35], v[18:19]
	v_or_b32_e32 v34, s19, v109
	v_mad_u64_u32 v[250:251], s[20:21], v118, v59, v[78:79]
	v_pk_fma_f32 v[36:37], v[212:213], v[38:39], v[36:37]
	v_lshlrev_b32_e32 v46, 2, v34
	v_cvt_f32_i32_e32 v249, v250
	v_cvt_f32_i32_e32 v248, v248
	;; [unrolled: 1-line block ×3, first 2 shown]
	v_pk_fma_f32 v[20:21], v[144:145], v[36:37], v[20:21]
	v_lshrrev_b32_e32 v80, 1, v34
	ds_read_b128 v[34:37], v46 offset:33280
	ds_read_b128 v[38:41], v46 offset:33296
	;; [unrolled: 1-line block ×4, first 2 shown]
	v_pk_fma_f32 v[96:97], v[214:215], v[96:97], 0 op_sel_hi:[1,1,0]
	v_pk_fma_f32 v[126:127], v[210:211], v[128:129], v[126:127]
	v_pk_fma_f32 v[96:97], v[212:213], v[248:249], v[96:97]
	v_mov_b32_e32 v90, 0
	v_mov_b32_e32 v94, 0
	;; [unrolled: 1-line block ×16, first 2 shown]
	s_waitcnt lgkmcnt(0)
	v_dot4c_i32_i8_e32 v90, v204, v46
	v_dot4c_i32_i8_e32 v94, v208, v42
	v_dot4c_i32_i8_e32 v98, v200, v38
	v_dot4c_i32_i8_e32 v102, v198, v34
	v_dot4c_i32_i8_e32 v72, v188, v46
	v_dot4c_i32_i8_e32 v74, v192, v42
	v_dot4c_i32_i8_e32 v76, v184, v38
	v_dot4c_i32_i8_e32 v78, v182, v34
	v_dot4c_i32_i8_e32 v64, v172, v46
	v_dot4c_i32_i8_e32 v66, v176, v42
	v_dot4c_i32_i8_e32 v68, v168, v38
	v_dot4c_i32_i8_e32 v70, v166, v34
	v_dot4c_i32_i8_e32 v210, v160, v46
	v_dot4c_i32_i8_e32 v211, v156, v42
	v_dot4c_i32_i8_e32 v212, v152, v38
	v_dot4c_i32_i8_e32 v213, v148, v34
	v_dot4c_i32_i8_e32 v90, v205, v47
	v_dot4c_i32_i8_e32 v94, v209, v43
	v_dot4c_i32_i8_e32 v98, v201, v39
	v_dot4c_i32_i8_e32 v102, v199, v35
	v_dot4c_i32_i8_e32 v72, v189, v47
	v_dot4c_i32_i8_e32 v74, v193, v43
	v_dot4c_i32_i8_e32 v76, v185, v39
	v_dot4c_i32_i8_e32 v78, v183, v35
	v_dot4c_i32_i8_e32 v64, v173, v47
	v_dot4c_i32_i8_e32 v66, v177, v43
	v_dot4c_i32_i8_e32 v68, v169, v39
	v_dot4c_i32_i8_e32 v70, v167, v35
	v_dot4c_i32_i8_e32 v210, v161, v47
	v_dot4c_i32_i8_e32 v211, v157, v43
	v_dot4c_i32_i8_e32 v212, v153, v39
	v_dot4c_i32_i8_e32 v213, v149, v35
	v_or_b32_e32 v34, s19, v111
	v_dot4c_i32_i8_e32 v90, v202, v48
	v_dot4c_i32_i8_e32 v94, v206, v44
	;; [unrolled: 1-line block ×16, first 2 shown]
	v_lshlrev_b32_e32 v46, 2, v34
	v_dot4c_i32_i8_e32 v90, v203, v49
	v_dot4c_i32_i8_e32 v94, v207, v45
	;; [unrolled: 1-line block ×16, first 2 shown]
	v_lshrrev_b32_e32 v114, 1, v34
	ds_read_b128 v[34:37], v46 offset:33280
	ds_read_b128 v[38:41], v46 offset:33296
	;; [unrolled: 1-line block ×4, first 2 shown]
	v_pk_fma_f32 v[24:25], v[142:143], v[96:97], v[24:25]
	v_mov_b32_e32 v116, 0
	v_mov_b32_e32 v118, 0
	;; [unrolled: 1-line block ×16, first 2 shown]
	s_waitcnt lgkmcnt(0)
	v_dot4c_i32_i8_e32 v116, v204, v46
	v_dot4c_i32_i8_e32 v118, v208, v42
	;; [unrolled: 1-line block ×32, first 2 shown]
	v_or_b32_e32 v34, s19, v113
	v_dot4c_i32_i8_e32 v116, v202, v48
	v_dot4c_i32_i8_e32 v118, v206, v44
	;; [unrolled: 1-line block ×16, first 2 shown]
	v_lshlrev_b32_e32 v46, 2, v34
	v_dot4c_i32_i8_e32 v116, v203, v49
	v_dot4c_i32_i8_e32 v118, v207, v45
	;; [unrolled: 1-line block ×16, first 2 shown]
	v_lshrrev_b32_e32 v85, 1, v34
	ds_read_b128 v[34:37], v46 offset:33280
	ds_read_b128 v[38:41], v46 offset:33296
	;; [unrolled: 1-line block ×4, first 2 shown]
	v_mov_b32_e32 v89, 0
	v_mov_b32_e32 v97, 0
	;; [unrolled: 1-line block ×16, first 2 shown]
	s_waitcnt lgkmcnt(0)
	v_dot4c_i32_i8_e32 v89, v204, v46
	v_dot4c_i32_i8_e32 v97, v208, v42
	;; [unrolled: 1-line block ×32, first 2 shown]
	v_or_b32_e32 v34, s19, v115
	v_dot4c_i32_i8_e32 v89, v202, v48
	v_dot4c_i32_i8_e32 v97, v206, v44
	;; [unrolled: 1-line block ×16, first 2 shown]
	v_lshlrev_b32_e32 v46, 2, v34
	v_dot4c_i32_i8_e32 v89, v203, v49
	v_dot4c_i32_i8_e32 v97, v207, v45
	;; [unrolled: 1-line block ×16, first 2 shown]
	v_lshrrev_b32_e32 v128, 1, v34
	ds_read_b128 v[34:37], v46 offset:33280
	ds_read_b128 v[38:41], v46 offset:33296
	;; [unrolled: 1-line block ×4, first 2 shown]
	v_mov_b32_e32 v253, 0
	v_mov_b32_e32 v254, 0
	v_pk_fma_f32 v[22:23], v[134:135], v[126:127], v[22:23]
	s_waitcnt lgkmcnt(1)
	v_dot4c_i32_i8_e32 v254, v208, v42
	s_waitcnt lgkmcnt(0)
	v_dot4c_i32_i8_e32 v253, v204, v46
	v_dot4c_i32_i8_e32 v253, v205, v47
	;; [unrolled: 1-line block ×3, first 2 shown]
	v_mov_b32_e32 v202, 0
	v_dot4c_i32_i8_e32 v202, v200, v38
	v_mov_b32_e32 v200, 0
	v_dot4c_i32_i8_e32 v202, v201, v39
	v_dot4c_i32_i8_e32 v200, v198, v34
	;; [unrolled: 1-line block ×8, first 2 shown]
	ds_read_b64 v[194:195], v80 offset:43584
	ds_read_b64 v[126:127], v114 offset:43584
	;; [unrolled: 1-line block ×4, first 2 shown]
	v_mul_lo_u32 v114, v252, v247
	v_mul_lo_u32 v198, v202, v62
	;; [unrolled: 1-line block ×3, first 2 shown]
	v_dot4c_i32_i8_e32 v253, v203, v49
	v_dot4c_i32_i8_e32 v254, v206, v44
	v_mul_lo_u32 v80, v102, v247
	v_mul_lo_u32 v102, v249, v62
	v_mad_u64_u32 v[198:199], s[20:21], v200, v247, v[198:199]
	v_mad_u64_u32 v[200:201], s[20:21], v251, v62, v[114:115]
	;; [unrolled: 1-line block ×3, first 2 shown]
	v_mov_b32_e32 v90, 0
	v_mov_b32_e32 v94, 0
	v_dot4c_i32_i8_e32 v254, v207, v45
	v_mad_u64_u32 v[202:203], s[20:21], v124, v247, v[102:103]
	v_mad_u64_u32 v[204:205], s[20:21], v98, v62, v[80:81]
	v_cvt_f32_i32_e32 v201, v200
	v_cvt_f32_i32_e32 v200, v198
	v_mul_lo_u32 v62, v97, v246
	v_mul_lo_u32 v80, v253, v245
	;; [unrolled: 1-line block ×3, first 2 shown]
	v_dot4c_i32_i8_e32 v90, v184, v38
	v_dot4c_i32_i8_e32 v94, v182, v34
	v_cvt_f32_i32_e32 v203, v204
	v_cvt_f32_i32_e32 v202, v202
	v_mad_u64_u32 v[206:207], s[20:21], v118, v246, v[98:99]
	v_mad_u64_u32 v[246:247], s[20:21], v254, v246, v[80:81]
	;; [unrolled: 1-line block ×3, first 2 shown]
	v_dot4c_i32_i8_e32 v90, v185, v39
	v_dot4c_i32_i8_e32 v94, v183, v35
	v_cvt_f32_i32_e32 v247, v252
	v_cvt_f32_i32_e32 v246, v246
	v_cvt_f32_i32_e32 v207, v208
	v_cvt_f32_i32_e32 v206, v206
	v_mov_b32_e32 v85, 0
	v_dot4c_i32_i8_e32 v90, v180, v40
	v_dot4c_i32_i8_e32 v94, v178, v36
	v_mul_lo_u32 v62, v78, v58
	v_mul_lo_u32 v78, v100, v57
	s_waitcnt lgkmcnt(0)
	v_mov_b32_e32 v198, v128
	v_mov_b32_e32 v199, v196
	v_dot4c_i32_i8_e32 v85, v188, v46
	v_mov_b32_e32 v89, 0
	v_dot4c_i32_i8_e32 v90, v181, v41
	v_dot4c_i32_i8_e32 v94, v179, v37
	v_mad_u64_u32 v[178:179], s[20:21], v104, v58, v[78:79]
	v_mad_u64_u32 v[180:181], s[20:21], v76, v57, v[62:63]
	v_pk_fma_f32 v[204:205], v[198:199], v[200:201], 0 op_sel_hi:[1,1,0]
	v_mov_b32_e32 v200, v126
	v_mov_b32_e32 v201, v194
	v_dot4c_i32_i8_e32 v85, v189, v47
	v_dot4c_i32_i8_e32 v89, v192, v42
	v_cvt_f32_i32_e32 v179, v180
	v_cvt_f32_i32_e32 v178, v178
	v_pk_fma_f32 v[202:203], v[200:201], v[202:203], 0 op_sel_hi:[1,1,0]
	v_mov_b32_e32 v194, v127
	v_mov_b32_e32 v196, v129
	v_dot4c_i32_i8_e32 v85, v186, v48
	v_dot4c_i32_i8_e32 v89, v193, v43
	v_pk_fma_f32 v[126:127], v[194:195], v[206:207], v[202:203]
	v_pk_fma_f32 v[128:129], v[196:197], v[246:247], v[204:205]
	v_dot4c_i32_i8_e32 v85, v187, v49
	v_dot4c_i32_i8_e32 v89, v190, v44
	v_mul_lo_u32 v80, v250, v58
	v_mul_lo_u32 v90, v90, v57
	v_pk_fma_f32 v[16:17], v[138:139], v[128:129], v[16:17]
	v_pk_fma_f32 v[14:15], v[130:131], v[126:127], v[14:15]
	v_dot4c_i32_i8_e32 v89, v191, v45
	v_mad_u64_u32 v[126:127], s[20:21], v94, v58, v[90:91]
	v_mad_u64_u32 v[128:129], s[20:21], v65, v57, v[80:81]
	v_mul_lo_u32 v58, v120, v56
	v_mul_lo_u32 v62, v85, v51
	;; [unrolled: 1-line block ×4, first 2 shown]
	v_cvt_f32_i32_e32 v127, v128
	v_cvt_f32_i32_e32 v126, v126
	v_pk_fma_f32 v[128:129], v[200:201], v[178:179], 0 op_sel_hi:[1,1,0]
	v_mad_u64_u32 v[96:97], s[20:21], v96, v56, v[76:77]
	v_mad_u64_u32 v[178:179], s[20:21], v72, v51, v[74:75]
	;; [unrolled: 1-line block ×4, first 2 shown]
	v_mov_b32_e32 v51, 0
	v_cvt_f32_i32_e32 v57, v180
	v_cvt_f32_i32_e32 v56, v56
	v_dot4c_i32_i8_e32 v51, v172, v46
	v_dot4c_i32_i8_e32 v51, v173, v47
	;; [unrolled: 1-line block ×3, first 2 shown]
	v_pk_fma_f32 v[126:127], v[198:199], v[126:127], 0 op_sel_hi:[1,1,0]
	v_dot4c_i32_i8_e32 v51, v171, v49
	v_mul_lo_u32 v62, v112, v244
	v_pk_fma_f32 v[56:57], v[196:197], v[56:57], v[126:127]
	v_mad_u64_u32 v[126:127], s[20:21], v110, v243, v[62:63]
	v_mul_lo_u32 v62, v51, v59
	v_mov_b32_e32 v51, 0
	v_mov_b32_e32 v72, 0
	v_dot4c_i32_i8_e32 v51, v160, v46
	v_mov_b32_e32 v46, 0
	v_pk_fma_f32 v[12:13], v[140:141], v[56:57], v[12:13]
	v_dot4c_i32_i8_e32 v72, v176, v42
	v_mov_b32_e32 v57, 0
	v_dot4c_i32_i8_e32 v46, v156, v42
	v_mov_b32_e32 v42, 0
	v_dot4c_i32_i8_e32 v57, v168, v38
	v_dot4c_i32_i8_e32 v42, v152, v38
	;; [unrolled: 1-line block ×4, first 2 shown]
	v_mov_b32_e32 v39, 0
	v_cvt_f32_i32_e32 v97, v178
	v_cvt_f32_i32_e32 v96, v96
	v_mov_b32_e32 v65, 0
	v_dot4c_i32_i8_e32 v39, v148, v34
	v_dot4c_i32_i8_e32 v65, v166, v34
	;; [unrolled: 1-line block ×15, first 2 shown]
	v_mul_lo_u32 v34, v213, v238
	v_mul_lo_u32 v36, v216, v237
	v_mul_lo_u32 v38, v242, v238
	v_mul_lo_u32 v40, v42, v237
	v_pk_fma_f32 v[96:97], v[194:195], v[96:97], v[128:129]
	v_dot4c_i32_i8_e32 v72, v174, v44
	v_dot4c_i32_i8_e32 v65, v163, v37
	v_mul_lo_u32 v56, v70, v244
	v_mul_lo_u32 v58, v86, v243
	;; [unrolled: 1-line block ×3, first 2 shown]
	v_dot4c_i32_i8_e32 v51, v159, v49
	v_dot4c_i32_i8_e32 v46, v154, v44
	v_mad_u64_u32 v[40:41], s[20:21], v39, v238, v[40:41]
	v_mad_u64_u32 v[38:39], s[20:21], v241, v237, v[38:39]
	;; [unrolled: 1-line block ×4, first 2 shown]
	v_pk_fma_f32 v[10:11], v[132:133], v[96:97], v[10:11]
	v_dot4c_i32_i8_e32 v72, v175, v45
	v_mad_u64_u32 v[96:97], s[20:21], v65, v244, v[70:71]
	v_mad_u64_u32 v[128:129], s[20:21], v88, v244, v[58:59]
	;; [unrolled: 1-line block ×3, first 2 shown]
	v_mul_lo_u32 v58, v108, v60
	v_mul_lo_u32 v66, v66, v60
	;; [unrolled: 1-line block ×3, first 2 shown]
	v_dot4c_i32_i8_e32 v46, v155, v45
	v_cvt_f32_i32_e32 v35, v34
	v_cvt_f32_i32_e32 v34, v36
	;; [unrolled: 1-line block ×4, first 2 shown]
	v_mul_lo_u32 v38, v240, v236
	v_mul_lo_u32 v40, v51, v235
	;; [unrolled: 1-line block ×4, first 2 shown]
	v_cvt_f32_i32_e32 v57, v56
	v_cvt_f32_i32_e32 v56, v128
	;; [unrolled: 1-line block ×4, first 2 shown]
	v_mad_u64_u32 v[126:127], s[20:21], v84, v60, v[68:69]
	v_mad_u64_u32 v[64:65], s[20:21], v64, v59, v[66:67]
	;; [unrolled: 1-line block ×8, first 2 shown]
	v_cvt_f32_i32_e32 v59, v58
	v_cvt_f32_i32_e32 v58, v128
	;; [unrolled: 1-line block ×8, first 2 shown]
	v_pk_fma_f32 v[96:97], v[198:199], v[96:97], 0 op_sel_hi:[1,1,0]
	v_pk_fma_f32 v[56:57], v[200:201], v[56:57], 0 op_sel_hi:[1,1,0]
	;; [unrolled: 1-line block ×4, first 2 shown]
	v_pk_fma_f32 v[56:57], v[194:195], v[64:65], v[56:57]
	v_pk_fma_f32 v[58:59], v[196:197], v[58:59], v[96:97]
	;; [unrolled: 1-line block ×8, first 2 shown]
	s_mov_b32 s20, 8
	s_and_b64 vcc, exec, s[0:1]
	s_mov_b64 s[0:1], 0
	s_cbranch_vccnz .LBB176_6
; %bb.7:                                ;   in Loop: Header=BB176_5 Depth=1
	s_barrier
	scratch_load_dword v34, off, off offset:4 ; 4-byte Folded Reload
	v_add_u32_e32 v48, s18, v91
	v_add_u32_e32 v36, v48, v75
	;; [unrolled: 1-line block ×5, first 2 shown]
	v_mad_i64_i32 v[36:37], s[0:1], v36, 36, v[0:1]
	v_mad_i64_i32 v[38:39], s[0:1], v38, 36, v[0:1]
	;; [unrolled: 1-line block ×3, first 2 shown]
	v_add_u32_e32 v42, v48, v81
	v_add_u32_e32 v44, v48, v83
	;; [unrolled: 1-line block ×3, first 2 shown]
	v_mad_u64_u32 v[56:57], s[0:1], v51, 36, s[2:3]
	v_mad_i64_i32 v[42:43], s[0:1], v42, 36, v[0:1]
	v_mad_i64_i32 v[44:45], s[0:1], v44, 36, v[0:1]
	;; [unrolled: 1-line block ×3, first 2 shown]
	s_waitcnt vmcnt(0)
	v_add_u32_e32 v34, v48, v34
	v_mad_i64_i32 v[34:35], s[0:1], v34, 36, v[0:1]
	v_add_u32_e32 v48, v48, v87
	v_mad_i64_i32 v[48:49], s[0:1], v48, 36, v[0:1]
	global_load_dword v51, v[56:57], off
	s_nop 0
	global_load_dword v34, v[34:35], off offset:4
	s_nop 0
	global_load_dword v35, v[36:37], off offset:4
	;; [unrolled: 2-line block ×3, first 2 shown]
	global_load_dword v37, v[40:41], off offset:4
	s_nop 0
	global_load_dword v38, v[42:43], off offset:4
	global_load_dword v39, v[44:45], off offset:4
	;; [unrolled: 1-line block ×4, first 2 shown]
	s_mov_b32 s0, 16
	s_waitcnt vmcnt(7)
	ds_write_b32 v218, v34
	s_waitcnt vmcnt(6)
	ds_write_b32 v219, v35
	s_waitcnt vmcnt(5)
	ds_write_b32 v220, v36
	s_waitcnt vmcnt(4)
	ds_write_b32 v221, v37
	s_waitcnt vmcnt(3)
	ds_write_b32 v222, v38
	s_waitcnt vmcnt(2)
	ds_write_b32 v223, v39
	s_waitcnt vmcnt(1)
	ds_write_b32 v224, v40
	s_waitcnt vmcnt(0)
	ds_write_b32 v225, v41
	scratch_load_dword v34, off, off        ; 4-byte Folded Reload
	v_cvt_f32_f16_e32 v42, v51
	s_waitcnt vmcnt(0)
	ds_write_b32 v34, v42
	s_waitcnt lgkmcnt(0)
	s_barrier
	ds_read_b32 v130, v73
	ds_read_b32 v132, v93 offset:128
	ds_read_b32 v134, v50 offset:256
	;; [unrolled: 1-line block ×3, first 2 shown]
	s_waitcnt lgkmcnt(3)
	v_mov_b32_e32 v131, v130
	v_mov_b32_e32 v138, v130
	v_mov_b32_e32 v139, v130
	s_waitcnt lgkmcnt(2)
	v_mov_b32_e32 v133, v132
	v_mov_b32_e32 v140, v132
	v_mov_b32_e32 v141, v132
	s_waitcnt lgkmcnt(1)
	v_mov_b32_e32 v135, v134
	v_mov_b32_e32 v142, v134
	v_mov_b32_e32 v143, v134
	s_waitcnt lgkmcnt(0)
	v_mov_b32_e32 v137, v136
	v_mov_b32_e32 v144, v136
	v_mov_b32_e32 v145, v136
.LBB176_8:                              ;   Parent Loop BB176_5 Depth=1
                                        ; =>  This Inner Loop Header: Depth=2
	s_lshl_b32 s1, s0, 1
	s_and_b32 s1, s1, 16
	v_or_b32_e32 v34, s1, v63
	s_lshl_b32 s19, s0, 3
	v_lshlrev_b32_e32 v46, 2, v34
	v_add_u32_e32 v56, s19, v117
	v_lshrrev_b32_e32 v51, 1, v34
	ds_read_b128 v[34:37], v46 offset:33280
	ds_read_b128 v[38:41], v46 offset:33296
	;; [unrolled: 1-line block ×4, first 2 shown]
	ds_read2_b32 v[196:197], v56 offset0:6 offset1:7
	ds_read2_b32 v[200:201], v56 offset0:4 offset1:5
	ds_read2_b32 v[194:195], v56 offset0:2 offset1:3
	ds_read2_b32 v[198:199], v56 offset1:1
	ds_read2_b32 v[202:203], v56 offset0:14 offset1:15
	ds_read2_b32 v[204:205], v56 offset0:12 offset1:13
	;; [unrolled: 1-line block ×4, first 2 shown]
	v_add_u32_e32 v56, s19, v119
	ds_read2_b32 v[182:183], v56 offset0:6 offset1:7
	ds_read2_b32 v[184:185], v56 offset0:4 offset1:5
	;; [unrolled: 1-line block ×3, first 2 shown]
	ds_read2_b32 v[180:181], v56 offset1:1
	ds_read2_b32 v[186:187], v56 offset0:14 offset1:15
	ds_read2_b32 v[188:189], v56 offset0:12 offset1:13
	;; [unrolled: 1-line block ×4, first 2 shown]
	v_add_u32_e32 v56, s19, v121
	v_add_u32_e32 v58, s19, v125
	ds_read2_b32 v[166:167], v56 offset0:6 offset1:7
	ds_read2_b32 v[168:169], v56 offset0:4 offset1:5
	;; [unrolled: 1-line block ×3, first 2 shown]
	ds_read2_b32 v[164:165], v56 offset1:1
	ds_read2_b32 v[170:171], v56 offset0:14 offset1:15
	ds_read2_b32 v[172:173], v56 offset0:12 offset1:13
	ds_read2_b32 v[174:175], v56 offset0:10 offset1:11
	ds_read2_b32 v[176:177], v56 offset0:8 offset1:9
	ds_read2_b32 v[150:151], v58 offset0:6 offset1:7
	ds_read2_b32 v[152:153], v58 offset0:4 offset1:5
	ds_read2_b32 v[146:147], v58 offset0:2 offset1:3
	ds_read2_b32 v[148:149], v58 offset1:1
	ds_read2_b32 v[158:159], v58 offset0:14 offset1:15
	ds_read2_b32 v[160:161], v58 offset0:12 offset1:13
	;; [unrolled: 1-line block ×4, first 2 shown]
	v_mov_b32_e32 v84, 0
	v_mov_b32_e32 v88, 0
	;; [unrolled: 1-line block ×16, first 2 shown]
	s_waitcnt lgkmcnt(14)
	v_dot4c_i32_i8_e32 v84, v204, v46
	v_dot4c_i32_i8_e32 v88, v208, v42
	;; [unrolled: 1-line block ×8, first 2 shown]
	s_waitcnt lgkmcnt(10)
	v_dot4c_i32_i8_e32 v64, v172, v46
	s_waitcnt lgkmcnt(8)
	v_dot4c_i32_i8_e32 v66, v176, v42
	v_dot4c_i32_i8_e32 v68, v168, v38
	;; [unrolled: 1-line block ×3, first 2 shown]
	s_waitcnt lgkmcnt(2)
	v_dot4c_i32_i8_e32 v57, v160, v46
	s_waitcnt lgkmcnt(0)
	v_dot4c_i32_i8_e32 v58, v156, v42
	v_dot4c_i32_i8_e32 v59, v152, v38
	;; [unrolled: 1-line block ×19, first 2 shown]
	v_or_b32_e32 v34, s1, v103
	v_dot4c_i32_i8_e32 v84, v202, v48
	v_dot4c_i32_i8_e32 v88, v206, v44
	;; [unrolled: 1-line block ×16, first 2 shown]
	v_lshlrev_b32_e32 v46, 2, v34
	v_dot4c_i32_i8_e32 v84, v203, v49
	v_dot4c_i32_i8_e32 v88, v207, v45
	;; [unrolled: 1-line block ×16, first 2 shown]
	v_lshrrev_b32_e32 v212, 1, v34
	ds_read_b128 v[34:37], v46 offset:33280
	ds_read_b128 v[38:41], v46 offset:33296
	ds_read_b128 v[42:45], v46 offset:33312
	ds_read_b128 v[46:49], v46 offset:33328
	v_mov_b32_e32 v235, 0
	v_mov_b32_e32 v237, 0
	;; [unrolled: 1-line block ×16, first 2 shown]
	s_waitcnt lgkmcnt(0)
	v_dot4c_i32_i8_e32 v235, v204, v46
	v_dot4c_i32_i8_e32 v237, v208, v42
	;; [unrolled: 1-line block ×32, first 2 shown]
	v_or_b32_e32 v34, s1, v105
	v_dot4c_i32_i8_e32 v235, v202, v48
	v_dot4c_i32_i8_e32 v237, v206, v44
	;; [unrolled: 1-line block ×16, first 2 shown]
	v_lshlrev_b32_e32 v46, 2, v34
	v_dot4c_i32_i8_e32 v235, v203, v49
	v_dot4c_i32_i8_e32 v237, v207, v45
	;; [unrolled: 1-line block ×16, first 2 shown]
	v_lshrrev_b32_e32 v85, 1, v34
	ds_read_b128 v[34:37], v46 offset:33280
	ds_read_b128 v[38:41], v46 offset:33296
	;; [unrolled: 1-line block ×4, first 2 shown]
	v_mov_b32_e32 v89, 0
	v_mov_b32_e32 v240, 0
	;; [unrolled: 1-line block ×16, first 2 shown]
	s_lshr_b32 s18, s0, 1
	s_waitcnt lgkmcnt(0)
	v_dot4c_i32_i8_e32 v89, v204, v46
	v_dot4c_i32_i8_e32 v240, v208, v42
	;; [unrolled: 1-line block ×16, first 2 shown]
	s_add_i32 s18, s18, 0xa200
	v_dot4c_i32_i8_e32 v89, v205, v47
	v_dot4c_i32_i8_e32 v240, v209, v43
	v_dot4c_i32_i8_e32 v97, v201, v39
	v_dot4c_i32_i8_e32 v214, v199, v35
	v_dot4c_i32_i8_e32 v242, v189, v47
	v_dot4c_i32_i8_e32 v243, v193, v43
	v_dot4c_i32_i8_e32 v244, v185, v39
	v_dot4c_i32_i8_e32 v245, v181, v35
	v_dot4c_i32_i8_e32 v236, v173, v47
	v_dot4c_i32_i8_e32 v118, v177, v43
	v_dot4c_i32_i8_e32 v120, v169, v39
	v_dot4c_i32_i8_e32 v250, v165, v35
	v_dot4c_i32_i8_e32 v110, v161, v47
	v_dot4c_i32_i8_e32 v114, v157, v43
	v_dot4c_i32_i8_e32 v248, v153, v39
	v_dot4c_i32_i8_e32 v249, v149, v35
	v_or_b32_e32 v34, s1, v107
	v_add3_u32 v98, s18, v229, v230
	v_dot4c_i32_i8_e32 v89, v202, v48
	v_dot4c_i32_i8_e32 v240, v206, v44
	;; [unrolled: 1-line block ×16, first 2 shown]
	v_lshlrev_b32_e32 v46, 2, v34
	v_dot4c_i32_i8_e32 v89, v203, v49
	v_dot4c_i32_i8_e32 v240, v207, v45
	;; [unrolled: 1-line block ×16, first 2 shown]
	v_lshrrev_b32_e32 v128, 1, v34
	ds_read_b128 v[34:37], v46 offset:33280
	ds_read_b128 v[38:41], v46 offset:33296
	;; [unrolled: 1-line block ×4, first 2 shown]
	ds_read_b64 v[210:211], v51 offset:43584
	ds_read_b32 v98, v98
	v_mov_b32_e32 v215, 0
	s_waitcnt lgkmcnt(4)
	v_dot4c_i32_i8_e32 v215, v200, v38
	v_dot4c_i32_i8_e32 v215, v201, v39
	;; [unrolled: 1-line block ×3, first 2 shown]
	s_waitcnt lgkmcnt(0)
	v_bfe_i32 v255, v98, 8, 8
	v_bfe_i32 v51, v98, 0, 8
	v_dot4c_i32_i8_e32 v215, v197, v41
	v_ashrrev_i32_e32 v246, 24, v98
	v_bfe_i32 v247, v98, 16, 8
	ds_read_b64 v[126:127], v212 offset:43584
	ds_read_b64 v[212:213], v85 offset:43584
	;; [unrolled: 1-line block ×3, first 2 shown]
	v_mov_b32_e32 v85, 0
	v_mul_lo_u32 v98, v124, v255
	v_mul_lo_u32 v124, v214, v51
	;; [unrolled: 1-line block ×3, first 2 shown]
	v_mov_b32_e32 v215, 0
	v_dot4c_i32_i8_e32 v85, v204, v46
	v_mov_b32_e32 v251, 0
	v_dot4c_i32_i8_e32 v215, v198, v34
	v_dot4c_i32_i8_e32 v85, v205, v47
	;; [unrolled: 1-line block ×9, first 2 shown]
	v_mul_lo_u32 v96, v96, v51
	v_dot4c_i32_i8_e32 v215, v195, v37
	v_add3_u32 v72, s18, v231, v226
	v_add3_u32 v62, s18, v232, v227
	v_add3_u32 v56, s18, v233, v228
	v_dot4c_i32_i8_e32 v251, v207, v45
	v_mad_u64_u32 v[214:215], s[18:19], v215, v51, v[214:215]
	v_mad_u64_u32 v[216:217], s[18:19], v97, v255, v[124:125]
	;; [unrolled: 1-line block ×4, first 2 shown]
	v_mul_lo_u32 v94, v240, v247
	v_mul_lo_u32 v98, v85, v246
	;; [unrolled: 1-line block ×3, first 2 shown]
	v_cvt_f32_i32_e32 v217, v216
	v_cvt_f32_i32_e32 v216, v214
	v_mul_lo_u32 v124, v235, v246
	v_mad_u64_u32 v[252:253], s[18:19], v84, v246, v[88:89]
	v_mad_u64_u32 v[84:85], s[18:19], v251, v247, v[98:99]
	;; [unrolled: 1-line block ×3, first 2 shown]
	v_cvt_f32_i32_e32 v97, v96
	v_cvt_f32_i32_e32 v96, v238
	v_mad_u64_u32 v[240:241], s[18:19], v237, v247, v[124:125]
	v_cvt_f32_i32_e32 v85, v88
	v_cvt_f32_i32_e32 v84, v84
	;; [unrolled: 1-line block ×4, first 2 shown]
	s_waitcnt lgkmcnt(0)
	v_mov_b32_e32 v214, v128
	v_mov_b32_e32 v215, v212
	v_pk_fma_f32 v[238:239], v[214:215], v[216:217], 0 op_sel_hi:[1,1,0]
	v_mov_b32_e32 v216, v126
	v_mov_b32_e32 v217, v210
	;; [unrolled: 1-line block ×3, first 2 shown]
	ds_read_b32 v72, v72
	ds_read_b32 v62, v62
	v_pk_fma_f32 v[96:97], v[216:217], v[96:97], 0 op_sel_hi:[1,1,0]
	v_mov_b32_e32 v210, v127
	v_pk_fma_f32 v[84:85], v[212:213], v[84:85], v[238:239]
	v_pk_fma_f32 v[88:89], v[210:211], v[88:89], v[96:97]
	;; [unrolled: 1-line block ×3, first 2 shown]
	v_mov_b32_e32 v85, 0
	v_pk_fma_f32 v[30:31], v[130:131], v[88:89], v[30:31]
	v_mov_b32_e32 v65, 0
	v_dot4c_i32_i8_e32 v85, v184, v38
	v_mov_b32_e32 v89, 0
	v_dot4c_i32_i8_e32 v65, v188, v46
	;; [unrolled: 2-line block ×3, first 2 shown]
	v_dot4c_i32_i8_e32 v89, v180, v34
	v_dot4c_i32_i8_e32 v65, v189, v47
	v_dot4c_i32_i8_e32 v94, v192, v42
	v_dot4c_i32_i8_e32 v85, v182, v40
	v_dot4c_i32_i8_e32 v89, v181, v35
	s_waitcnt lgkmcnt(1)
	v_bfe_i32 v240, v72, 8, 8
	v_bfe_i32 v241, v72, 0, 8
	v_dot4c_i32_i8_e32 v65, v186, v48
	v_dot4c_i32_i8_e32 v94, v193, v43
	;; [unrolled: 1-line block ×4, first 2 shown]
	v_ashrrev_i32_e32 v238, 24, v72
	v_bfe_i32 v239, v72, 16, 8
	v_mul_lo_u32 v72, v80, v241
	v_mul_lo_u32 v80, v116, v240
	v_dot4c_i32_i8_e32 v65, v187, v49
	v_dot4c_i32_i8_e32 v94, v190, v44
	;; [unrolled: 1-line block ×3, first 2 shown]
	v_mul_lo_u32 v84, v245, v241
	v_mul_lo_u32 v88, v85, v240
	v_mad_u64_u32 v[96:97], s[18:19], v234, v241, v[80:81]
	v_mad_u64_u32 v[126:127], s[18:19], v78, v240, v[72:73]
	v_dot4c_i32_i8_e32 v94, v191, v45
	v_mad_u64_u32 v[88:89], s[18:19], v89, v241, v[88:89]
	v_mad_u64_u32 v[84:85], s[18:19], v244, v240, v[84:85]
	v_cvt_f32_i32_e32 v97, v126
	v_cvt_f32_i32_e32 v96, v96
	v_mul_lo_u32 v72, v243, v239
	v_mul_lo_u32 v78, v65, v238
	v_cvt_f32_i32_e32 v85, v84
	v_cvt_f32_i32_e32 v84, v88
	v_mad_u64_u32 v[128:129], s[18:19], v94, v239, v[78:79]
	v_mad_u64_u32 v[234:235], s[18:19], v242, v238, v[72:73]
	v_cvt_f32_i32_e32 v129, v234
	v_cvt_f32_i32_e32 v128, v128
	v_mul_lo_u32 v76, v76, v239
	v_mul_lo_u32 v80, v108, v238
	s_waitcnt lgkmcnt(0)
	v_bfe_i32 v245, v62, 0, 8
	v_pk_fma_f32 v[88:89], v[216:217], v[96:97], 0 op_sel_hi:[1,1,0]
	v_mad_u64_u32 v[96:97], s[18:19], v112, v239, v[80:81]
	v_mad_u64_u32 v[126:127], s[18:19], v74, v238, v[76:77]
	v_bfe_i32 v244, v62, 8, 8
	v_ashrrev_i32_e32 v242, 24, v62
	v_bfe_i32 v243, v62, 16, 8
	v_mul_lo_u32 v62, v70, v245
	v_pk_fma_f32 v[84:85], v[214:215], v[84:85], 0 op_sel_hi:[1,1,0]
	v_cvt_f32_i32_e32 v97, v126
	v_mad_u64_u32 v[126:127], s[18:19], v68, v244, v[62:63]
	v_mul_lo_u32 v62, v118, v243
	v_pk_fma_f32 v[84:85], v[212:213], v[128:129], v[84:85]
	v_mov_b32_e32 v65, 0
	v_mad_u64_u32 v[128:129], s[18:19], v236, v242, v[62:63]
	v_mov_b32_e32 v62, 0
	v_dot4c_i32_i8_e32 v65, v172, v46
	v_mov_b32_e32 v76, 0
	v_dot4c_i32_i8_e32 v62, v160, v46
	;; [unrolled: 2-line block ×5, first 2 shown]
	v_dot4c_i32_i8_e32 v42, v152, v38
	v_dot4c_i32_i8_e32 v74, v169, v39
	v_mov_b32_e32 v78, 0
	v_dot4c_i32_i8_e32 v42, v153, v39
	v_mov_b32_e32 v39, 0
	v_dot4c_i32_i8_e32 v78, v164, v34
	v_dot4c_i32_i8_e32 v39, v148, v34
	ds_read_b32 v34, v56
	v_dot4c_i32_i8_e32 v42, v150, v40
	v_dot4c_i32_i8_e32 v39, v149, v35
	;; [unrolled: 1-line block ×6, first 2 shown]
	s_waitcnt lgkmcnt(0)
	v_bfe_i32 v236, v34, 8, 8
	v_bfe_i32 v237, v34, 0, 8
	v_dot4c_i32_i8_e32 v74, v166, v40
	v_dot4c_i32_i8_e32 v78, v162, v36
	;; [unrolled: 1-line block ×5, first 2 shown]
	v_ashrrev_i32_e32 v234, 24, v34
	v_bfe_i32 v235, v34, 16, 8
	v_mul_lo_u32 v34, v60, v237
	v_mul_lo_u32 v36, v90, v236
	;; [unrolled: 1-line block ×4, first 2 shown]
	v_cvt_f32_i32_e32 v96, v96
	v_dot4c_i32_i8_e32 v76, v177, v43
	v_dot4c_i32_i8_e32 v74, v167, v41
	;; [unrolled: 1-line block ×5, first 2 shown]
	v_mad_u64_u32 v[40:41], s[18:19], v39, v237, v[40:41]
	v_mad_u64_u32 v[38:39], s[18:19], v248, v236, v[38:39]
	;; [unrolled: 1-line block ×4, first 2 shown]
	v_dot4c_i32_i8_e32 v76, v174, v44
	v_dot4c_i32_i8_e32 v46, v155, v45
	v_cvt_f32_i32_e32 v35, v34
	v_cvt_f32_i32_e32 v34, v36
	;; [unrolled: 1-line block ×4, first 2 shown]
	v_mul_lo_u32 v38, v114, v235
	v_mul_lo_u32 v40, v62, v234
	;; [unrolled: 1-line block ×4, first 2 shown]
	v_dot4c_i32_i8_e32 v76, v175, v45
	v_mad_u64_u32 v[44:45], s[18:19], v86, v235, v[44:45]
	v_mad_u64_u32 v[42:43], s[18:19], v57, v234, v[42:43]
	;; [unrolled: 1-line block ×4, first 2 shown]
	v_mul_lo_u32 v70, v104, v244
	v_cvt_f32_i32_e32 v39, v38
	v_cvt_f32_i32_e32 v38, v40
	;; [unrolled: 1-line block ×4, first 2 shown]
	v_pk_fma_f32 v[88:89], v[210:211], v[96:97], v[88:89]
	v_mad_u64_u32 v[96:97], s[18:19], v106, v245, v[70:71]
	v_dot4c_i32_i8_e32 v65, v173, v47
	v_cvt_f32_i32_e32 v97, v126
	v_cvt_f32_i32_e32 v96, v96
	v_dot4c_i32_i8_e32 v65, v170, v48
	v_pk_fma_f32 v[34:35], v[216:217], v[34:35], 0 op_sel_hi:[1,1,0]
	v_dot4c_i32_i8_e32 v65, v171, v49
	v_mul_lo_u32 v72, v250, v245
	v_mul_lo_u32 v74, v74, v244
	v_pk_fma_f32 v[34:35], v[210:211], v[40:41], v[34:35]
	v_pk_fma_f32 v[28:29], v[140:141], v[84:85], v[28:29]
	;; [unrolled: 1-line block ×3, first 2 shown]
	v_mad_u64_u32 v[84:85], s[18:19], v78, v245, v[74:75]
	v_mad_u64_u32 v[88:89], s[18:19], v120, v244, v[72:73]
	v_mul_lo_u32 v68, v65, v242
	v_mul_lo_u32 v66, v66, v243
	v_mul_lo_u32 v70, v100, v242
	v_pk_fma_f32 v[36:37], v[214:215], v[36:37], 0 op_sel_hi:[1,1,0]
	v_pk_fma_f32 v[18:19], v[136:137], v[34:35], v[18:19]
	v_or_b32_e32 v34, s1, v109
	v_cvt_f32_i32_e32 v85, v88
	v_cvt_f32_i32_e32 v84, v84
	v_pk_fma_f32 v[88:89], v[216:217], v[96:97], 0 op_sel_hi:[1,1,0]
	v_mad_u64_u32 v[96:97], s[18:19], v102, v243, v[70:71]
	v_mad_u64_u32 v[64:65], s[18:19], v64, v242, v[66:67]
	;; [unrolled: 1-line block ×3, first 2 shown]
	v_pk_fma_f32 v[36:37], v[212:213], v[38:39], v[36:37]
	v_lshlrev_b32_e32 v46, 2, v34
	v_cvt_f32_i32_e32 v127, v128
	v_cvt_f32_i32_e32 v126, v126
	;; [unrolled: 1-line block ×4, first 2 shown]
	v_pk_fma_f32 v[20:21], v[144:145], v[36:37], v[20:21]
	v_lshrrev_b32_e32 v108, 1, v34
	ds_read_b128 v[34:37], v46 offset:33280
	ds_read_b128 v[38:41], v46 offset:33296
	;; [unrolled: 1-line block ×4, first 2 shown]
	v_pk_fma_f32 v[84:85], v[214:215], v[84:85], 0 op_sel_hi:[1,1,0]
	v_pk_fma_f32 v[64:65], v[210:211], v[64:65], v[88:89]
	v_pk_fma_f32 v[84:85], v[212:213], v[126:127], v[84:85]
	v_mov_b32_e32 v94, 0
	v_mov_b32_e32 v96, 0
	;; [unrolled: 1-line block ×16, first 2 shown]
	s_waitcnt lgkmcnt(0)
	v_dot4c_i32_i8_e32 v94, v204, v46
	v_dot4c_i32_i8_e32 v96, v208, v42
	;; [unrolled: 1-line block ×32, first 2 shown]
	v_or_b32_e32 v34, s1, v111
	v_dot4c_i32_i8_e32 v94, v202, v48
	v_dot4c_i32_i8_e32 v96, v206, v44
	;; [unrolled: 1-line block ×16, first 2 shown]
	v_lshlrev_b32_e32 v46, 2, v34
	v_dot4c_i32_i8_e32 v94, v203, v49
	v_dot4c_i32_i8_e32 v96, v207, v45
	;; [unrolled: 1-line block ×16, first 2 shown]
	v_lshrrev_b32_e32 v106, 1, v34
	ds_read_b128 v[34:37], v46 offset:33280
	ds_read_b128 v[38:41], v46 offset:33296
	;; [unrolled: 1-line block ×4, first 2 shown]
	v_pk_fma_f32 v[22:23], v[134:135], v[64:65], v[22:23]
	v_mov_b32_e32 v102, 0
	v_mov_b32_e32 v104, 0
	;; [unrolled: 1-line block ×16, first 2 shown]
	s_waitcnt lgkmcnt(0)
	v_dot4c_i32_i8_e32 v102, v204, v46
	v_dot4c_i32_i8_e32 v104, v208, v42
	;; [unrolled: 1-line block ×32, first 2 shown]
	v_or_b32_e32 v34, s1, v113
	v_dot4c_i32_i8_e32 v102, v202, v48
	v_dot4c_i32_i8_e32 v104, v206, v44
	;; [unrolled: 1-line block ×16, first 2 shown]
	v_lshlrev_b32_e32 v46, 2, v34
	v_dot4c_i32_i8_e32 v102, v203, v49
	v_dot4c_i32_i8_e32 v104, v207, v45
	;; [unrolled: 1-line block ×16, first 2 shown]
	v_lshrrev_b32_e32 v118, 1, v34
	ds_read_b128 v[34:37], v46 offset:33280
	ds_read_b128 v[38:41], v46 offset:33296
	;; [unrolled: 1-line block ×4, first 2 shown]
	v_pk_fma_f32 v[24:25], v[142:143], v[84:85], v[24:25]
	v_mov_b32_e32 v114, 0
	v_mov_b32_e32 v116, 0
	;; [unrolled: 1-line block ×16, first 2 shown]
	s_waitcnt lgkmcnt(0)
	v_dot4c_i32_i8_e32 v114, v204, v46
	v_dot4c_i32_i8_e32 v116, v208, v42
	;; [unrolled: 1-line block ×32, first 2 shown]
	v_or_b32_e32 v34, s1, v115
	v_dot4c_i32_i8_e32 v114, v202, v48
	v_dot4c_i32_i8_e32 v116, v206, v44
	;; [unrolled: 1-line block ×16, first 2 shown]
	v_lshlrev_b32_e32 v46, 2, v34
	v_dot4c_i32_i8_e32 v114, v203, v49
	v_dot4c_i32_i8_e32 v116, v207, v45
	;; [unrolled: 1-line block ×16, first 2 shown]
	v_lshrrev_b32_e32 v126, 1, v34
	ds_read_b128 v[34:37], v46 offset:33280
	ds_read_b128 v[38:41], v46 offset:33296
	ds_read_b128 v[42:45], v46 offset:33312
	ds_read_b128 v[46:49], v46 offset:33328
	v_mov_b32_e32 v124, 0
	v_mul_lo_u32 v100, v100, v51
	v_mul_lo_u32 v96, v96, v247
	;; [unrolled: 1-line block ×3, first 2 shown]
	s_waitcnt lgkmcnt(0)
	v_dot4c_i32_i8_e32 v124, v204, v46
	v_dot4c_i32_i8_e32 v124, v205, v47
	;; [unrolled: 1-line block ×4, first 2 shown]
	v_mov_b32_e32 v203, 0
	v_dot4c_i32_i8_e32 v203, v200, v38
	v_mov_b32_e32 v200, 0
	v_dot4c_i32_i8_e32 v203, v201, v39
	v_dot4c_i32_i8_e32 v200, v198, v34
	v_mov_b32_e32 v202, 0
	v_dot4c_i32_i8_e32 v203, v196, v40
	v_dot4c_i32_i8_e32 v200, v199, v35
	;; [unrolled: 1-line block ×7, first 2 shown]
	ds_read_b64 v[194:195], v108 offset:43584
	ds_read_b64 v[128:129], v106 offset:43584
	;; [unrolled: 1-line block ×4, first 2 shown]
	v_mul_lo_u32 v106, v110, v255
	v_mul_lo_u32 v108, v65, v51
	;; [unrolled: 1-line block ×3, first 2 shown]
	v_dot4c_i32_i8_e32 v202, v206, v44
	v_mad_u64_u32 v[198:199], s[18:19], v200, v51, v[110:111]
	v_mad_u64_u32 v[200:201], s[18:19], v120, v255, v[108:109]
	v_dot4c_i32_i8_e32 v202, v207, v45
	v_mad_u64_u32 v[204:205], s[18:19], v112, v51, v[106:107]
	v_mad_u64_u32 v[206:207], s[18:19], v98, v255, v[100:101]
	v_cvt_f32_i32_e32 v201, v200
	v_cvt_f32_i32_e32 v200, v198
	;; [unrolled: 1-line block ×4, first 2 shown]
	v_mad_u64_u32 v[208:209], s[18:19], v104, v247, v[102:103]
	v_mad_u64_u32 v[96:97], s[18:19], v94, v246, v[96:97]
	v_mov_b32_e32 v85, 0
	v_cvt_f32_i32_e32 v97, v96
	v_cvt_f32_i32_e32 v96, v208
	v_dot4c_i32_i8_e32 v85, v184, v38
	v_mov_b32_e32 v89, 0
	s_waitcnt lgkmcnt(0)
	v_mov_b32_e32 v198, v126
	v_mov_b32_e32 v199, v196
	v_mul_lo_u32 v98, v116, v247
	v_mul_lo_u32 v100, v124, v246
	v_dot4c_i32_i8_e32 v85, v185, v39
	v_dot4c_i32_i8_e32 v89, v180, v34
	v_pk_fma_f32 v[206:207], v[198:199], v[200:201], 0 op_sel_hi:[1,1,0]
	v_mov_b32_e32 v200, v128
	v_mov_b32_e32 v201, v194
	v_mad_u64_u32 v[202:203], s[18:19], v202, v247, v[100:101]
	v_mad_u64_u32 v[246:247], s[18:19], v114, v246, v[98:99]
	v_dot4c_i32_i8_e32 v85, v182, v40
	v_dot4c_i32_i8_e32 v89, v181, v35
	v_pk_fma_f32 v[204:205], v[200:201], v[204:205], 0 op_sel_hi:[1,1,0]
	v_cvt_f32_i32_e32 v203, v246
	v_cvt_f32_i32_e32 v202, v202
	v_mov_b32_e32 v194, v129
	v_dot4c_i32_i8_e32 v85, v183, v41
	v_dot4c_i32_i8_e32 v89, v178, v36
	v_mul_lo_u32 v60, v60, v241
	v_mul_lo_u32 v74, v74, v240
	v_pk_fma_f32 v[96:97], v[194:195], v[96:97], v[204:205]
	v_dot4c_i32_i8_e32 v89, v179, v37
	v_mul_lo_u32 v94, v85, v240
	v_mad_u64_u32 v[128:129], s[18:19], v76, v241, v[74:75]
	v_mad_u64_u32 v[178:179], s[18:19], v58, v240, v[60:61]
	v_mul_lo_u32 v56, v56, v239
	v_mul_lo_u32 v70, v70, v238
	v_pk_fma_f32 v[14:15], v[130:131], v[96:97], v[14:15]
	v_mad_u64_u32 v[96:97], s[18:19], v89, v241, v[94:95]
	v_cvt_f32_i32_e32 v129, v178
	v_cvt_f32_i32_e32 v128, v128
	v_mul_lo_u32 v58, v88, v239
	v_mad_u64_u32 v[88:89], s[18:19], v72, v239, v[70:71]
	v_mad_u64_u32 v[56:57], s[18:19], v57, v238, v[56:57]
	v_mov_b32_e32 v196, v127
	v_mov_b32_e32 v51, 0
	v_cvt_f32_i32_e32 v57, v56
	v_cvt_f32_i32_e32 v56, v88
	v_pk_fma_f32 v[126:127], v[196:197], v[202:203], v[206:207]
	v_dot4c_i32_i8_e32 v51, v188, v46
	v_mov_b32_e32 v65, 0
	v_mul_lo_u32 v92, v92, v241
	v_pk_fma_f32 v[16:17], v[138:139], v[126:127], v[16:17]
	v_dot4c_i32_i8_e32 v51, v189, v47
	v_dot4c_i32_i8_e32 v65, v192, v42
	v_mad_u64_u32 v[126:127], s[18:19], v90, v240, v[92:93]
	v_dot4c_i32_i8_e32 v51, v186, v48
	v_dot4c_i32_i8_e32 v65, v193, v43
	v_cvt_f32_i32_e32 v97, v126
	v_pk_fma_f32 v[126:127], v[200:201], v[128:129], 0 op_sel_hi:[1,1,0]
	v_dot4c_i32_i8_e32 v51, v187, v49
	v_dot4c_i32_i8_e32 v65, v190, v44
	v_pk_fma_f32 v[56:57], v[194:195], v[56:57], v[126:127]
	v_dot4c_i32_i8_e32 v65, v191, v45
	v_mul_lo_u32 v60, v51, v238
	v_pk_fma_f32 v[10:11], v[132:133], v[56:57], v[10:11]
	v_mov_b32_e32 v57, 0
	v_mad_u64_u32 v[128:129], s[18:19], v65, v239, v[60:61]
	v_mov_b32_e32 v51, 0
	v_dot4c_i32_i8_e32 v57, v168, v38
	v_mov_b32_e32 v65, 0
	v_dot4c_i32_i8_e32 v51, v172, v46
	v_dot4c_i32_i8_e32 v57, v169, v39
	;; [unrolled: 1-line block ×9, first 2 shown]
	v_mad_u64_u32 v[178:179], s[18:19], v86, v238, v[58:59]
	v_dot4c_i32_i8_e32 v51, v171, v49
	v_dot4c_i32_i8_e32 v65, v163, v37
	v_mul_lo_u32 v58, v66, v244
	v_mul_lo_u32 v66, v57, v244
	;; [unrolled: 1-line block ×3, first 2 shown]
	v_mad_u64_u32 v[84:85], s[18:19], v65, v245, v[66:67]
	v_mul_lo_u32 v66, v51, v242
	v_mov_b32_e32 v51, 0
	v_mov_b32_e32 v70, 0
	v_dot4c_i32_i8_e32 v51, v160, v46
	v_mov_b32_e32 v46, 0
	v_dot4c_i32_i8_e32 v70, v176, v42
	v_dot4c_i32_i8_e32 v46, v156, v42
	v_mov_b32_e32 v42, 0
	v_dot4c_i32_i8_e32 v42, v152, v38
	v_cvt_f32_i32_e32 v96, v96
	v_dot4c_i32_i8_e32 v42, v153, v39
	v_mov_b32_e32 v39, 0
	v_cvt_f32_i32_e32 v129, v178
	v_cvt_f32_i32_e32 v128, v128
	v_dot4c_i32_i8_e32 v39, v148, v34
	v_dot4c_i32_i8_e32 v42, v150, v40
	;; [unrolled: 1-line block ×6, first 2 shown]
	v_pk_fma_f32 v[96:97], v[198:199], v[96:97], 0 op_sel_hi:[1,1,0]
	v_dot4c_i32_i8_e32 v70, v177, v43
	v_dot4c_i32_i8_e32 v51, v158, v48
	;; [unrolled: 1-line block ×4, first 2 shown]
	v_mul_lo_u32 v34, v213, v237
	v_mul_lo_u32 v36, v216, v236
	;; [unrolled: 1-line block ×4, first 2 shown]
	v_pk_fma_f32 v[88:89], v[196:197], v[128:129], v[96:97]
	v_dot4c_i32_i8_e32 v70, v174, v44
	v_mul_lo_u32 v56, v59, v245
	v_dot4c_i32_i8_e32 v51, v159, v49
	v_dot4c_i32_i8_e32 v46, v154, v44
	v_mad_u64_u32 v[40:41], s[18:19], v39, v237, v[40:41]
	v_mad_u64_u32 v[38:39], s[18:19], v250, v236, v[38:39]
	v_mad_u64_u32 v[36:37], s[18:19], v217, v237, v[36:37]
	v_mad_u64_u32 v[34:35], s[18:19], v212, v236, v[34:35]
	v_pk_fma_f32 v[12:13], v[140:141], v[88:89], v[12:13]
	v_dot4c_i32_i8_e32 v70, v175, v45
	v_mad_u64_u32 v[88:89], s[18:19], v82, v244, v[60:61]
	v_mad_u64_u32 v[58:59], s[18:19], v68, v245, v[58:59]
	;; [unrolled: 1-line block ×3, first 2 shown]
	v_mul_lo_u32 v60, v80, v243
	v_mul_lo_u32 v68, v253, v243
	;; [unrolled: 1-line block ×3, first 2 shown]
	v_dot4c_i32_i8_e32 v46, v155, v45
	v_cvt_f32_i32_e32 v35, v34
	v_cvt_f32_i32_e32 v34, v36
	v_cvt_f32_i32_e32 v37, v38
	v_cvt_f32_i32_e32 v36, v40
	v_mul_lo_u32 v38, v249, v235
	v_mul_lo_u32 v40, v51, v234
	;; [unrolled: 1-line block ×4, first 2 shown]
	v_cvt_f32_i32_e32 v57, v56
	v_cvt_f32_i32_e32 v56, v58
	;; [unrolled: 1-line block ×4, first 2 shown]
	v_mad_u64_u32 v[64:65], s[18:19], v64, v243, v[62:63]
	v_mad_u64_u32 v[84:85], s[18:19], v252, v242, v[68:69]
	v_mad_u64_u32 v[88:89], s[18:19], v70, v243, v[66:67]
	v_mad_u64_u32 v[96:97], s[18:19], v78, v242, v[60:61]
	v_mad_u64_u32 v[44:45], s[18:19], v215, v235, v[44:45]
	v_mad_u64_u32 v[42:43], s[18:19], v210, v234, v[42:43]
	v_mad_u64_u32 v[40:41], s[18:19], v46, v235, v[40:41]
	v_mad_u64_u32 v[38:39], s[18:19], v248, v234, v[38:39]
	v_cvt_f32_i32_e32 v89, v96
	v_cvt_f32_i32_e32 v88, v88
	;; [unrolled: 1-line block ×8, first 2 shown]
	v_pk_fma_f32 v[58:59], v[198:199], v[58:59], 0 op_sel_hi:[1,1,0]
	v_pk_fma_f32 v[56:57], v[200:201], v[56:57], 0 op_sel_hi:[1,1,0]
	;; [unrolled: 1-line block ×4, first 2 shown]
	v_pk_fma_f32 v[56:57], v[194:195], v[64:65], v[56:57]
	v_pk_fma_f32 v[58:59], v[196:197], v[88:89], v[58:59]
	v_pk_fma_f32 v[34:35], v[194:195], v[40:41], v[34:35]
	v_pk_fma_f32 v[36:37], v[196:197], v[38:39], v[36:37]
	s_add_i32 s1, s0, 8
	v_pk_fma_f32 v[8:9], v[142:143], v[58:59], v[8:9]
	v_pk_fma_f32 v[6:7], v[134:135], v[56:57], v[6:7]
	;; [unrolled: 1-line block ×4, first 2 shown]
	s_cmp_lt_u32 s0, 24
	s_mov_b32 s0, s1
	s_cbranch_scc1 .LBB176_8
; %bb.9:                                ;   in Loop: Header=BB176_5 Depth=1
	s_add_i32 s9, s9, 1
	s_cmp_eq_u32 s9, s4
	s_barrier
	s_cbranch_scc0 .LBB176_5
; %bb.10:
	scratch_load_dword v1, off, off offset:320 ; 4-byte Folded Reload
	scratch_load_dword v34, off, off offset:316 ; 4-byte Folded Reload
	;; [unrolled: 1-line block ×3, first 2 shown]
.LBB176_11:
	s_waitcnt vmcnt(0)
	v_cmp_gt_u32_e32 vcc, s10, v36
	s_and_saveexec_b64 s[0:1], vcc
	s_cbranch_execz .LBB176_62
; %bb.12:
	v_add_u32_e32 v0, s6, v34
	v_mul_lo_u32 v34, v36, s14
	v_cmp_gt_u32_e64 s[0:1], s14, v0
	s_and_saveexec_b64 s[2:3], s[0:1]
	s_cbranch_execz .LBB176_14
; %bb.13:
	v_bfe_u32 v35, v31, 16, 1
	s_movk_i32 s4, 0x7fff
	v_add3_u32 v35, v31, v35, s4
	v_cmp_o_f32_e32 vcc, v31, v31
	v_mov_b32_e32 v31, 0x7fc0
	v_add_u32_e32 v36, v0, v34
	v_mov_b32_e32 v37, 0
	v_cndmask_b32_sdwa v31, v31, v35, vcc dst_sel:DWORD dst_unused:UNUSED_PAD src0_sel:DWORD src1_sel:WORD_1
	s_waitcnt lgkmcnt(0)
	v_lshl_add_u64 v[36:37], v[36:37], 1, s[12:13]
	global_store_short v[36:37], v31, off
.LBB176_14:
	s_or_b64 exec, exec, s[2:3]
	v_add_u32_e32 v31, 32, v0
	v_cmp_gt_u32_e64 s[2:3], s14, v31
	s_and_saveexec_b64 s[4:5], s[2:3]
	s_cbranch_execz .LBB176_16
; %bb.15:
	v_bfe_u32 v35, v27, 16, 1
	s_movk_i32 s6, 0x7fff
	v_add3_u32 v35, v27, v35, s6
	v_cmp_o_f32_e32 vcc, v27, v27
	v_mov_b32_e32 v27, 0x7fc0
	v_add_u32_e32 v36, v31, v34
	v_mov_b32_e32 v37, 0
	v_cndmask_b32_sdwa v27, v27, v35, vcc dst_sel:DWORD dst_unused:UNUSED_PAD src0_sel:DWORD src1_sel:WORD_1
	s_waitcnt lgkmcnt(0)
	v_lshl_add_u64 v[36:37], v[36:37], 1, s[12:13]
	global_store_short v[36:37], v27, off
.LBB176_16:
	s_or_b64 exec, exec, s[4:5]
	v_add_u32_e32 v27, 64, v0
	;; [unrolled: 18-line block ×3, first 2 shown]
	v_cmp_gt_u32_e64 s[6:7], s14, v23
	s_and_saveexec_b64 s[8:9], s[6:7]
	s_cbranch_execz .LBB176_20
; %bb.19:
	v_bfe_u32 v35, v19, 16, 1
	s_movk_i32 s11, 0x7fff
	v_add3_u32 v35, v19, v35, s11
	v_cmp_o_f32_e32 vcc, v19, v19
	v_mov_b32_e32 v19, 0x7fc0
	v_add_u32_e32 v34, v23, v34
	v_cndmask_b32_sdwa v19, v19, v35, vcc dst_sel:DWORD dst_unused:UNUSED_PAD src0_sel:DWORD src1_sel:WORD_1
	v_mov_b32_e32 v35, 0
	s_waitcnt lgkmcnt(0)
	v_lshl_add_u64 v[34:35], v[34:35], 1, s[12:13]
	global_store_short v[34:35], v19, off
.LBB176_20:
	s_or_b64 exec, exec, s[8:9]
	v_add3_u32 v19, v1, s15, 8
	v_cmp_gt_u32_e32 vcc, s10, v19
	s_and_b64 exec, exec, vcc
	s_cbranch_execz .LBB176_62
; %bb.21:
	v_mul_lo_u32 v19, v19, s14
	s_and_saveexec_b64 s[8:9], s[0:1]
	s_cbranch_execnz .LBB176_63
; %bb.22:
	s_or_b64 exec, exec, s[8:9]
	s_and_saveexec_b64 s[8:9], s[2:3]
	s_cbranch_execnz .LBB176_64
.LBB176_23:
	s_or_b64 exec, exec, s[8:9]
	s_and_saveexec_b64 s[8:9], s[4:5]
	s_cbranch_execnz .LBB176_65
.LBB176_24:
	s_or_b64 exec, exec, s[8:9]
	s_and_saveexec_b64 s[8:9], s[6:7]
	s_cbranch_execz .LBB176_26
.LBB176_25:
	v_bfe_u32 v22, v18, 16, 1
	s_movk_i32 s11, 0x7fff
	v_add3_u32 v22, v18, v22, s11
	v_cmp_o_f32_e32 vcc, v18, v18
	v_mov_b32_e32 v18, 0x7fc0
	s_nop 0
	v_cndmask_b32_sdwa v22, v18, v22, vcc dst_sel:DWORD dst_unused:UNUSED_PAD src0_sel:DWORD src1_sel:WORD_1
	v_add_u32_e32 v18, v19, v23
	v_mov_b32_e32 v19, 0
	s_waitcnt lgkmcnt(0)
	v_lshl_add_u64 v[18:19], v[18:19], 1, s[12:13]
	global_store_short v[18:19], v22, off
.LBB176_26:
	s_or_b64 exec, exec, s[8:9]
	v_add3_u32 v18, v1, s15, 16
	v_cmp_gt_u32_e32 vcc, s10, v18
	s_and_b64 exec, exec, vcc
	s_cbranch_execz .LBB176_62
; %bb.27:
	v_mul_lo_u32 v18, v18, s14
	s_and_saveexec_b64 s[8:9], s[0:1]
	s_cbranch_execnz .LBB176_66
; %bb.28:
	s_or_b64 exec, exec, s[8:9]
	s_and_saveexec_b64 s[8:9], s[2:3]
	s_cbranch_execnz .LBB176_67
.LBB176_29:
	s_or_b64 exec, exec, s[8:9]
	s_and_saveexec_b64 s[8:9], s[4:5]
	s_cbranch_execnz .LBB176_68
.LBB176_30:
	s_or_b64 exec, exec, s[8:9]
	s_and_saveexec_b64 s[8:9], s[6:7]
	s_cbranch_execz .LBB176_32
.LBB176_31:
	v_bfe_u32 v19, v21, 16, 1
	s_movk_i32 s11, 0x7fff
	v_add3_u32 v19, v21, v19, s11
	v_cmp_o_f32_e32 vcc, v21, v21
	v_mov_b32_e32 v21, 0x7fc0
	v_add_u32_e32 v18, v18, v23
	v_cndmask_b32_sdwa v21, v21, v19, vcc dst_sel:DWORD dst_unused:UNUSED_PAD src0_sel:DWORD src1_sel:WORD_1
	v_mov_b32_e32 v19, 0
	s_waitcnt lgkmcnt(0)
	v_lshl_add_u64 v[18:19], v[18:19], 1, s[12:13]
	global_store_short v[18:19], v21, off
.LBB176_32:
	s_or_b64 exec, exec, s[8:9]
	v_add3_u32 v18, v1, s15, 24
	v_cmp_gt_u32_e32 vcc, s10, v18
	s_and_b64 exec, exec, vcc
	s_cbranch_execz .LBB176_62
; %bb.33:
	v_mul_lo_u32 v18, v18, s14
	s_and_saveexec_b64 s[8:9], s[0:1]
	s_cbranch_execnz .LBB176_69
; %bb.34:
	s_or_b64 exec, exec, s[8:9]
	s_and_saveexec_b64 s[8:9], s[2:3]
	s_cbranch_execnz .LBB176_70
.LBB176_35:
	s_or_b64 exec, exec, s[8:9]
	s_and_saveexec_b64 s[8:9], s[4:5]
	s_cbranch_execnz .LBB176_71
.LBB176_36:
	s_or_b64 exec, exec, s[8:9]
	s_and_saveexec_b64 s[8:9], s[6:7]
	s_cbranch_execz .LBB176_38
.LBB176_37:
	v_bfe_u32 v19, v20, 16, 1
	s_movk_i32 s11, 0x7fff
	v_add3_u32 v19, v20, v19, s11
	v_cmp_o_f32_e32 vcc, v20, v20
	v_mov_b32_e32 v20, 0x7fc0
	v_add_u32_e32 v18, v18, v23
	v_cndmask_b32_sdwa v20, v20, v19, vcc dst_sel:DWORD dst_unused:UNUSED_PAD src0_sel:DWORD src1_sel:WORD_1
	v_mov_b32_e32 v19, 0
	s_waitcnt lgkmcnt(0)
	v_lshl_add_u64 v[18:19], v[18:19], 1, s[12:13]
	global_store_short v[18:19], v20, off
.LBB176_38:
	s_or_b64 exec, exec, s[8:9]
	v_add3_u32 v18, v1, s15, 32
	v_cmp_gt_u32_e32 vcc, s10, v18
	s_and_b64 exec, exec, vcc
	s_cbranch_execz .LBB176_62
; %bb.39:
	v_mul_lo_u32 v18, v18, s14
	s_and_saveexec_b64 s[8:9], s[0:1]
	s_cbranch_execnz .LBB176_72
; %bb.40:
	s_or_b64 exec, exec, s[8:9]
	s_and_saveexec_b64 s[8:9], s[2:3]
	s_cbranch_execnz .LBB176_73
.LBB176_41:
	s_or_b64 exec, exec, s[8:9]
	s_and_saveexec_b64 s[8:9], s[4:5]
	s_cbranch_execnz .LBB176_74
.LBB176_42:
	s_or_b64 exec, exec, s[8:9]
	s_and_saveexec_b64 s[8:9], s[6:7]
	s_cbranch_execz .LBB176_44
.LBB176_43:
	v_bfe_u32 v7, v3, 16, 1
	s_movk_i32 s11, 0x7fff
	v_add3_u32 v7, v3, v7, s11
	v_cmp_o_f32_e32 vcc, v3, v3
	v_mov_b32_e32 v3, 0x7fc0
	v_add_u32_e32 v18, v18, v23
	v_mov_b32_e32 v19, 0
	v_cndmask_b32_sdwa v3, v3, v7, vcc dst_sel:DWORD dst_unused:UNUSED_PAD src0_sel:DWORD src1_sel:WORD_1
	s_waitcnt lgkmcnt(0)
	v_lshl_add_u64 v[18:19], v[18:19], 1, s[12:13]
	global_store_short v[18:19], v3, off
.LBB176_44:
	s_or_b64 exec, exec, s[8:9]
	v_add3_u32 v3, v1, s15, 40
	v_cmp_gt_u32_e32 vcc, s10, v3
	s_and_b64 exec, exec, vcc
	s_cbranch_execz .LBB176_62
; %bb.45:
	v_mul_lo_u32 v3, v3, s14
	s_and_saveexec_b64 s[8:9], s[0:1]
	s_cbranch_execnz .LBB176_75
; %bb.46:
	s_or_b64 exec, exec, s[8:9]
	s_and_saveexec_b64 s[8:9], s[2:3]
	s_cbranch_execnz .LBB176_76
.LBB176_47:
	s_or_b64 exec, exec, s[8:9]
	s_and_saveexec_b64 s[8:9], s[4:5]
	s_cbranch_execnz .LBB176_77
.LBB176_48:
	s_or_b64 exec, exec, s[8:9]
	s_and_saveexec_b64 s[8:9], s[6:7]
	s_cbranch_execz .LBB176_50
.LBB176_49:
	v_bfe_u32 v6, v2, 16, 1
	s_movk_i32 s11, 0x7fff
	v_add3_u32 v6, v2, v6, s11
	v_cmp_o_f32_e32 vcc, v2, v2
	v_mov_b32_e32 v2, 0x7fc0
	s_nop 0
	v_cndmask_b32_sdwa v6, v2, v6, vcc dst_sel:DWORD dst_unused:UNUSED_PAD src0_sel:DWORD src1_sel:WORD_1
	v_add_u32_e32 v2, v3, v23
	v_mov_b32_e32 v3, 0
	s_waitcnt lgkmcnt(0)
	v_lshl_add_u64 v[2:3], v[2:3], 1, s[12:13]
	global_store_short v[2:3], v6, off
.LBB176_50:
	s_or_b64 exec, exec, s[8:9]
	v_add3_u32 v2, v1, s15, 48
	v_cmp_gt_u32_e32 vcc, s10, v2
	s_and_b64 exec, exec, vcc
	s_cbranch_execz .LBB176_62
; %bb.51:
	v_mul_lo_u32 v2, v2, s14
	s_and_saveexec_b64 s[8:9], s[0:1]
	s_cbranch_execnz .LBB176_78
; %bb.52:
	s_or_b64 exec, exec, s[8:9]
	s_and_saveexec_b64 s[8:9], s[2:3]
	s_cbranch_execnz .LBB176_79
.LBB176_53:
	s_or_b64 exec, exec, s[8:9]
	s_and_saveexec_b64 s[8:9], s[4:5]
	s_cbranch_execnz .LBB176_80
.LBB176_54:
	s_or_b64 exec, exec, s[8:9]
	s_and_saveexec_b64 s[8:9], s[6:7]
	s_cbranch_execz .LBB176_56
.LBB176_55:
	v_bfe_u32 v3, v5, 16, 1
	s_movk_i32 s11, 0x7fff
	v_add3_u32 v3, v5, v3, s11
	v_cmp_o_f32_e32 vcc, v5, v5
	v_mov_b32_e32 v5, 0x7fc0
	v_add_u32_e32 v2, v2, v23
	v_cndmask_b32_sdwa v5, v5, v3, vcc dst_sel:DWORD dst_unused:UNUSED_PAD src0_sel:DWORD src1_sel:WORD_1
	v_mov_b32_e32 v3, 0
	s_waitcnt lgkmcnt(0)
	v_lshl_add_u64 v[2:3], v[2:3], 1, s[12:13]
	global_store_short v[2:3], v5, off
.LBB176_56:
	s_or_b64 exec, exec, s[8:9]
	v_add3_u32 v1, v1, s15, 56
	v_cmp_gt_u32_e32 vcc, s10, v1
	s_and_b64 exec, exec, vcc
	s_cbranch_execz .LBB176_62
; %bb.57:
	v_mul_lo_u32 v1, v1, s14
	s_and_saveexec_b64 s[8:9], s[0:1]
	s_cbranch_execnz .LBB176_81
; %bb.58:
	s_or_b64 exec, exec, s[8:9]
	s_and_saveexec_b64 s[0:1], s[2:3]
	s_cbranch_execnz .LBB176_82
.LBB176_59:
	s_or_b64 exec, exec, s[0:1]
	s_and_saveexec_b64 s[0:1], s[4:5]
	s_cbranch_execnz .LBB176_83
.LBB176_60:
	s_or_b64 exec, exec, s[0:1]
	s_and_b64 exec, exec, s[6:7]
	s_cbranch_execz .LBB176_62
.LBB176_61:
	v_bfe_u32 v0, v4, 16, 1
	s_movk_i32 s0, 0x7fff
	v_add3_u32 v0, v4, v0, s0
	v_cmp_o_f32_e32 vcc, v4, v4
	v_mov_b32_e32 v2, 0x7fc0
	s_nop 0
	v_cndmask_b32_sdwa v2, v2, v0, vcc dst_sel:DWORD dst_unused:UNUSED_PAD src0_sel:DWORD src1_sel:WORD_1
	v_add_u32_e32 v0, v1, v23
	v_mov_b32_e32 v1, 0
	s_waitcnt lgkmcnt(0)
	v_lshl_add_u64 v[0:1], v[0:1], 1, s[12:13]
	global_store_short v[0:1], v2, off
.LBB176_62:
	s_endpgm
.LBB176_63:
	v_bfe_u32 v34, v30, 16, 1
	s_movk_i32 s11, 0x7fff
	v_add3_u32 v34, v30, v34, s11
	v_cmp_o_f32_e32 vcc, v30, v30
	v_mov_b32_e32 v30, 0x7fc0
	v_mov_b32_e32 v35, 0
	v_cndmask_b32_sdwa v30, v30, v34, vcc dst_sel:DWORD dst_unused:UNUSED_PAD src0_sel:DWORD src1_sel:WORD_1
	v_add_u32_e32 v34, v19, v0
	s_waitcnt lgkmcnt(0)
	v_lshl_add_u64 v[34:35], v[34:35], 1, s[12:13]
	global_store_short v[34:35], v30, off
	s_or_b64 exec, exec, s[8:9]
	s_and_saveexec_b64 s[8:9], s[2:3]
	s_cbranch_execz .LBB176_23
.LBB176_64:
	v_bfe_u32 v30, v26, 16, 1
	s_movk_i32 s11, 0x7fff
	v_add3_u32 v30, v26, v30, s11
	v_cmp_o_f32_e32 vcc, v26, v26
	v_mov_b32_e32 v26, 0x7fc0
	v_add_u32_e32 v34, v19, v31
	v_mov_b32_e32 v35, 0
	v_cndmask_b32_sdwa v26, v26, v30, vcc dst_sel:DWORD dst_unused:UNUSED_PAD src0_sel:DWORD src1_sel:WORD_1
	s_waitcnt lgkmcnt(0)
	v_lshl_add_u64 v[34:35], v[34:35], 1, s[12:13]
	global_store_short v[34:35], v26, off
	s_or_b64 exec, exec, s[8:9]
	s_and_saveexec_b64 s[8:9], s[4:5]
	s_cbranch_execz .LBB176_24
.LBB176_65:
	v_bfe_u32 v26, v22, 16, 1
	s_movk_i32 s11, 0x7fff
	v_add3_u32 v26, v22, v26, s11
	v_cmp_o_f32_e32 vcc, v22, v22
	v_mov_b32_e32 v22, 0x7fc0
	v_add_u32_e32 v34, v19, v27
	v_mov_b32_e32 v35, 0
	v_cndmask_b32_sdwa v22, v22, v26, vcc dst_sel:DWORD dst_unused:UNUSED_PAD src0_sel:DWORD src1_sel:WORD_1
	s_waitcnt lgkmcnt(0)
	v_lshl_add_u64 v[34:35], v[34:35], 1, s[12:13]
	global_store_short v[34:35], v22, off
	s_or_b64 exec, exec, s[8:9]
	s_and_saveexec_b64 s[8:9], s[6:7]
	s_cbranch_execnz .LBB176_25
	s_branch .LBB176_26
.LBB176_66:
	v_bfe_u32 v19, v33, 16, 1
	s_movk_i32 s11, 0x7fff
	v_add3_u32 v19, v33, v19, s11
	v_cmp_o_f32_e32 vcc, v33, v33
	v_mov_b32_e32 v22, 0x7fc0
	v_add_u32_e32 v34, v18, v0
	v_mov_b32_e32 v35, 0
	v_cndmask_b32_sdwa v19, v22, v19, vcc dst_sel:DWORD dst_unused:UNUSED_PAD src0_sel:DWORD src1_sel:WORD_1
	s_waitcnt lgkmcnt(0)
	v_lshl_add_u64 v[34:35], v[34:35], 1, s[12:13]
	global_store_short v[34:35], v19, off
	s_or_b64 exec, exec, s[8:9]
	s_and_saveexec_b64 s[8:9], s[2:3]
	s_cbranch_execz .LBB176_29
.LBB176_67:
	v_bfe_u32 v19, v29, 16, 1
	s_movk_i32 s11, 0x7fff
	v_add3_u32 v19, v29, v19, s11
	v_cmp_o_f32_e32 vcc, v29, v29
	v_mov_b32_e32 v22, 0x7fc0
	v_add_u32_e32 v34, v18, v31
	v_mov_b32_e32 v35, 0
	v_cndmask_b32_sdwa v19, v22, v19, vcc dst_sel:DWORD dst_unused:UNUSED_PAD src0_sel:DWORD src1_sel:WORD_1
	s_waitcnt lgkmcnt(0)
	v_lshl_add_u64 v[34:35], v[34:35], 1, s[12:13]
	global_store_short v[34:35], v19, off
	s_or_b64 exec, exec, s[8:9]
	s_and_saveexec_b64 s[8:9], s[4:5]
	s_cbranch_execz .LBB176_30
.LBB176_68:
	v_bfe_u32 v19, v25, 16, 1
	s_movk_i32 s11, 0x7fff
	v_add3_u32 v19, v25, v19, s11
	v_cmp_o_f32_e32 vcc, v25, v25
	v_mov_b32_e32 v22, 0x7fc0
	v_add_u32_e32 v34, v18, v27
	v_mov_b32_e32 v35, 0
	v_cndmask_b32_sdwa v19, v22, v19, vcc dst_sel:DWORD dst_unused:UNUSED_PAD src0_sel:DWORD src1_sel:WORD_1
	s_waitcnt lgkmcnt(0)
	v_lshl_add_u64 v[34:35], v[34:35], 1, s[12:13]
	global_store_short v[34:35], v19, off
	s_or_b64 exec, exec, s[8:9]
	s_and_saveexec_b64 s[8:9], s[6:7]
	s_cbranch_execnz .LBB176_31
	s_branch .LBB176_32
.LBB176_69:
	v_bfe_u32 v19, v32, 16, 1
	s_movk_i32 s11, 0x7fff
	v_add3_u32 v19, v32, v19, s11
	v_cmp_o_f32_e32 vcc, v32, v32
	v_mov_b32_e32 v21, 0x7fc0
	v_add_u32_e32 v32, v18, v0
	v_mov_b32_e32 v33, 0
	v_cndmask_b32_sdwa v19, v21, v19, vcc dst_sel:DWORD dst_unused:UNUSED_PAD src0_sel:DWORD src1_sel:WORD_1
	s_waitcnt lgkmcnt(0)
	v_lshl_add_u64 v[32:33], v[32:33], 1, s[12:13]
	global_store_short v[32:33], v19, off
	s_or_b64 exec, exec, s[8:9]
	s_and_saveexec_b64 s[8:9], s[2:3]
	s_cbranch_execz .LBB176_35
.LBB176_70:
	v_bfe_u32 v19, v28, 16, 1
	s_movk_i32 s11, 0x7fff
	v_add3_u32 v19, v28, v19, s11
	v_cmp_o_f32_e32 vcc, v28, v28
	v_mov_b32_e32 v21, 0x7fc0
	v_add_u32_e32 v28, v18, v31
	v_mov_b32_e32 v29, 0
	v_cndmask_b32_sdwa v19, v21, v19, vcc dst_sel:DWORD dst_unused:UNUSED_PAD src0_sel:DWORD src1_sel:WORD_1
	s_waitcnt lgkmcnt(0)
	v_lshl_add_u64 v[28:29], v[28:29], 1, s[12:13]
	global_store_short v[28:29], v19, off
	s_or_b64 exec, exec, s[8:9]
	s_and_saveexec_b64 s[8:9], s[4:5]
	s_cbranch_execz .LBB176_36
.LBB176_71:
	v_bfe_u32 v19, v24, 16, 1
	s_movk_i32 s11, 0x7fff
	v_add3_u32 v19, v24, v19, s11
	v_cmp_o_f32_e32 vcc, v24, v24
	v_mov_b32_e32 v21, 0x7fc0
	v_add_u32_e32 v24, v18, v27
	v_mov_b32_e32 v25, 0
	v_cndmask_b32_sdwa v19, v21, v19, vcc dst_sel:DWORD dst_unused:UNUSED_PAD src0_sel:DWORD src1_sel:WORD_1
	s_waitcnt lgkmcnt(0)
	v_lshl_add_u64 v[24:25], v[24:25], 1, s[12:13]
	global_store_short v[24:25], v19, off
	s_or_b64 exec, exec, s[8:9]
	s_and_saveexec_b64 s[8:9], s[6:7]
	s_cbranch_execnz .LBB176_37
	s_branch .LBB176_38
.LBB176_72:
	v_bfe_u32 v19, v15, 16, 1
	s_movk_i32 s11, 0x7fff
	v_add3_u32 v19, v15, v19, s11
	v_cmp_o_f32_e32 vcc, v15, v15
	v_mov_b32_e32 v15, 0x7fc0
	v_add_u32_e32 v20, v18, v0
	v_mov_b32_e32 v21, 0
	v_cndmask_b32_sdwa v15, v15, v19, vcc dst_sel:DWORD dst_unused:UNUSED_PAD src0_sel:DWORD src1_sel:WORD_1
	s_waitcnt lgkmcnt(0)
	v_lshl_add_u64 v[20:21], v[20:21], 1, s[12:13]
	global_store_short v[20:21], v15, off
	s_or_b64 exec, exec, s[8:9]
	s_and_saveexec_b64 s[8:9], s[2:3]
	s_cbranch_execz .LBB176_41
.LBB176_73:
	v_bfe_u32 v15, v11, 16, 1
	s_movk_i32 s11, 0x7fff
	v_add3_u32 v15, v11, v15, s11
	v_cmp_o_f32_e32 vcc, v11, v11
	v_mov_b32_e32 v11, 0x7fc0
	v_add_u32_e32 v20, v18, v31
	v_mov_b32_e32 v21, 0
	v_cndmask_b32_sdwa v11, v11, v15, vcc dst_sel:DWORD dst_unused:UNUSED_PAD src0_sel:DWORD src1_sel:WORD_1
	s_waitcnt lgkmcnt(0)
	v_lshl_add_u64 v[20:21], v[20:21], 1, s[12:13]
	global_store_short v[20:21], v11, off
	s_or_b64 exec, exec, s[8:9]
	s_and_saveexec_b64 s[8:9], s[4:5]
	s_cbranch_execz .LBB176_42
.LBB176_74:
	v_bfe_u32 v11, v7, 16, 1
	s_movk_i32 s11, 0x7fff
	v_add3_u32 v11, v7, v11, s11
	v_cmp_o_f32_e32 vcc, v7, v7
	v_mov_b32_e32 v7, 0x7fc0
	v_add_u32_e32 v20, v18, v27
	v_mov_b32_e32 v21, 0
	v_cndmask_b32_sdwa v7, v7, v11, vcc dst_sel:DWORD dst_unused:UNUSED_PAD src0_sel:DWORD src1_sel:WORD_1
	s_waitcnt lgkmcnt(0)
	v_lshl_add_u64 v[20:21], v[20:21], 1, s[12:13]
	global_store_short v[20:21], v7, off
	s_or_b64 exec, exec, s[8:9]
	s_and_saveexec_b64 s[8:9], s[6:7]
	s_cbranch_execnz .LBB176_43
	s_branch .LBB176_44
.LBB176_75:
	v_bfe_u32 v7, v14, 16, 1
	s_movk_i32 s11, 0x7fff
	v_add3_u32 v7, v14, v7, s11
	v_cmp_o_f32_e32 vcc, v14, v14
	v_mov_b32_e32 v11, 0x7fc0
	v_add_u32_e32 v14, v3, v0
	v_mov_b32_e32 v15, 0
	v_cndmask_b32_sdwa v7, v11, v7, vcc dst_sel:DWORD dst_unused:UNUSED_PAD src0_sel:DWORD src1_sel:WORD_1
	s_waitcnt lgkmcnt(0)
	v_lshl_add_u64 v[14:15], v[14:15], 1, s[12:13]
	global_store_short v[14:15], v7, off
	s_or_b64 exec, exec, s[8:9]
	s_and_saveexec_b64 s[8:9], s[2:3]
	s_cbranch_execz .LBB176_47
.LBB176_76:
	v_bfe_u32 v7, v10, 16, 1
	s_movk_i32 s11, 0x7fff
	v_add3_u32 v7, v10, v7, s11
	v_cmp_o_f32_e32 vcc, v10, v10
	v_mov_b32_e32 v10, 0x7fc0
	v_mov_b32_e32 v11, 0
	v_cndmask_b32_sdwa v7, v10, v7, vcc dst_sel:DWORD dst_unused:UNUSED_PAD src0_sel:DWORD src1_sel:WORD_1
	v_add_u32_e32 v10, v3, v31
	s_waitcnt lgkmcnt(0)
	v_lshl_add_u64 v[10:11], v[10:11], 1, s[12:13]
	global_store_short v[10:11], v7, off
	s_or_b64 exec, exec, s[8:9]
	s_and_saveexec_b64 s[8:9], s[4:5]
	s_cbranch_execz .LBB176_48
.LBB176_77:
	v_bfe_u32 v7, v6, 16, 1
	s_movk_i32 s11, 0x7fff
	v_add3_u32 v7, v6, v7, s11
	v_cmp_o_f32_e32 vcc, v6, v6
	v_mov_b32_e32 v6, 0x7fc0
	s_nop 0
	v_cndmask_b32_sdwa v10, v6, v7, vcc dst_sel:DWORD dst_unused:UNUSED_PAD src0_sel:DWORD src1_sel:WORD_1
	v_add_u32_e32 v6, v3, v27
	v_mov_b32_e32 v7, 0
	s_waitcnt lgkmcnt(0)
	v_lshl_add_u64 v[6:7], v[6:7], 1, s[12:13]
	global_store_short v[6:7], v10, off
	s_or_b64 exec, exec, s[8:9]
	s_and_saveexec_b64 s[8:9], s[6:7]
	s_cbranch_execnz .LBB176_49
	s_branch .LBB176_50
.LBB176_78:
	v_bfe_u32 v3, v17, 16, 1
	s_movk_i32 s11, 0x7fff
	v_add3_u32 v3, v17, v3, s11
	v_cmp_o_f32_e32 vcc, v17, v17
	v_mov_b32_e32 v6, 0x7fc0
	v_mov_b32_e32 v7, 0
	v_cndmask_b32_sdwa v3, v6, v3, vcc dst_sel:DWORD dst_unused:UNUSED_PAD src0_sel:DWORD src1_sel:WORD_1
	v_add_u32_e32 v6, v2, v0
	s_waitcnt lgkmcnt(0)
	v_lshl_add_u64 v[6:7], v[6:7], 1, s[12:13]
	global_store_short v[6:7], v3, off
	s_or_b64 exec, exec, s[8:9]
	s_and_saveexec_b64 s[8:9], s[2:3]
	s_cbranch_execz .LBB176_53
.LBB176_79:
	v_bfe_u32 v3, v13, 16, 1
	s_movk_i32 s11, 0x7fff
	v_add3_u32 v3, v13, v3, s11
	v_cmp_o_f32_e32 vcc, v13, v13
	v_mov_b32_e32 v6, 0x7fc0
	v_mov_b32_e32 v7, 0
	v_cndmask_b32_sdwa v3, v6, v3, vcc dst_sel:DWORD dst_unused:UNUSED_PAD src0_sel:DWORD src1_sel:WORD_1
	v_add_u32_e32 v6, v2, v31
	s_waitcnt lgkmcnt(0)
	v_lshl_add_u64 v[6:7], v[6:7], 1, s[12:13]
	global_store_short v[6:7], v3, off
	s_or_b64 exec, exec, s[8:9]
	s_and_saveexec_b64 s[8:9], s[4:5]
	s_cbranch_execz .LBB176_54
.LBB176_80:
	v_bfe_u32 v3, v9, 16, 1
	s_movk_i32 s11, 0x7fff
	v_add3_u32 v3, v9, v3, s11
	v_cmp_o_f32_e32 vcc, v9, v9
	v_mov_b32_e32 v6, 0x7fc0
	v_mov_b32_e32 v7, 0
	v_cndmask_b32_sdwa v3, v6, v3, vcc dst_sel:DWORD dst_unused:UNUSED_PAD src0_sel:DWORD src1_sel:WORD_1
	v_add_u32_e32 v6, v2, v27
	s_waitcnt lgkmcnt(0)
	v_lshl_add_u64 v[6:7], v[6:7], 1, s[12:13]
	global_store_short v[6:7], v3, off
	s_or_b64 exec, exec, s[8:9]
	s_and_saveexec_b64 s[8:9], s[6:7]
	s_cbranch_execnz .LBB176_55
	s_branch .LBB176_56
.LBB176_81:
	v_bfe_u32 v2, v16, 16, 1
	s_movk_i32 s0, 0x7fff
	v_add3_u32 v2, v16, v2, s0
	v_cmp_o_f32_e32 vcc, v16, v16
	v_mov_b32_e32 v3, 0x7fc0
	s_nop 0
	v_cndmask_b32_sdwa v5, v3, v2, vcc dst_sel:DWORD dst_unused:UNUSED_PAD src0_sel:DWORD src1_sel:WORD_1
	v_add_u32_e32 v2, v1, v0
	v_mov_b32_e32 v3, 0
	s_waitcnt lgkmcnt(0)
	v_lshl_add_u64 v[2:3], v[2:3], 1, s[12:13]
	global_store_short v[2:3], v5, off
	s_or_b64 exec, exec, s[8:9]
	s_and_saveexec_b64 s[0:1], s[2:3]
	s_cbranch_execz .LBB176_59
.LBB176_82:
	v_bfe_u32 v0, v12, 16, 1
	s_movk_i32 s2, 0x7fff
	v_add3_u32 v0, v12, v0, s2
	v_cmp_o_f32_e32 vcc, v12, v12
	v_mov_b32_e32 v2, 0x7fc0
	v_mov_b32_e32 v3, 0
	v_cndmask_b32_sdwa v0, v2, v0, vcc dst_sel:DWORD dst_unused:UNUSED_PAD src0_sel:DWORD src1_sel:WORD_1
	v_add_u32_e32 v2, v1, v31
	s_waitcnt lgkmcnt(0)
	v_lshl_add_u64 v[2:3], v[2:3], 1, s[12:13]
	global_store_short v[2:3], v0, off
	s_or_b64 exec, exec, s[0:1]
	s_and_saveexec_b64 s[0:1], s[4:5]
	s_cbranch_execz .LBB176_60
.LBB176_83:
	v_bfe_u32 v0, v8, 16, 1
	s_movk_i32 s2, 0x7fff
	v_add3_u32 v0, v8, v0, s2
	v_cmp_o_f32_e32 vcc, v8, v8
	v_mov_b32_e32 v2, 0x7fc0
	v_mov_b32_e32 v3, 0
	v_cndmask_b32_sdwa v0, v2, v0, vcc dst_sel:DWORD dst_unused:UNUSED_PAD src0_sel:DWORD src1_sel:WORD_1
	v_add_u32_e32 v2, v1, v27
	s_waitcnt lgkmcnt(0)
	v_lshl_add_u64 v[2:3], v[2:3], 1, s[12:13]
	global_store_short v[2:3], v0, off
	s_or_b64 exec, exec, s[0:1]
	s_and_b64 exec, exec, s[6:7]
	s_cbranch_execnz .LBB176_61
	s_branch .LBB176_62
	.section	.rodata,"a",@progbits
	.p2align	6, 0x0
	.amdhsa_kernel _ZL12mul_mat_q6_KIN3c108BFloat16ELb1EEvPKvS3_PT_iiiii
		.amdhsa_group_segment_fixed_size 45136
		.amdhsa_private_segment_fixed_size 332
		.amdhsa_kernarg_size 44
		.amdhsa_user_sgpr_count 2
		.amdhsa_user_sgpr_dispatch_ptr 0
		.amdhsa_user_sgpr_queue_ptr 0
		.amdhsa_user_sgpr_kernarg_segment_ptr 1
		.amdhsa_user_sgpr_dispatch_id 0
		.amdhsa_user_sgpr_kernarg_preload_length 0
		.amdhsa_user_sgpr_kernarg_preload_offset 0
		.amdhsa_user_sgpr_private_segment_size 0
		.amdhsa_uses_dynamic_stack 0
		.amdhsa_enable_private_segment 1
		.amdhsa_system_sgpr_workgroup_id_x 1
		.amdhsa_system_sgpr_workgroup_id_y 1
		.amdhsa_system_sgpr_workgroup_id_z 0
		.amdhsa_system_sgpr_workgroup_info 0
		.amdhsa_system_vgpr_workitem_id 1
		.amdhsa_next_free_vgpr 256
		.amdhsa_next_free_sgpr 96
		.amdhsa_accum_offset 256
		.amdhsa_reserve_vcc 1
		.amdhsa_float_round_mode_32 0
		.amdhsa_float_round_mode_16_64 0
		.amdhsa_float_denorm_mode_32 3
		.amdhsa_float_denorm_mode_16_64 3
		.amdhsa_dx10_clamp 1
		.amdhsa_ieee_mode 1
		.amdhsa_fp16_overflow 0
		.amdhsa_tg_split 0
		.amdhsa_exception_fp_ieee_invalid_op 0
		.amdhsa_exception_fp_denorm_src 0
		.amdhsa_exception_fp_ieee_div_zero 0
		.amdhsa_exception_fp_ieee_overflow 0
		.amdhsa_exception_fp_ieee_underflow 0
		.amdhsa_exception_fp_ieee_inexact 0
		.amdhsa_exception_int_div_zero 0
	.end_amdhsa_kernel
	.section	.text._ZL12mul_mat_q6_KIN3c108BFloat16ELb1EEvPKvS3_PT_iiiii,"axG",@progbits,_ZL12mul_mat_q6_KIN3c108BFloat16ELb1EEvPKvS3_PT_iiiii,comdat
.Lfunc_end176:
	.size	_ZL12mul_mat_q6_KIN3c108BFloat16ELb1EEvPKvS3_PT_iiiii, .Lfunc_end176-_ZL12mul_mat_q6_KIN3c108BFloat16ELb1EEvPKvS3_PT_iiiii
                                        ; -- End function
	.set _ZL12mul_mat_q6_KIN3c108BFloat16ELb1EEvPKvS3_PT_iiiii.num_vgpr, 256
	.set _ZL12mul_mat_q6_KIN3c108BFloat16ELb1EEvPKvS3_PT_iiiii.num_agpr, 0
	.set _ZL12mul_mat_q6_KIN3c108BFloat16ELb1EEvPKvS3_PT_iiiii.numbered_sgpr, 22
	.set _ZL12mul_mat_q6_KIN3c108BFloat16ELb1EEvPKvS3_PT_iiiii.num_named_barrier, 0
	.set _ZL12mul_mat_q6_KIN3c108BFloat16ELb1EEvPKvS3_PT_iiiii.private_seg_size, 332
	.set _ZL12mul_mat_q6_KIN3c108BFloat16ELb1EEvPKvS3_PT_iiiii.uses_vcc, 1
	.set _ZL12mul_mat_q6_KIN3c108BFloat16ELb1EEvPKvS3_PT_iiiii.uses_flat_scratch, 0
	.set _ZL12mul_mat_q6_KIN3c108BFloat16ELb1EEvPKvS3_PT_iiiii.has_dyn_sized_stack, 0
	.set _ZL12mul_mat_q6_KIN3c108BFloat16ELb1EEvPKvS3_PT_iiiii.has_recursion, 0
	.set _ZL12mul_mat_q6_KIN3c108BFloat16ELb1EEvPKvS3_PT_iiiii.has_indirect_call, 0
	.section	.AMDGPU.csdata,"",@progbits
; Kernel info:
; codeLenInByte = 21068
; TotalNumSgprs: 28
; NumVgprs: 256
; NumAgprs: 0
; TotalNumVgprs: 256
; ScratchSize: 332
; MemoryBound: 0
; FloatMode: 240
; IeeeMode: 1
; LDSByteSize: 45136 bytes/workgroup (compile time only)
; SGPRBlocks: 12
; VGPRBlocks: 31
; NumSGPRsForWavesPerEU: 102
; NumVGPRsForWavesPerEU: 256
; AccumOffset: 256
; Occupancy: 2
; WaveLimiterHint : 0
; COMPUTE_PGM_RSRC2:SCRATCH_EN: 1
; COMPUTE_PGM_RSRC2:USER_SGPR: 2
; COMPUTE_PGM_RSRC2:TRAP_HANDLER: 0
; COMPUTE_PGM_RSRC2:TGID_X_EN: 1
; COMPUTE_PGM_RSRC2:TGID_Y_EN: 1
; COMPUTE_PGM_RSRC2:TGID_Z_EN: 0
; COMPUTE_PGM_RSRC2:TIDIG_COMP_CNT: 1
; COMPUTE_PGM_RSRC3_GFX90A:ACCUM_OFFSET: 63
; COMPUTE_PGM_RSRC3_GFX90A:TG_SPLIT: 0
	.section	.text._ZL8moe_q4_0IfLb0EEvPKvS1_PT_PKiS5_S5_iiiiiii,"axG",@progbits,_ZL8moe_q4_0IfLb0EEvPKvS1_PT_PKiS5_S5_iiiiiii,comdat
	.globl	_ZL8moe_q4_0IfLb0EEvPKvS1_PT_PKiS5_S5_iiiiiii ; -- Begin function _ZL8moe_q4_0IfLb0EEvPKvS1_PT_PKiS5_S5_iiiiiii
	.p2align	8
	.type	_ZL8moe_q4_0IfLb0EEvPKvS1_PT_PKiS5_S5_iiiiiii,@function
_ZL8moe_q4_0IfLb0EEvPKvS1_PT_PKiS5_S5_iiiiiii: ; @_ZL8moe_q4_0IfLb0EEvPKvS1_PT_PKiS5_S5_iiiiiii
; %bb.0:
	s_load_dwordx4 s[4:7], s[0:1], 0x18
	s_mov_b32 s8, s3
	s_mov_b32 s9, 0
	s_lshl_b64 s[10:11], s[8:9], 2
	s_waitcnt lgkmcnt(0)
	s_add_u32 s6, s6, s10
	s_addc_u32 s7, s7, s11
	s_load_dword s3, s[6:7], 0x0
	s_waitcnt lgkmcnt(0)
	s_cmpk_gt_u32 s3, 0xff
	s_cbranch_scc1 .LBB177_31
; %bb.1:
	s_load_dwordx2 s[6:7], s[0:1], 0x28
	s_waitcnt lgkmcnt(0)
	s_load_dword s7, s[6:7], 0x0
	s_lshl_b32 s6, s8, 3
	s_waitcnt lgkmcnt(0)
	s_cmp_gt_u32 s6, s7
	s_cbranch_scc1 .LBB177_31
; %bb.2:
	v_bfe_u32 v4, v0, 10, 10
	v_mov_b32_e32 v6, s4
	v_mov_b32_e32 v7, s5
	v_add_u32_e32 v2, s6, v4
	v_mov_b32_e32 v3, 0
	v_lshl_add_u64 v[6:7], v[2:3], 2, v[6:7]
	global_load_dword v1, v[6:7], off
	s_load_dwordx2 s[14:15], s[0:1], 0x30
	s_load_dwordx2 s[12:13], s[0:1], 0x10
	s_load_dwordx4 s[4:7], s[0:1], 0x3c
	s_lshl_b32 s18, s2, 7
	s_mov_b32 s19, 0
	s_waitcnt lgkmcnt(0)
	s_cmp_lt_i32 s15, 32
	s_cbranch_scc1 .LBB177_21
; %bb.3:
	s_load_dwordx4 s[8:11], s[0:1], 0x0
	s_ashr_i32 s0, s15, 31
	s_ashr_i32 s1, s5, 31
	s_lshr_b32 s0, s0, 27
	s_lshr_b32 s1, s1, 27
	s_add_i32 s0, s15, s0
	s_add_i32 s1, s5, s1
	s_mul_i32 s3, s3, s14
	s_ashr_i32 s20, s0, 5
	s_ashr_i32 s5, s1, 5
	;; [unrolled: 1-line block ×3, first 2 shown]
	s_waitcnt lgkmcnt(0)
	s_add_u32 s2, s8, s3
	s_mul_i32 s3, s20, s18
	s_addc_u32 s1, s9, s1
	s_mul_hi_i32 s8, s3, 18
	s_mul_i32 s3, s3, 18
	v_bfe_u32 v49, v0, 3, 7
	s_add_u32 s14, s2, s3
	v_and_b32_e32 v28, 7, v0
	v_lshl_add_u32 v6, v4, 2, v49
	v_mov_b32_e32 v33, 0x5280
	s_addc_u32 s21, s1, s8
	v_and_b32_e32 v7, 0x1ffc, v6
	v_lshlrev_b32_e32 v8, 2, v28
	s_movk_i32 s1, 0x4200
	v_and_b32_e32 v32, 31, v0
	v_lshl_add_u32 v51, v4, 7, v33
	v_and_b32_e32 v17, 0x3ff, v0
	v_add3_u32 v9, v7, v8, s1
	v_add_u32_e32 v7, 32, v6
	v_lshl_or_b32 v53, v32, 2, v51
	v_mov_b32_e32 v32, 0x5680
	v_lshlrev_b32_e32 v5, 2, v17
	s_movk_i32 s2, 0x84
	v_mul_lo_u32 v30, s20, v6
	v_lshlrev_b32_e32 v10, 5, v6
	v_and_b32_e32 v11, 0x3ffc, v7
	v_lshlrev_b32_e32 v12, 5, v7
	v_add_u32_e32 v7, 64, v6
	v_add_u32_e32 v6, 0x60, v6
	v_lshl_add_u32 v55, v4, 4, v32
	s_abs_i32 s8, s7
	v_and_b32_e32 v2, 12, v5
	v_mad_u32_u24 v19, v4, s2, v5
	v_and_b32_e32 v13, 0x3ffc, v7
	v_lshlrev_b32_e32 v14, 5, v7
	v_and_b32_e32 v7, 0x3ffc, v6
	v_lshlrev_b32_e32 v15, 5, v6
	v_and_b32_e32 v6, 28, v5
	v_add_u32_e32 v57, v55, v5
	v_cvt_f32_u32_e32 v5, s8
	s_and_b32 s16, s0, 0xffffffe0
	s_sub_i32 s0, 0, s8
	s_waitcnt vmcnt(0)
	v_sub_u32_e32 v33, 0, v1
	v_rcp_iflag_f32_e32 v5, v5
	v_max_i32_e32 v33, v1, v33
	v_add3_u32 v11, v11, v8, s1
	v_add3_u32 v13, v13, v8, s1
	v_mul_f32_e32 v5, 0x4f7ffffe, v5
	v_cvt_u32_f32_e32 v5, v5
	v_add3_u32 v8, v7, v8, s1
	v_mul_lo_u32 v16, s20, v4
	s_lshl_b32 s3, s20, 3
	v_mul_lo_u32 v34, s0, v5
	v_mul_hi_u32 v34, v5, v34
	v_add_u32_e32 v5, v5, v34
	v_mul_hi_u32 v5, v33, v5
	v_mul_lo_u32 v34, v5, s8
	v_sub_u32_e32 v33, v33, v34
	v_add_u32_e32 v34, 1, v5
	v_cmp_le_u32_e64 s[0:1], s8, v33
	v_add_u32_e32 v18, s3, v16
	v_xor_b32_e32 v32, s7, v1
	v_cndmask_b32_e64 v5, v5, v34, s[0:1]
	v_subrev_u32_e32 v34, s8, v33
	v_cndmask_b32_e64 v33, v33, v34, s[0:1]
	v_add_u32_e32 v34, 1, v5
	v_cmp_le_u32_e64 s[0:1], s8, v33
	v_add_u32_e32 v20, s3, v18
	v_ashrrev_i32_e32 v32, 31, v32
	v_cndmask_b32_e64 v5, v5, v34, s[0:1]
	v_add_u32_e32 v22, s3, v20
	v_xor_b32_e32 v5, v5, v32
	v_add_u32_e32 v24, s3, v22
	v_mov_b32_e32 v7, v3
	v_add_u32_e32 v4, 32, v17
	v_add_u32_e32 v36, 64, v17
	v_add_u32_e32 v38, 0x60, v17
	v_sub_u32_e32 v5, v5, v32
	v_add_u32_e32 v26, s3, v24
	v_lshrrev_b32_e32 v61, 3, v4
	v_cmp_gt_i32_e64 s[0:1], s4, v5
	v_mul_lo_u32 v32, v5, s5
	v_lshl_add_u64 v[34:35], s[10:11], 0, v[6:7]
	v_lshlrev_b32_e32 v5, 5, v17
	v_and_b32_e32 v6, 0x1fc, v38
	v_and_b32_e32 v7, 0x1fc, v36
	;; [unrolled: 1-line block ×4, first 2 shown]
	v_add_u32_e32 v6, v5, v6
	v_add_u32_e32 v7, v5, v7
	;; [unrolled: 1-line block ×13, first 2 shown]
	v_cmp_gt_u32_e32 vcc, 4, v17
	v_add_u32_e32 v52, s3, v50
	v_add_u32_e32 v58, s16, v56
	;; [unrolled: 1-line block ×14, first 2 shown]
	v_mul_u32_u24_e32 v59, 0x84, v17
	s_and_b64 s[8:9], vcc, s[0:1]
	v_ashrrev_i32_e32 v33, 31, v32
	v_add_u32_e32 v68, 0x4e00, v6
	v_add_u32_e32 v69, 0x4a00, v7
	;; [unrolled: 1-line block ×12, first 2 shown]
	v_mov_b32_e32 v4, v3
	v_mov_b32_e32 v5, v3
	;; [unrolled: 1-line block ×4, first 2 shown]
	v_mad_u32_u24 v80, v17, s2, 64
	v_add_u32_e32 v54, s3, v52
	v_add_u32_e32 v60, s16, v58
	v_mov_b32_e32 v63, 0x41000000
	s_branch .LBB177_5
.LBB177_4:                              ;   in Loop: Header=BB177_5 Depth=1
	s_add_i32 s19, s19, 8
	s_cmp_ge_i32 s19, s20
	s_cbranch_scc1 .LBB177_22
.LBB177_5:                              ; =>This Loop Header: Depth=1
                                        ;     Child Loop BB177_11 Depth 2
                                        ;     Child Loop BB177_19 Depth 2
	s_mul_i32 s2, s19, 18
	s_mul_hi_u32 s3, s19, 18
	s_add_u32 s2, s14, s2
	s_addc_u32 s3, s21, s3
	v_bfe_u32 v8, v0, 2, 8
	v_mad_u64_u32 v[8:9], s[16:17], v8, 18, s[2:3]
	v_mad_u64_u32 v[10:11], s[16:17], v16, 18, v[8:9]
	;; [unrolled: 1-line block ×8, first 2 shown]
	v_lshl_add_u64 v[10:11], v[10:11], 0, v[2:3]
	v_lshl_add_u64 v[12:13], v[12:13], 0, v[2:3]
	;; [unrolled: 1-line block ×7, first 2 shown]
	v_mad_u64_u32 v[86:87], s[16:17], v38, 18, v[8:9]
	v_lshl_add_u64 v[86:87], v[86:87], 0, v[2:3]
	global_load_dword v62, v[10:11], off offset:2
	global_load_dword v81, v[12:13], off offset:2
	;; [unrolled: 1-line block ×8, first 2 shown]
	v_mad_u64_u32 v[10:11], s[16:17], v40, 18, v[8:9]
	v_mad_u64_u32 v[12:13], s[16:17], v42, 18, v[8:9]
	;; [unrolled: 1-line block ×8, first 2 shown]
	v_lshl_add_u64 v[10:11], v[10:11], 0, v[2:3]
	v_lshl_add_u64 v[8:9], v[8:9], 0, v[2:3]
	;; [unrolled: 1-line block ×8, first 2 shown]
	global_load_dword v86, v[10:11], off offset:2
	global_load_dword v87, v[12:13], off offset:2
	global_load_dword v94, v[14:15], off offset:2
	global_load_dword v95, v[64:65], off offset:2
	global_load_dword v96, v[66:67], off offset:2
	global_load_dword v97, v[82:83], off offset:2
	global_load_dword v98, v[84:85], off offset:2
	global_load_dword v99, v[8:9], off offset:2
	v_mad_u64_u32 v[8:9], s[2:3], v28, 18, s[2:3]
	v_mad_u64_u32 v[10:11], s[2:3], v30, 18, v[8:9]
	;; [unrolled: 1-line block ×3, first 2 shown]
	global_load_ushort v14, v[10:11], off
	global_load_ushort v15, v[12:13], off
	v_mad_u64_u32 v[10:11], s[2:3], v58, 18, v[8:9]
	v_mad_u64_u32 v[8:9], s[2:3], v60, 18, v[8:9]
	global_load_ushort v10, v[10:11], off
	s_lshl_b32 s16, s19, 5
	global_load_ushort v8, v[8:9], off
	v_add_u32_e32 v9, 0x420, v19
	s_cmp_lt_i32 s16, s15
	s_waitcnt vmcnt(19)
	ds_write_b32 v19, v62
	s_waitcnt vmcnt(18)
	ds_write_b32 v9, v81
	v_add_u32_e32 v9, 0x840, v19
	s_waitcnt vmcnt(17)
	ds_write_b32 v9, v88
	v_add_u32_e32 v9, 0xc60, v19
	s_waitcnt vmcnt(16)
	ds_write_b32 v9, v89
	s_waitcnt vmcnt(15)
	ds_write_b32 v21, v90
	;; [unrolled: 2-line block ×13, first 2 shown]
	s_waitcnt vmcnt(3)
	v_cvt_f32_f16_e32 v9, v14
	s_waitcnt vmcnt(2)
	v_cvt_f32_f16_e32 v11, v15
	ds_write_b32 v76, v9
	ds_write_b32 v77, v11
	s_waitcnt vmcnt(1)
	v_cvt_f32_f16_e32 v10, v10
	s_waitcnt vmcnt(0)
	v_cvt_f32_f16_e32 v8, v8
	ds_write_b32 v78, v10
	ds_write_b32 v79, v8
	s_cbranch_scc0 .LBB177_4
; %bb.6:                                ;   in Loop: Header=BB177_5 Depth=1
	v_add_u32_e32 v8, s19, v49
	v_cmp_gt_i32_e64 s[2:3], s5, v8
	s_and_b64 s[22:23], s[0:1], s[2:3]
	s_and_saveexec_b64 s[2:3], s[22:23]
	s_cbranch_execz .LBB177_8
; %bb.7:                                ;   in Loop: Header=BB177_5 Depth=1
	v_add_u32_e32 v8, v32, v8
	v_mad_i64_i32 v[8:9], s[22:23], v8, 36, v[34:35]
	global_load_dword v8, v[8:9], off offset:4
	s_waitcnt vmcnt(0)
	ds_write_b32 v53, v8
.LBB177_8:                              ;   in Loop: Header=BB177_5 Depth=1
	s_or_b64 exec, exec, s[2:3]
	v_add_u32_e32 v64, s19, v17
	v_cmp_gt_i32_e64 s[2:3], s5, v64
	s_and_b64 s[22:23], s[8:9], s[2:3]
	s_and_saveexec_b64 s[2:3], s[22:23]
	s_cbranch_execz .LBB177_10
; %bb.9:                                ;   in Loop: Header=BB177_5 Depth=1
	v_add_u32_e32 v8, v32, v64
	v_mad_i64_i32 v[8:9], s[22:23], v8, 36, s[10:11]
	global_load_dword v8, v[8:9], off
	s_waitcnt vmcnt(0)
	ds_write_b32 v57, v8
.LBB177_10:                             ;   in Loop: Header=BB177_5 Depth=1
	s_or_b64 exec, exec, s[2:3]
	s_mov_b32 s2, -4
	v_mov_b32_e32 v65, v51
	v_mov_b32_e32 v81, v55
	;; [unrolled: 1-line block ×7, first 2 shown]
	s_waitcnt lgkmcnt(0)
	s_barrier
.LBB177_11:                             ;   Parent Loop BB177_5 Depth=1
                                        ; =>  This Inner Loop Header: Depth=2
	ds_read_b128 v[8:11], v65
	ds_read_b128 v[12:15], v65 offset:16
	ds_read_b32 v87, v81
	ds_read_b32 v66, v82
	ds_read2_b32 v[88:89], v86 offset1:1
	v_mov_b32_e32 v92, 0
	v_mov_b32_e32 v93, 0
	;; [unrolled: 1-line block ×4, first 2 shown]
	s_waitcnt lgkmcnt(0)
	v_and_b32_e32 v62, 0xf0f0f0f, v88
	v_lshrrev_b32_e32 v67, 4, v88
	v_and_b32_e32 v67, 0xf0f0f0f, v67
	v_dot4c_i32_i8_e32 v92, v62, v8
	v_dot4c_i32_i8_e32 v92, v67, v12
	v_and_b32_e32 v62, 0xf0f0f0f, v89
	v_lshrrev_b32_e32 v67, 4, v89
	ds_read2_b32 v[88:89], v86 offset0:2 offset1:3
	v_and_b32_e32 v67, 0xf0f0f0f, v67
	v_dot4c_i32_i8_e32 v92, v62, v9
	v_dot4c_i32_i8_e32 v92, v67, v13
	s_add_i32 s2, s2, 4
	s_waitcnt lgkmcnt(0)
	v_and_b32_e32 v62, 0xf0f0f0f, v88
	v_lshrrev_b32_e32 v67, 4, v88
	v_and_b32_e32 v67, 0xf0f0f0f, v67
	v_dot4c_i32_i8_e32 v92, v62, v10
	v_dot4c_i32_i8_e32 v92, v67, v14
	v_and_b32_e32 v62, 0xf0f0f0f, v89
	v_lshrrev_b32_e32 v67, 4, v89
	v_and_b32_e32 v67, 0xf0f0f0f, v67
	v_dot4c_i32_i8_e32 v92, v62, v11
	v_dot4c_i32_i8_e32 v92, v67, v15
	v_add_u32_e32 v62, 0x1080, v86
	ds_read_b32 v67, v83
	ds_read2_b32 v[88:89], v62 offset1:1
	v_add_u32_e32 v83, 4, v83
	v_add_u32_e32 v82, 4, v82
	;; [unrolled: 1-line block ×4, first 2 shown]
	s_waitcnt lgkmcnt(0)
	v_and_b32_e32 v62, 0xf0f0f0f, v88
	v_lshrrev_b32_e32 v88, 4, v88
	v_and_b32_e32 v88, 0xf0f0f0f, v88
	v_dot4c_i32_i8_e32 v93, v62, v8
	v_dot4c_i32_i8_e32 v93, v88, v12
	v_and_b32_e32 v62, 0xf0f0f0f, v89
	v_lshrrev_b32_e32 v88, 4, v89
	v_and_b32_e32 v88, 0xf0f0f0f, v88
	v_dot4c_i32_i8_e32 v93, v62, v9
	v_add_u32_e32 v62, 0x1088, v86
	v_dot4c_i32_i8_e32 v93, v88, v13
	ds_read2_b32 v[88:89], v62 offset1:1
	s_cmp_lt_u32 s2, 12
	s_waitcnt lgkmcnt(0)
	v_and_b32_e32 v62, 0xf0f0f0f, v88
	v_lshrrev_b32_e32 v88, 4, v88
	v_and_b32_e32 v88, 0xf0f0f0f, v88
	v_dot4c_i32_i8_e32 v93, v62, v10
	v_dot4c_i32_i8_e32 v93, v88, v14
	v_and_b32_e32 v62, 0xf0f0f0f, v89
	v_lshrrev_b32_e32 v88, 4, v89
	v_and_b32_e32 v88, 0xf0f0f0f, v88
	v_dot4c_i32_i8_e32 v93, v62, v11
	v_dot4c_i32_i8_e32 v93, v88, v15
	v_add_u32_e32 v62, 0x2100, v86
	ds_read_b32 v88, v84
	ds_read2_b32 v[90:91], v62 offset1:1
	v_add_u32_e32 v84, 4, v84
	s_waitcnt lgkmcnt(0)
	v_and_b32_e32 v62, 0xf0f0f0f, v90
	v_lshrrev_b32_e32 v89, 4, v90
	v_and_b32_e32 v89, 0xf0f0f0f, v89
	v_dot4c_i32_i8_e32 v94, v62, v8
	v_dot4c_i32_i8_e32 v94, v89, v12
	v_and_b32_e32 v62, 0xf0f0f0f, v91
	v_dot4c_i32_i8_e32 v94, v62, v9
	v_add_u32_e32 v62, 0x2108, v86
	v_lshrrev_b32_e32 v89, 4, v91
	ds_read2_b32 v[90:91], v62 offset1:1
	v_and_b32_e32 v89, 0xf0f0f0f, v89
	v_dot4c_i32_i8_e32 v94, v89, v13
	s_waitcnt lgkmcnt(0)
	v_and_b32_e32 v62, 0xf0f0f0f, v90
	v_lshrrev_b32_e32 v89, 4, v90
	v_and_b32_e32 v89, 0xf0f0f0f, v89
	v_dot4c_i32_i8_e32 v94, v62, v10
	v_dot4c_i32_i8_e32 v94, v89, v14
	v_and_b32_e32 v62, 0xf0f0f0f, v91
	v_lshrrev_b32_e32 v89, 4, v91
	v_and_b32_e32 v89, 0xf0f0f0f, v89
	v_dot4c_i32_i8_e32 v94, v62, v11
	v_dot4c_i32_i8_e32 v94, v89, v15
	v_add_u32_e32 v62, 0x3180, v86
	ds_read_b32 v89, v85
	ds_read2_b32 v[90:91], v62 offset1:1
	v_cvt_f32_i32_e32 v94, v94
	v_add_u32_e32 v85, 4, v85
	s_waitcnt lgkmcnt(0)
	v_and_b32_e32 v62, 0xf0f0f0f, v90
	v_lshrrev_b32_e32 v90, 4, v90
	v_and_b32_e32 v90, 0xf0f0f0f, v90
	v_dot4c_i32_i8_e32 v95, v62, v8
	v_dot4c_i32_i8_e32 v95, v90, v12
	v_and_b32_e32 v8, 0xf0f0f0f, v91
	v_dot4c_i32_i8_e32 v95, v8, v9
	v_add_u32_e32 v8, 0x3188, v86
	ds_read2_b32 v[8:9], v8 offset1:1
	v_lshrrev_b32_e32 v12, 4, v91
	v_and_b32_e32 v12, 0xf0f0f0f, v12
	v_dot4c_i32_i8_e32 v95, v12, v13
	v_cvt_f32_i32_e32 v13, v93
	s_waitcnt lgkmcnt(0)
	v_and_b32_e32 v12, 0xf0f0f0f, v8
	v_lshrrev_b32_e32 v8, 4, v8
	v_and_b32_e32 v8, 0xf0f0f0f, v8
	v_dot4c_i32_i8_e32 v95, v12, v10
	v_dot4c_i32_i8_e32 v95, v8, v14
	v_and_b32_e32 v8, 0xf0f0f0f, v9
	v_lshrrev_b32_e32 v9, 4, v9
	v_and_b32_e32 v9, 0xf0f0f0f, v9
	v_dot4c_i32_i8_e32 v95, v8, v11
	v_dot4c_i32_i8_e32 v95, v9, v15
	v_cvt_f32_f16_sdwa v9, v87 dst_sel:DWORD dst_unused:UNUSED_PAD src0_sel:WORD_1
	v_cvt_f32_f16_e32 v8, v87
	v_cvt_f32_i32_e32 v12, v92
	v_cvt_f32_i32_e32 v62, v95
	v_add_u32_e32 v86, 16, v86
	v_pk_mul_f32 v[10:11], v[62:63], v[8:9]
	v_pk_mul_f32 v[8:9], v[8:9], v[12:13] op_sel_hi:[0,1]
	v_sub_f32_e32 v9, v9, v11
	v_sub_f32_e32 v8, v8, v11
	v_fma_mix_f32 v12, v87, v94, -v11 op_sel_hi:[1,0,0]
	v_sub_f32_e32 v13, v10, v11
	v_pk_fma_f32 v[6:7], v[88:89], v[12:13], v[6:7]
	v_pk_fma_f32 v[4:5], v[66:67], v[8:9], v[4:5]
	s_cbranch_scc1 .LBB177_11
; %bb.12:                               ;   in Loop: Header=BB177_5 Depth=1
	s_bitset1_b32 s16, 7
	s_cmp_ge_i32 s16, s15
	s_barrier
	s_cbranch_scc1 .LBB177_4
; %bb.13:                               ;   in Loop: Header=BB177_5 Depth=1
	v_add_u32_e32 v8, s19, v61
	v_cmp_gt_i32_e64 s[2:3], s5, v8
	s_and_b64 s[16:17], s[0:1], s[2:3]
	s_and_saveexec_b64 s[2:3], s[16:17]
	s_cbranch_execz .LBB177_15
; %bb.14:                               ;   in Loop: Header=BB177_5 Depth=1
	v_add_u32_e32 v8, v32, v8
	v_mad_i64_i32 v[8:9], s[16:17], v8, 36, v[34:35]
	global_load_dword v8, v[8:9], off offset:4
	s_waitcnt vmcnt(0)
	ds_write_b32 v53, v8
.LBB177_15:                             ;   in Loop: Header=BB177_5 Depth=1
	s_or_b64 exec, exec, s[2:3]
	s_and_saveexec_b64 s[16:17], vcc
	s_cbranch_execz .LBB177_18
; %bb.16:                               ;   in Loop: Header=BB177_5 Depth=1
	v_or_b32_e32 v8, 4, v64
	v_cmp_gt_i32_e64 s[2:3], s5, v8
	s_and_b64 s[2:3], s[0:1], s[2:3]
	s_and_b64 exec, exec, s[2:3]
	s_cbranch_execz .LBB177_18
; %bb.17:                               ;   in Loop: Header=BB177_5 Depth=1
	v_ashrrev_i32_e32 v65, 31, v64
	v_lshl_add_u64 v[8:9], v[32:33], 0, v[64:65]
	v_mad_u64_u32 v[10:11], s[2:3], v8, 36, s[10:11]
	v_mad_i32_i24 v11, v9, 36, v11
	global_load_dword v8, v[10:11], off offset:144
	s_waitcnt vmcnt(0)
	ds_write_b32 v57, v8
.LBB177_18:                             ;   in Loop: Header=BB177_5 Depth=1
	s_or_b64 exec, exec, s[16:17]
	s_mov_b32 s2, 12
	v_mov_b32_e32 v66, v55
	v_mov_b32_e32 v67, v51
	;; [unrolled: 1-line block ×7, first 2 shown]
	s_waitcnt lgkmcnt(0)
	s_barrier
.LBB177_19:                             ;   Parent Loop BB177_5 Depth=1
                                        ; =>  This Inner Loop Header: Depth=2
	ds_read_b128 v[8:11], v67
	ds_read_b128 v[12:15], v67 offset:16
	ds_read_b32 v90, v66
	ds_read_b32 v64, v81
	ds_read2_b32 v[86:87], v85 offset1:1
	v_mov_b32_e32 v91, 0
	v_mov_b32_e32 v92, 0
	v_mov_b32_e32 v93, 0
	v_mov_b32_e32 v94, 0
	s_waitcnt lgkmcnt(0)
	v_and_b32_e32 v62, 0xf0f0f0f, v86
	v_lshrrev_b32_e32 v65, 4, v86
	v_and_b32_e32 v65, 0xf0f0f0f, v65
	v_dot4c_i32_i8_e32 v91, v62, v8
	v_dot4c_i32_i8_e32 v91, v65, v12
	v_and_b32_e32 v62, 0xf0f0f0f, v87
	v_lshrrev_b32_e32 v65, 4, v87
	ds_read2_b32 v[86:87], v85 offset0:2 offset1:3
	v_and_b32_e32 v65, 0xf0f0f0f, v65
	v_dot4c_i32_i8_e32 v91, v62, v9
	v_dot4c_i32_i8_e32 v91, v65, v13
	s_add_i32 s2, s2, 4
	s_waitcnt lgkmcnt(0)
	v_and_b32_e32 v62, 0xf0f0f0f, v86
	v_lshrrev_b32_e32 v65, 4, v86
	v_and_b32_e32 v65, 0xf0f0f0f, v65
	v_dot4c_i32_i8_e32 v91, v62, v10
	v_dot4c_i32_i8_e32 v91, v65, v14
	v_and_b32_e32 v62, 0xf0f0f0f, v87
	v_lshrrev_b32_e32 v65, 4, v87
	v_and_b32_e32 v65, 0xf0f0f0f, v65
	v_dot4c_i32_i8_e32 v91, v62, v11
	v_dot4c_i32_i8_e32 v91, v65, v15
	v_add_u32_e32 v62, 0x1080, v85
	ds_read_b32 v65, v82
	ds_read2_b32 v[86:87], v62 offset1:1
	v_add_u32_e32 v82, 4, v82
	v_add_u32_e32 v81, 4, v81
	;; [unrolled: 1-line block ×4, first 2 shown]
	s_waitcnt lgkmcnt(0)
	v_and_b32_e32 v62, 0xf0f0f0f, v86
	v_lshrrev_b32_e32 v86, 4, v86
	v_and_b32_e32 v86, 0xf0f0f0f, v86
	v_dot4c_i32_i8_e32 v92, v62, v8
	v_dot4c_i32_i8_e32 v92, v86, v12
	v_and_b32_e32 v62, 0xf0f0f0f, v87
	v_lshrrev_b32_e32 v86, 4, v87
	v_and_b32_e32 v86, 0xf0f0f0f, v86
	v_dot4c_i32_i8_e32 v92, v62, v9
	v_add_u32_e32 v62, 0x1088, v85
	v_dot4c_i32_i8_e32 v92, v86, v13
	ds_read2_b32 v[86:87], v62 offset1:1
	s_cmp_lt_u32 s2, 28
	s_waitcnt lgkmcnt(0)
	v_and_b32_e32 v62, 0xf0f0f0f, v86
	v_lshrrev_b32_e32 v86, 4, v86
	v_and_b32_e32 v86, 0xf0f0f0f, v86
	v_dot4c_i32_i8_e32 v92, v62, v10
	v_dot4c_i32_i8_e32 v92, v86, v14
	v_and_b32_e32 v62, 0xf0f0f0f, v87
	v_lshrrev_b32_e32 v86, 4, v87
	v_and_b32_e32 v86, 0xf0f0f0f, v86
	v_dot4c_i32_i8_e32 v92, v62, v11
	v_dot4c_i32_i8_e32 v92, v86, v15
	v_add_u32_e32 v62, 0x2100, v85
	ds_read_b32 v86, v83
	ds_read2_b32 v[88:89], v62 offset1:1
	v_add_u32_e32 v83, 4, v83
	s_waitcnt lgkmcnt(0)
	v_and_b32_e32 v62, 0xf0f0f0f, v88
	v_lshrrev_b32_e32 v87, 4, v88
	v_and_b32_e32 v87, 0xf0f0f0f, v87
	v_dot4c_i32_i8_e32 v93, v62, v8
	v_dot4c_i32_i8_e32 v93, v87, v12
	v_and_b32_e32 v62, 0xf0f0f0f, v89
	v_dot4c_i32_i8_e32 v93, v62, v9
	v_add_u32_e32 v62, 0x2108, v85
	v_lshrrev_b32_e32 v87, 4, v89
	ds_read2_b32 v[88:89], v62 offset1:1
	v_and_b32_e32 v87, 0xf0f0f0f, v87
	v_dot4c_i32_i8_e32 v93, v87, v13
	s_waitcnt lgkmcnt(0)
	v_and_b32_e32 v62, 0xf0f0f0f, v88
	v_lshrrev_b32_e32 v87, 4, v88
	v_and_b32_e32 v87, 0xf0f0f0f, v87
	v_dot4c_i32_i8_e32 v93, v62, v10
	v_dot4c_i32_i8_e32 v93, v87, v14
	v_and_b32_e32 v62, 0xf0f0f0f, v89
	v_lshrrev_b32_e32 v87, 4, v89
	v_and_b32_e32 v87, 0xf0f0f0f, v87
	v_dot4c_i32_i8_e32 v93, v62, v11
	v_dot4c_i32_i8_e32 v93, v87, v15
	v_add_u32_e32 v62, 0x3180, v85
	ds_read_b32 v87, v84
	ds_read2_b32 v[88:89], v62 offset1:1
	v_cvt_f32_i32_e32 v93, v93
	v_add_u32_e32 v84, 4, v84
	s_waitcnt lgkmcnt(0)
	v_and_b32_e32 v62, 0xf0f0f0f, v88
	v_lshrrev_b32_e32 v88, 4, v88
	v_and_b32_e32 v88, 0xf0f0f0f, v88
	v_dot4c_i32_i8_e32 v94, v62, v8
	v_dot4c_i32_i8_e32 v94, v88, v12
	v_and_b32_e32 v8, 0xf0f0f0f, v89
	v_dot4c_i32_i8_e32 v94, v8, v9
	v_add_u32_e32 v8, 0x3188, v85
	ds_read2_b32 v[8:9], v8 offset1:1
	v_lshrrev_b32_e32 v12, 4, v89
	v_and_b32_e32 v12, 0xf0f0f0f, v12
	v_dot4c_i32_i8_e32 v94, v12, v13
	v_cvt_f32_i32_e32 v13, v92
	s_waitcnt lgkmcnt(0)
	v_and_b32_e32 v12, 0xf0f0f0f, v8
	v_lshrrev_b32_e32 v8, 4, v8
	v_and_b32_e32 v8, 0xf0f0f0f, v8
	v_dot4c_i32_i8_e32 v94, v12, v10
	v_dot4c_i32_i8_e32 v94, v8, v14
	v_and_b32_e32 v8, 0xf0f0f0f, v9
	v_lshrrev_b32_e32 v9, 4, v9
	v_and_b32_e32 v9, 0xf0f0f0f, v9
	v_dot4c_i32_i8_e32 v94, v8, v11
	v_dot4c_i32_i8_e32 v94, v9, v15
	v_cvt_f32_f16_sdwa v9, v90 dst_sel:DWORD dst_unused:UNUSED_PAD src0_sel:WORD_1
	v_cvt_f32_f16_e32 v8, v90
	v_cvt_f32_i32_e32 v12, v91
	v_cvt_f32_i32_e32 v62, v94
	v_add_u32_e32 v85, 16, v85
	v_pk_mul_f32 v[10:11], v[62:63], v[8:9]
	v_pk_mul_f32 v[8:9], v[8:9], v[12:13] op_sel_hi:[0,1]
	v_sub_f32_e32 v9, v9, v11
	v_sub_f32_e32 v8, v8, v11
	v_fma_mix_f32 v12, v90, v93, -v11 op_sel_hi:[1,0,0]
	v_sub_f32_e32 v13, v10, v11
	v_pk_fma_f32 v[6:7], v[86:87], v[12:13], v[6:7]
	v_pk_fma_f32 v[4:5], v[64:65], v[8:9], v[4:5]
	s_cbranch_scc1 .LBB177_19
; %bb.20:                               ;   in Loop: Header=BB177_5 Depth=1
	s_barrier
	s_branch .LBB177_4
.LBB177_21:
	v_mov_b32_e32 v4, v3
	v_mov_b32_e32 v5, v3
	;; [unrolled: 1-line block ×3, first 2 shown]
	v_mov_b64_e32 v[6:7], v[4:5]
	v_mov_b64_e32 v[4:5], v[2:3]
.LBB177_22:
	s_mul_i32 s0, s7, s4
	s_waitcnt vmcnt(0)
	v_cmp_gt_i32_e32 vcc, s0, v1
	s_and_saveexec_b64 s[0:1], vcc
	s_cbranch_execz .LBB177_31
; %bb.23:
	v_and_b32_e32 v0, 0x3ff, v0
	v_add_u32_e32 v2, s18, v0
	v_mul_lo_u32 v0, v1, s6
	v_cmp_gt_u32_e32 vcc, s6, v2
	s_and_saveexec_b64 s[0:1], vcc
	s_cbranch_execz .LBB177_25
; %bb.24:
	v_add_u32_e32 v8, v0, v2
	v_mov_b32_e32 v9, 0
	v_lshl_add_u64 v[8:9], v[8:9], 2, s[12:13]
	global_store_dword v[8:9], v4, off
.LBB177_25:
	s_or_b64 exec, exec, s[0:1]
	v_add_u32_e32 v1, 32, v2
	v_cmp_gt_u32_e32 vcc, s6, v1
	s_and_saveexec_b64 s[0:1], vcc
	s_cbranch_execz .LBB177_27
; %bb.26:
	v_add_u32_e32 v8, v0, v1
	v_mov_b32_e32 v9, 0
	v_lshl_add_u64 v[8:9], v[8:9], 2, s[12:13]
	global_store_dword v[8:9], v5, off
.LBB177_27:
	s_or_b64 exec, exec, s[0:1]
	v_add_u32_e32 v1, 64, v2
	;; [unrolled: 11-line block ×3, first 2 shown]
	v_cmp_gt_u32_e32 vcc, s6, v1
	s_and_b64 exec, exec, vcc
	s_cbranch_execz .LBB177_31
; %bb.30:
	v_add_u32_e32 v0, v0, v1
	v_mov_b32_e32 v1, 0
	v_lshl_add_u64 v[0:1], v[0:1], 2, s[12:13]
	global_store_dword v[0:1], v7, off
.LBB177_31:
	s_endpgm
	.section	.rodata,"a",@progbits
	.p2align	6, 0x0
	.amdhsa_kernel _ZL8moe_q4_0IfLb0EEvPKvS1_PT_PKiS5_S5_iiiiiii
		.amdhsa_group_segment_fixed_size 22272
		.amdhsa_private_segment_fixed_size 0
		.amdhsa_kernarg_size 76
		.amdhsa_user_sgpr_count 2
		.amdhsa_user_sgpr_dispatch_ptr 0
		.amdhsa_user_sgpr_queue_ptr 0
		.amdhsa_user_sgpr_kernarg_segment_ptr 1
		.amdhsa_user_sgpr_dispatch_id 0
		.amdhsa_user_sgpr_kernarg_preload_length 0
		.amdhsa_user_sgpr_kernarg_preload_offset 0
		.amdhsa_user_sgpr_private_segment_size 0
		.amdhsa_uses_dynamic_stack 0
		.amdhsa_enable_private_segment 0
		.amdhsa_system_sgpr_workgroup_id_x 1
		.amdhsa_system_sgpr_workgroup_id_y 1
		.amdhsa_system_sgpr_workgroup_id_z 0
		.amdhsa_system_sgpr_workgroup_info 0
		.amdhsa_system_vgpr_workitem_id 1
		.amdhsa_next_free_vgpr 100
		.amdhsa_next_free_sgpr 75
		.amdhsa_accum_offset 100
		.amdhsa_reserve_vcc 1
		.amdhsa_float_round_mode_32 0
		.amdhsa_float_round_mode_16_64 0
		.amdhsa_float_denorm_mode_32 3
		.amdhsa_float_denorm_mode_16_64 3
		.amdhsa_dx10_clamp 1
		.amdhsa_ieee_mode 1
		.amdhsa_fp16_overflow 0
		.amdhsa_tg_split 0
		.amdhsa_exception_fp_ieee_invalid_op 0
		.amdhsa_exception_fp_denorm_src 0
		.amdhsa_exception_fp_ieee_div_zero 0
		.amdhsa_exception_fp_ieee_overflow 0
		.amdhsa_exception_fp_ieee_underflow 0
		.amdhsa_exception_fp_ieee_inexact 0
		.amdhsa_exception_int_div_zero 0
	.end_amdhsa_kernel
	.section	.text._ZL8moe_q4_0IfLb0EEvPKvS1_PT_PKiS5_S5_iiiiiii,"axG",@progbits,_ZL8moe_q4_0IfLb0EEvPKvS1_PT_PKiS5_S5_iiiiiii,comdat
.Lfunc_end177:
	.size	_ZL8moe_q4_0IfLb0EEvPKvS1_PT_PKiS5_S5_iiiiiii, .Lfunc_end177-_ZL8moe_q4_0IfLb0EEvPKvS1_PT_PKiS5_S5_iiiiiii
                                        ; -- End function
	.set _ZL8moe_q4_0IfLb0EEvPKvS1_PT_PKiS5_S5_iiiiiii.num_vgpr, 100
	.set _ZL8moe_q4_0IfLb0EEvPKvS1_PT_PKiS5_S5_iiiiiii.num_agpr, 0
	.set _ZL8moe_q4_0IfLb0EEvPKvS1_PT_PKiS5_S5_iiiiiii.numbered_sgpr, 24
	.set _ZL8moe_q4_0IfLb0EEvPKvS1_PT_PKiS5_S5_iiiiiii.num_named_barrier, 0
	.set _ZL8moe_q4_0IfLb0EEvPKvS1_PT_PKiS5_S5_iiiiiii.private_seg_size, 0
	.set _ZL8moe_q4_0IfLb0EEvPKvS1_PT_PKiS5_S5_iiiiiii.uses_vcc, 1
	.set _ZL8moe_q4_0IfLb0EEvPKvS1_PT_PKiS5_S5_iiiiiii.uses_flat_scratch, 0
	.set _ZL8moe_q4_0IfLb0EEvPKvS1_PT_PKiS5_S5_iiiiiii.has_dyn_sized_stack, 0
	.set _ZL8moe_q4_0IfLb0EEvPKvS1_PT_PKiS5_S5_iiiiiii.has_recursion, 0
	.set _ZL8moe_q4_0IfLb0EEvPKvS1_PT_PKiS5_S5_iiiiiii.has_indirect_call, 0
	.section	.AMDGPU.csdata,"",@progbits
; Kernel info:
; codeLenInByte = 4000
; TotalNumSgprs: 30
; NumVgprs: 100
; NumAgprs: 0
; TotalNumVgprs: 100
; ScratchSize: 0
; MemoryBound: 0
; FloatMode: 240
; IeeeMode: 1
; LDSByteSize: 22272 bytes/workgroup (compile time only)
; SGPRBlocks: 10
; VGPRBlocks: 12
; NumSGPRsForWavesPerEU: 81
; NumVGPRsForWavesPerEU: 100
; AccumOffset: 100
; Occupancy: 4
; WaveLimiterHint : 1
; COMPUTE_PGM_RSRC2:SCRATCH_EN: 0
; COMPUTE_PGM_RSRC2:USER_SGPR: 2
; COMPUTE_PGM_RSRC2:TRAP_HANDLER: 0
; COMPUTE_PGM_RSRC2:TGID_X_EN: 1
; COMPUTE_PGM_RSRC2:TGID_Y_EN: 1
; COMPUTE_PGM_RSRC2:TGID_Z_EN: 0
; COMPUTE_PGM_RSRC2:TIDIG_COMP_CNT: 1
; COMPUTE_PGM_RSRC3_GFX90A:ACCUM_OFFSET: 24
; COMPUTE_PGM_RSRC3_GFX90A:TG_SPLIT: 0
	.section	.text._ZL8moe_q4_0IfLb1EEvPKvS1_PT_PKiS5_S5_iiiiiii,"axG",@progbits,_ZL8moe_q4_0IfLb1EEvPKvS1_PT_PKiS5_S5_iiiiiii,comdat
	.globl	_ZL8moe_q4_0IfLb1EEvPKvS1_PT_PKiS5_S5_iiiiiii ; -- Begin function _ZL8moe_q4_0IfLb1EEvPKvS1_PT_PKiS5_S5_iiiiiii
	.p2align	8
	.type	_ZL8moe_q4_0IfLb1EEvPKvS1_PT_PKiS5_S5_iiiiiii,@function
_ZL8moe_q4_0IfLb1EEvPKvS1_PT_PKiS5_S5_iiiiiii: ; @_ZL8moe_q4_0IfLb1EEvPKvS1_PT_PKiS5_S5_iiiiiii
; %bb.0:
	s_load_dwordx4 s[4:7], s[0:1], 0x18
	s_mov_b32 s8, s3
	s_mov_b32 s9, 0
	s_lshl_b64 s[10:11], s[8:9], 2
	s_waitcnt lgkmcnt(0)
	s_add_u32 s6, s6, s10
	s_addc_u32 s7, s7, s11
	s_load_dword s3, s[6:7], 0x0
	s_waitcnt lgkmcnt(0)
	s_cmpk_gt_u32 s3, 0xff
	s_cbranch_scc1 .LBB178_31
; %bb.1:
	s_load_dwordx2 s[6:7], s[0:1], 0x28
	s_waitcnt lgkmcnt(0)
	s_load_dword s7, s[6:7], 0x0
	s_lshl_b32 s6, s8, 3
	s_waitcnt lgkmcnt(0)
	s_cmp_gt_u32 s6, s7
	s_cbranch_scc1 .LBB178_31
; %bb.2:
	v_bfe_u32 v4, v0, 10, 10
	v_mov_b32_e32 v6, s4
	v_mov_b32_e32 v7, s5
	v_add_u32_e32 v2, s6, v4
	v_mov_b32_e32 v3, 0
	v_lshl_add_u64 v[6:7], v[2:3], 2, v[6:7]
	global_load_dword v1, v[6:7], off
	s_load_dwordx8 s[4:11], s[0:1], 0x30
	s_load_dwordx2 s[16:17], s[0:1], 0x10
	s_waitcnt lgkmcnt(0)
	s_lshl_b32 s11, s2, 7
	s_mov_b32 s20, 0
	s_cmp_lt_i32 s5, 32
	s_cbranch_scc1 .LBB178_21
; %bb.3:
	s_load_dwordx4 s[12:15], s[0:1], 0x0
	s_ashr_i32 s0, s5, 31
	s_lshr_b32 s0, s0, 27
	s_add_i32 s0, s5, s0
	s_ashr_i32 s21, s0, 5
	s_ashr_i32 s0, s8, 31
	s_lshr_b32 s0, s0, 27
	s_add_i32 s0, s8, s0
	s_mul_i32 s3, s3, s4
	s_ashr_i32 s8, s0, 5
	s_ashr_i32 s0, s3, 31
	s_waitcnt lgkmcnt(0)
	s_add_u32 s1, s12, s3
	s_mul_i32 s2, s21, s11
	s_addc_u32 s0, s13, s0
	s_mul_hi_i32 s3, s2, 18
	s_mul_i32 s2, s2, 18
	s_add_u32 s4, s1, s2
	s_addc_u32 s22, s0, s3
	s_not_b32 s0, s11
	s_add_i32 s0, s6, s0
	v_add_u32_e32 v5, 8, v4
	v_min_i32_e32 v9, s0, v5
	v_add_u32_e32 v5, 16, v4
	v_min_i32_e32 v10, s0, v5
	;; [unrolled: 2-line block ×5, first 2 shown]
	v_add_u32_e32 v5, 48, v4
	v_and_b32_e32 v41, 0x3ff, v0
	v_min_i32_e32 v14, s0, v5
	v_add_u32_e32 v5, 56, v4
	v_lshlrev_b32_e32 v6, 2, v41
	s_movk_i32 s2, 0x84
	v_min_i32_e32 v15, s0, v5
	v_add_u32_e32 v5, 64, v4
	v_mad_u64_u32 v[26:27], s[12:13], v13, s2, v[6:7]
	v_min_i32_e32 v59, s0, v5
	v_add_u32_e32 v5, 0x48, v4
	s_abs_i32 s3, s10
	v_min_i32_e32 v61, s0, v5
	v_add_u32_e32 v5, 0x50, v4
	v_cvt_f32_u32_e32 v27, s3
	v_min_i32_e32 v63, s0, v5
	v_add_u32_e32 v5, 0x58, v4
	v_min_i32_e32 v8, s0, v4
	v_min_i32_e32 v65, s0, v5
	v_add_u32_e32 v5, 0x60, v4
	v_mad_u64_u32 v[16:17], s[12:13], v8, s2, v[6:7]
	v_min_i32_e32 v67, s0, v5
	v_add_u32_e32 v5, 0x68, v4
	v_min_i32_e32 v69, s0, v5
	v_add_u32_e32 v5, 0x70, v4
	v_bfe_u32 v17, v0, 3, 7
	v_rcp_iflag_f32_e32 v27, v27
	v_mad_u64_u32 v[22:23], s[12:13], v11, s2, v[6:7]
	v_mad_u64_u32 v[24:25], s[12:13], v12, s2, v[6:7]
	v_min_i32_e32 v71, s0, v5
	v_lshl_add_u32 v5, v4, 2, v17
	v_min_i32_e32 v73, s0, v5
	v_add_u32_e32 v23, 32, v5
	v_add_u32_e32 v25, 64, v5
	;; [unrolled: 1-line block ×3, first 2 shown]
	v_min_i32_e32 v75, s0, v23
	v_min_i32_e32 v77, s0, v25
	;; [unrolled: 1-line block ×3, first 2 shown]
	v_mad_u64_u32 v[18:19], s[12:13], v9, s2, v[6:7]
	v_mad_u64_u32 v[20:21], s[12:13], v10, s2, v[6:7]
	;; [unrolled: 1-line block ×8, first 2 shown]
	v_ashrrev_i32_e32 v7, 31, v73
	v_ashrrev_i32_e32 v23, 31, v75
	;; [unrolled: 1-line block ×4, first 2 shown]
	v_mul_f32_e32 v27, 0x4f7ffffe, v27
	v_lshrrev_b32_e32 v7, 30, v7
	v_lshrrev_b32_e32 v23, 30, v23
	;; [unrolled: 1-line block ×4, first 2 shown]
	v_cvt_u32_f32_e32 v27, v27
	v_and_b32_e32 v40, 7, v0
	v_add_u32_e32 v7, v73, v7
	v_add_u32_e32 v23, v75, v23
	;; [unrolled: 1-line block ×4, first 2 shown]
	v_and_b32_e32 v7, -4, v7
	v_lshlrev_b32_e32 v19, 2, v40
	s_movk_i32 s1, 0x4200
	v_and_b32_e32 v23, -4, v23
	v_and_b32_e32 v25, -4, v25
	v_and_b32_e32 v5, -4, v5
	v_add3_u32 v7, v7, v19, s1
	v_add3_u32 v23, v23, v19, s1
	v_add3_u32 v25, v25, v19, s1
	v_add3_u32 v5, v5, v19, s1
	s_sub_i32 s1, 0, s3
	v_mul_lo_u32 v37, s1, v27
	s_waitcnt vmcnt(0)
	v_sub_u32_e32 v33, 0, v1
	v_mul_hi_u32 v37, v27, v37
	v_max_i32_e32 v33, v1, v33
	v_add_u32_e32 v27, v27, v37
	v_mul_hi_u32 v27, v33, v27
	v_mul_lo_u32 v37, v27, s3
	v_sub_u32_e32 v33, v33, v37
	v_add_u32_e32 v37, 1, v27
	v_cmp_le_u32_e32 vcc, s3, v33
	v_xor_b32_e32 v31, s10, v1
	v_ashrrev_i32_e32 v31, 31, v31
	v_cndmask_b32_e32 v27, v27, v37, vcc
	v_subrev_u32_e32 v37, s3, v33
	v_cndmask_b32_e32 v33, v33, v37, vcc
	v_add_u32_e32 v37, 1, v27
	v_cmp_le_u32_e32 vcc, s3, v33
	v_add_u32_e32 v19, 64, v41
	v_add_u32_e32 v35, 32, v41
	v_cndmask_b32_e32 v27, v27, v37, vcc
	v_xor_b32_e32 v27, v27, v31
	v_sub_u32_e32 v37, v27, v31
	v_lshlrev_b32_e32 v27, 5, v41
	v_and_b32_e32 v19, 0x1fc, v19
	v_add_u32_e32 v29, 0x60, v41
	v_add_u32_e32 v54, v27, v19
	v_and_b32_e32 v19, 0x1fc, v35
	v_and_b32_e32 v29, 0x1fc, v29
	v_add_u32_e32 v55, v27, v19
	v_and_b32_e32 v19, 0xfc, v0
	v_lshlrev_b32_e32 v21, 5, v73
	v_add_u32_e32 v39, v27, v29
	v_add_u32_e32 v56, v27, v19
	v_lshlrev_b32_e32 v27, 5, v75
	v_add_u32_e32 v19, v7, v21
	v_lshlrev_b32_e32 v7, 5, v77
	;; [unrolled: 2-line block ×3, first 2 shown]
	v_add_u32_e32 v23, v25, v7
	v_mov_b32_e32 v7, 0x5280
	v_add_u32_e32 v27, v5, v27
	v_mov_b32_e32 v5, 0x5680
	v_lshl_add_u32 v25, v4, 7, v7
	v_lshl_add_u32 v29, v4, 4, v5
	v_add_u32_e32 v4, 0x78, v4
	v_min_i32_e32 v81, s0, v4
	v_mad_u64_u32 v[42:43], s[0:1], v67, s2, v[6:7]
	v_mad_u64_u32 v[44:45], s[0:1], v69, s2, v[6:7]
	;; [unrolled: 1-line block ×4, first 2 shown]
	v_and_b32_e32 v2, 12, v6
	v_add_u32_e32 v31, v29, v6
	v_and_b32_e32 v4, 28, v6
	v_mov_b32_e32 v5, v3
	v_and_b32_e32 v6, 31, v0
	v_cmp_gt_u32_e32 vcc, 4, v41
	v_cmp_gt_i32_e64 s[0:1], s7, v37
	v_mul_lo_u32 v52, v37, s8
	v_lshl_or_b32 v33, v6, 2, v25
	v_lshrrev_b32_e32 v35, 3, v35
	v_lshl_add_u64 v[50:51], s[14:15], 0, v[4:5]
	s_and_b64 s[12:13], vcc, s[0:1]
	v_ashrrev_i32_e32 v53, 31, v52
	v_add_u32_e32 v37, 0x4e00, v39
	v_add_u32_e32 v39, 0x4e10, v39
	;; [unrolled: 1-line block ×8, first 2 shown]
	v_mov_b32_e32 v4, v3
	v_mov_b32_e32 v6, v3
	;; [unrolled: 1-line block ×3, first 2 shown]
	v_mul_lo_u32 v54, v8, s21
	v_mul_lo_u32 v56, v9, s21
	;; [unrolled: 1-line block ×20, first 2 shown]
	v_mul_u32_u24_e32 v59, 0x84, v41
	v_mad_u32_u24 v61, v41, s2, 64
	v_bfe_u32 v94, v0, 2, 8
	v_mov_b32_e32 v97, 0x41000000
	s_branch .LBB178_5
.LBB178_4:                              ;   in Loop: Header=BB178_5 Depth=1
	s_add_i32 s20, s20, 8
	s_cmp_ge_i32 s20, s21
	s_cbranch_scc1 .LBB178_22
.LBB178_5:                              ; =>This Loop Header: Depth=1
                                        ;     Child Loop BB178_11 Depth 2
                                        ;     Child Loop BB178_19 Depth 2
	s_mul_i32 s2, s20, 18
	s_mul_hi_u32 s3, s20, 18
	s_add_u32 s2, s4, s2
	s_addc_u32 s3, s22, s3
	v_mad_u64_u32 v[8:9], s[18:19], v94, 18, s[2:3]
	v_mad_i64_i32 v[10:11], s[18:19], v54, 18, v[8:9]
	v_mad_i64_i32 v[12:13], s[18:19], v56, 18, v[8:9]
	;; [unrolled: 1-line block ×7, first 2 shown]
	v_lshl_add_u64 v[10:11], v[10:11], 0, v[2:3]
	v_lshl_add_u64 v[12:13], v[12:13], 0, v[2:3]
	;; [unrolled: 1-line block ×7, first 2 shown]
	v_mad_i64_i32 v[106:107], s[18:19], v68, 18, v[8:9]
	v_lshl_add_u64 v[106:107], v[106:107], 0, v[2:3]
	global_load_dword v63, v[10:11], off offset:2
	global_load_dword v65, v[12:13], off offset:2
	;; [unrolled: 1-line block ×8, first 2 shown]
	v_mad_i64_i32 v[10:11], s[18:19], v70, 18, v[8:9]
	v_mad_i64_i32 v[12:13], s[18:19], v72, 18, v[8:9]
	;; [unrolled: 1-line block ×8, first 2 shown]
	v_lshl_add_u64 v[10:11], v[10:11], 0, v[2:3]
	v_lshl_add_u64 v[8:9], v[8:9], 0, v[2:3]
	;; [unrolled: 1-line block ×8, first 2 shown]
	global_load_dword v79, v[10:11], off offset:2
	global_load_dword v81, v[12:13], off offset:2
	;; [unrolled: 1-line block ×8, first 2 shown]
	v_mad_u64_u32 v[8:9], s[2:3], v40, 18, s[2:3]
	v_mad_i64_i32 v[10:11], s[2:3], v86, 18, v[8:9]
	v_mad_i64_i32 v[12:13], s[2:3], v88, 18, v[8:9]
	global_load_ushort v14, v[10:11], off
	global_load_ushort v15, v[12:13], off
	v_mad_i64_i32 v[10:11], s[2:3], v90, 18, v[8:9]
	v_mad_i64_i32 v[8:9], s[2:3], v92, 18, v[8:9]
	global_load_ushort v10, v[10:11], off
	s_lshl_b32 s6, s20, 5
	global_load_ushort v8, v[8:9], off
	s_cmp_lt_i32 s6, s5
	s_waitcnt vmcnt(19)
	ds_write_b32 v16, v63
	s_waitcnt vmcnt(18)
	ds_write_b32 v18, v65
	;; [unrolled: 2-line block ×16, first 2 shown]
	s_waitcnt vmcnt(3)
	v_cvt_f32_f16_e32 v9, v14
	s_waitcnt vmcnt(2)
	v_cvt_f32_f16_e32 v11, v15
	ds_write_b32 v19, v9
	ds_write_b32 v21, v11
	s_waitcnt vmcnt(1)
	v_cvt_f32_f16_e32 v10, v10
	s_waitcnt vmcnt(0)
	v_cvt_f32_f16_e32 v8, v8
	ds_write_b32 v23, v10
	ds_write_b32 v27, v8
	s_cbranch_scc0 .LBB178_4
; %bb.6:                                ;   in Loop: Header=BB178_5 Depth=1
	v_add_u32_e32 v8, s20, v17
	v_cmp_gt_i32_e64 s[2:3], s8, v8
	s_and_b64 s[18:19], s[0:1], s[2:3]
	s_and_saveexec_b64 s[2:3], s[18:19]
	s_cbranch_execz .LBB178_8
; %bb.7:                                ;   in Loop: Header=BB178_5 Depth=1
	v_add_u32_e32 v8, v52, v8
	v_mad_i64_i32 v[8:9], s[18:19], v8, 36, v[50:51]
	global_load_dword v8, v[8:9], off offset:4
	s_waitcnt vmcnt(0)
	ds_write_b32 v33, v8
.LBB178_8:                              ;   in Loop: Header=BB178_5 Depth=1
	s_or_b64 exec, exec, s[2:3]
	v_add_u32_e32 v98, s20, v41
	v_cmp_gt_i32_e64 s[2:3], s8, v98
	s_and_b64 s[18:19], s[12:13], s[2:3]
	s_and_saveexec_b64 s[2:3], s[18:19]
	s_cbranch_execz .LBB178_10
; %bb.9:                                ;   in Loop: Header=BB178_5 Depth=1
	v_add_u32_e32 v8, v52, v98
	v_mad_i64_i32 v[8:9], s[18:19], v8, 36, s[14:15]
	global_load_dword v8, v[8:9], off
	s_waitcnt vmcnt(0)
	ds_write_b32 v31, v8
.LBB178_10:                             ;   in Loop: Header=BB178_5 Depth=1
	s_or_b64 exec, exec, s[2:3]
	s_mov_b32 s2, -4
	v_mov_b32_e32 v63, v25
	v_mov_b32_e32 v65, v29
	;; [unrolled: 1-line block ×7, first 2 shown]
	s_waitcnt lgkmcnt(0)
	s_barrier
.LBB178_11:                             ;   Parent Loop BB178_5 Depth=1
                                        ; =>  This Inner Loop Header: Depth=2
	ds_read_b128 v[8:11], v63
	ds_read_b128 v[12:15], v63 offset:16
	ds_read_b32 v77, v65
	ds_read_b32 v100, v67
	ds_read2_b32 v[102:103], v75 offset1:1
	v_mov_b32_e32 v83, 0
	v_mov_b32_e32 v85, 0
	v_mov_b32_e32 v87, 0
	v_mov_b32_e32 v89, 0
	s_waitcnt lgkmcnt(0)
	v_and_b32_e32 v79, 0xf0f0f0f, v102
	v_lshrrev_b32_e32 v81, 4, v102
	v_and_b32_e32 v81, 0xf0f0f0f, v81
	v_dot4c_i32_i8_e32 v83, v79, v8
	v_dot4c_i32_i8_e32 v83, v81, v12
	v_and_b32_e32 v79, 0xf0f0f0f, v103
	v_lshrrev_b32_e32 v81, 4, v103
	ds_read2_b32 v[102:103], v75 offset0:2 offset1:3
	v_and_b32_e32 v81, 0xf0f0f0f, v81
	v_dot4c_i32_i8_e32 v83, v79, v9
	v_dot4c_i32_i8_e32 v83, v81, v13
	s_add_i32 s2, s2, 4
	s_waitcnt lgkmcnt(0)
	v_and_b32_e32 v79, 0xf0f0f0f, v102
	v_lshrrev_b32_e32 v81, 4, v102
	v_and_b32_e32 v81, 0xf0f0f0f, v81
	v_dot4c_i32_i8_e32 v83, v79, v10
	v_dot4c_i32_i8_e32 v83, v81, v14
	v_and_b32_e32 v79, 0xf0f0f0f, v103
	v_lshrrev_b32_e32 v81, 4, v103
	v_dot4c_i32_i8_e32 v83, v79, v11
	v_add_u32_e32 v79, 0x1080, v75
	ds_read_b32 v101, v69
	ds_read2_b32 v[102:103], v79 offset1:1
	v_and_b32_e32 v81, 0xf0f0f0f, v81
	v_dot4c_i32_i8_e32 v83, v81, v15
	v_add_u32_e32 v69, 4, v69
	v_add_u32_e32 v67, 4, v67
	s_waitcnt lgkmcnt(0)
	v_and_b32_e32 v79, 0xf0f0f0f, v102
	v_lshrrev_b32_e32 v81, 4, v102
	v_and_b32_e32 v81, 0xf0f0f0f, v81
	v_dot4c_i32_i8_e32 v85, v79, v8
	v_dot4c_i32_i8_e32 v85, v81, v12
	v_and_b32_e32 v79, 0xf0f0f0f, v103
	v_dot4c_i32_i8_e32 v85, v79, v9
	v_add_u32_e32 v79, 0x1088, v75
	v_lshrrev_b32_e32 v81, 4, v103
	ds_read2_b32 v[102:103], v79 offset1:1
	v_and_b32_e32 v81, 0xf0f0f0f, v81
	v_dot4c_i32_i8_e32 v85, v81, v13
	v_add_u32_e32 v65, 4, v65
	v_add_u32_e32 v63, 32, v63
	s_waitcnt lgkmcnt(0)
	v_and_b32_e32 v79, 0xf0f0f0f, v102
	v_lshrrev_b32_e32 v81, 4, v102
	v_and_b32_e32 v81, 0xf0f0f0f, v81
	v_dot4c_i32_i8_e32 v85, v79, v10
	v_dot4c_i32_i8_e32 v85, v81, v14
	v_and_b32_e32 v79, 0xf0f0f0f, v103
	v_dot4c_i32_i8_e32 v85, v79, v11
	v_add_u32_e32 v79, 0x2100, v75
	ds_read_b32 v102, v71
	ds_read2_b32 v[104:105], v79 offset1:1
	v_lshrrev_b32_e32 v81, 4, v103
	v_and_b32_e32 v81, 0xf0f0f0f, v81
	v_dot4c_i32_i8_e32 v85, v81, v15
	v_add_u32_e32 v71, 4, v71
	s_waitcnt lgkmcnt(0)
	v_and_b32_e32 v79, 0xf0f0f0f, v104
	v_lshrrev_b32_e32 v81, 4, v104
	v_and_b32_e32 v81, 0xf0f0f0f, v81
	v_dot4c_i32_i8_e32 v87, v79, v8
	v_dot4c_i32_i8_e32 v87, v81, v12
	v_and_b32_e32 v79, 0xf0f0f0f, v105
	v_dot4c_i32_i8_e32 v87, v79, v9
	v_add_u32_e32 v79, 0x2108, v75
	v_lshrrev_b32_e32 v81, 4, v105
	ds_read2_b32 v[104:105], v79 offset1:1
	v_and_b32_e32 v81, 0xf0f0f0f, v81
	v_dot4c_i32_i8_e32 v87, v81, v13
	s_cmp_lt_u32 s2, 12
	s_waitcnt lgkmcnt(0)
	v_and_b32_e32 v79, 0xf0f0f0f, v104
	v_lshrrev_b32_e32 v81, 4, v104
	v_and_b32_e32 v81, 0xf0f0f0f, v81
	v_dot4c_i32_i8_e32 v87, v79, v10
	v_dot4c_i32_i8_e32 v87, v81, v14
	v_and_b32_e32 v79, 0xf0f0f0f, v105
	v_lshrrev_b32_e32 v81, 4, v105
	v_and_b32_e32 v81, 0xf0f0f0f, v81
	v_dot4c_i32_i8_e32 v87, v79, v11
	v_dot4c_i32_i8_e32 v87, v81, v15
	v_add_u32_e32 v81, 0x3180, v75
	ds_read_b32 v103, v73
	ds_read2_b32 v[104:105], v81 offset1:1
	v_cvt_f32_i32_e32 v79, v87
	v_add_u32_e32 v73, 4, v73
	s_waitcnt lgkmcnt(0)
	v_and_b32_e32 v81, 0xf0f0f0f, v104
	v_lshrrev_b32_e32 v87, 4, v104
	v_and_b32_e32 v87, 0xf0f0f0f, v87
	v_dot4c_i32_i8_e32 v89, v81, v8
	v_dot4c_i32_i8_e32 v89, v87, v12
	v_and_b32_e32 v8, 0xf0f0f0f, v105
	v_dot4c_i32_i8_e32 v89, v8, v9
	v_add_u32_e32 v8, 0x3188, v75
	ds_read2_b32 v[8:9], v8 offset1:1
	v_lshrrev_b32_e32 v12, 4, v105
	v_and_b32_e32 v12, 0xf0f0f0f, v12
	v_dot4c_i32_i8_e32 v89, v12, v13
	v_cvt_f32_i32_e32 v13, v85
	s_waitcnt lgkmcnt(0)
	v_and_b32_e32 v12, 0xf0f0f0f, v8
	v_lshrrev_b32_e32 v8, 4, v8
	v_and_b32_e32 v8, 0xf0f0f0f, v8
	v_dot4c_i32_i8_e32 v89, v12, v10
	v_dot4c_i32_i8_e32 v89, v8, v14
	v_and_b32_e32 v8, 0xf0f0f0f, v9
	v_lshrrev_b32_e32 v9, 4, v9
	v_and_b32_e32 v9, 0xf0f0f0f, v9
	v_dot4c_i32_i8_e32 v89, v8, v11
	v_dot4c_i32_i8_e32 v89, v9, v15
	v_cvt_f32_f16_sdwa v9, v77 dst_sel:DWORD dst_unused:UNUSED_PAD src0_sel:WORD_1
	v_cvt_f32_f16_e32 v8, v77
	v_cvt_f32_i32_e32 v12, v83
	v_cvt_f32_i32_e32 v96, v89
	v_add_u32_e32 v75, 16, v75
	v_pk_mul_f32 v[10:11], v[96:97], v[8:9]
	v_pk_mul_f32 v[8:9], v[8:9], v[12:13] op_sel_hi:[0,1]
	v_sub_f32_e32 v9, v9, v11
	v_sub_f32_e32 v8, v8, v11
	v_fma_mix_f32 v12, v77, v79, -v11 op_sel_hi:[1,0,0]
	v_sub_f32_e32 v13, v10, v11
	v_pk_fma_f32 v[6:7], v[102:103], v[12:13], v[6:7]
	v_pk_fma_f32 v[4:5], v[100:101], v[8:9], v[4:5]
	s_cbranch_scc1 .LBB178_11
; %bb.12:                               ;   in Loop: Header=BB178_5 Depth=1
	s_bitset1_b32 s6, 7
	s_cmp_ge_i32 s6, s5
	s_barrier
	s_cbranch_scc1 .LBB178_4
; %bb.13:                               ;   in Loop: Header=BB178_5 Depth=1
	v_add_u32_e32 v8, s20, v35
	v_cmp_gt_i32_e64 s[2:3], s8, v8
	s_and_b64 s[18:19], s[0:1], s[2:3]
	s_and_saveexec_b64 s[2:3], s[18:19]
	s_cbranch_execz .LBB178_15
; %bb.14:                               ;   in Loop: Header=BB178_5 Depth=1
	v_add_u32_e32 v8, v52, v8
	v_mad_i64_i32 v[8:9], s[18:19], v8, 36, v[50:51]
	global_load_dword v8, v[8:9], off offset:4
	s_waitcnt vmcnt(0)
	ds_write_b32 v33, v8
.LBB178_15:                             ;   in Loop: Header=BB178_5 Depth=1
	s_or_b64 exec, exec, s[2:3]
	s_and_saveexec_b64 s[18:19], vcc
	s_cbranch_execz .LBB178_18
; %bb.16:                               ;   in Loop: Header=BB178_5 Depth=1
	v_or_b32_e32 v8, 4, v98
	v_cmp_gt_i32_e64 s[2:3], s8, v8
	s_and_b64 s[2:3], s[0:1], s[2:3]
	s_and_b64 exec, exec, s[2:3]
	s_cbranch_execz .LBB178_18
; %bb.17:                               ;   in Loop: Header=BB178_5 Depth=1
	v_ashrrev_i32_e32 v99, 31, v98
	v_lshl_add_u64 v[8:9], v[52:53], 0, v[98:99]
	v_mad_u64_u32 v[10:11], s[2:3], v8, 36, s[14:15]
	v_mad_i32_i24 v11, v9, 36, v11
	global_load_dword v8, v[10:11], off offset:144
	s_waitcnt vmcnt(0)
	ds_write_b32 v31, v8
.LBB178_18:                             ;   in Loop: Header=BB178_5 Depth=1
	s_or_b64 exec, exec, s[18:19]
	s_mov_b32 s2, 12
	v_mov_b32_e32 v8, v29
	v_mov_b32_e32 v9, v25
	;; [unrolled: 1-line block ×7, first 2 shown]
	s_waitcnt lgkmcnt(0)
	s_barrier
.LBB178_19:                             ;   Parent Loop BB178_5 Depth=1
                                        ; =>  This Inner Loop Header: Depth=2
	ds_read_b128 v[98:101], v9
	ds_read_b128 v[102:105], v9 offset:16
	ds_read_b32 v15, v8
	ds_read_b32 v106, v10
	ds_read2_b32 v[108:109], v14 offset1:1
	v_mov_b32_e32 v67, 0
	v_mov_b32_e32 v69, 0
	v_mov_b32_e32 v71, 0
	v_mov_b32_e32 v73, 0
	s_waitcnt lgkmcnt(0)
	v_and_b32_e32 v63, 0xf0f0f0f, v108
	v_lshrrev_b32_e32 v65, 4, v108
	v_and_b32_e32 v65, 0xf0f0f0f, v65
	v_dot4c_i32_i8_e32 v67, v63, v98
	v_dot4c_i32_i8_e32 v67, v65, v102
	v_and_b32_e32 v63, 0xf0f0f0f, v109
	v_lshrrev_b32_e32 v65, 4, v109
	ds_read2_b32 v[108:109], v14 offset0:2 offset1:3
	v_and_b32_e32 v65, 0xf0f0f0f, v65
	v_dot4c_i32_i8_e32 v67, v63, v99
	v_dot4c_i32_i8_e32 v67, v65, v103
	s_add_i32 s2, s2, 4
	s_waitcnt lgkmcnt(0)
	v_and_b32_e32 v63, 0xf0f0f0f, v108
	v_lshrrev_b32_e32 v65, 4, v108
	v_and_b32_e32 v65, 0xf0f0f0f, v65
	v_dot4c_i32_i8_e32 v67, v63, v100
	v_dot4c_i32_i8_e32 v67, v65, v104
	v_and_b32_e32 v63, 0xf0f0f0f, v109
	v_lshrrev_b32_e32 v65, 4, v109
	v_dot4c_i32_i8_e32 v67, v63, v101
	v_add_u32_e32 v63, 0x1080, v14
	ds_read_b32 v107, v11
	ds_read2_b32 v[108:109], v63 offset1:1
	v_and_b32_e32 v65, 0xf0f0f0f, v65
	v_dot4c_i32_i8_e32 v67, v65, v105
	v_add_u32_e32 v11, 4, v11
	v_add_u32_e32 v10, 4, v10
	s_waitcnt lgkmcnt(0)
	v_and_b32_e32 v63, 0xf0f0f0f, v108
	v_lshrrev_b32_e32 v65, 4, v108
	v_and_b32_e32 v65, 0xf0f0f0f, v65
	v_dot4c_i32_i8_e32 v69, v63, v98
	v_dot4c_i32_i8_e32 v69, v65, v102
	v_and_b32_e32 v63, 0xf0f0f0f, v109
	v_dot4c_i32_i8_e32 v69, v63, v99
	v_add_u32_e32 v63, 0x1088, v14
	v_lshrrev_b32_e32 v65, 4, v109
	ds_read2_b32 v[108:109], v63 offset1:1
	v_and_b32_e32 v65, 0xf0f0f0f, v65
	v_dot4c_i32_i8_e32 v69, v65, v103
	v_add_u32_e32 v9, 32, v9
	v_add_u32_e32 v8, 4, v8
	s_waitcnt lgkmcnt(0)
	v_and_b32_e32 v63, 0xf0f0f0f, v108
	v_lshrrev_b32_e32 v65, 4, v108
	v_and_b32_e32 v65, 0xf0f0f0f, v65
	v_dot4c_i32_i8_e32 v69, v63, v100
	v_dot4c_i32_i8_e32 v69, v65, v104
	v_and_b32_e32 v63, 0xf0f0f0f, v109
	v_dot4c_i32_i8_e32 v69, v63, v101
	v_add_u32_e32 v63, 0x2100, v14
	ds_read_b32 v108, v12
	ds_read2_b32 v[110:111], v63 offset1:1
	v_lshrrev_b32_e32 v65, 4, v109
	v_and_b32_e32 v65, 0xf0f0f0f, v65
	v_dot4c_i32_i8_e32 v69, v65, v105
	v_add_u32_e32 v12, 4, v12
	s_waitcnt lgkmcnt(0)
	v_and_b32_e32 v63, 0xf0f0f0f, v110
	v_lshrrev_b32_e32 v65, 4, v110
	v_and_b32_e32 v65, 0xf0f0f0f, v65
	v_dot4c_i32_i8_e32 v71, v63, v98
	v_dot4c_i32_i8_e32 v71, v65, v102
	v_and_b32_e32 v63, 0xf0f0f0f, v111
	v_dot4c_i32_i8_e32 v71, v63, v99
	v_add_u32_e32 v63, 0x2108, v14
	v_lshrrev_b32_e32 v65, 4, v111
	ds_read2_b32 v[110:111], v63 offset1:1
	v_and_b32_e32 v65, 0xf0f0f0f, v65
	v_dot4c_i32_i8_e32 v71, v65, v103
	s_cmp_lt_u32 s2, 28
	s_waitcnt lgkmcnt(0)
	v_and_b32_e32 v63, 0xf0f0f0f, v110
	v_lshrrev_b32_e32 v65, 4, v110
	v_and_b32_e32 v65, 0xf0f0f0f, v65
	v_dot4c_i32_i8_e32 v71, v63, v100
	v_dot4c_i32_i8_e32 v71, v65, v104
	v_and_b32_e32 v63, 0xf0f0f0f, v111
	v_lshrrev_b32_e32 v65, 4, v111
	v_and_b32_e32 v65, 0xf0f0f0f, v65
	v_dot4c_i32_i8_e32 v71, v63, v101
	v_dot4c_i32_i8_e32 v71, v65, v105
	v_add_u32_e32 v65, 0x3180, v14
	ds_read_b32 v109, v13
	ds_read2_b32 v[110:111], v65 offset1:1
	v_cvt_f32_i32_e32 v63, v71
	v_add_u32_e32 v13, 4, v13
	s_waitcnt lgkmcnt(0)
	v_and_b32_e32 v65, 0xf0f0f0f, v110
	v_lshrrev_b32_e32 v71, 4, v110
	v_and_b32_e32 v71, 0xf0f0f0f, v71
	v_dot4c_i32_i8_e32 v73, v65, v98
	v_dot4c_i32_i8_e32 v73, v71, v102
	v_and_b32_e32 v65, 0xf0f0f0f, v111
	v_dot4c_i32_i8_e32 v73, v65, v99
	v_add_u32_e32 v65, 0x3188, v14
	ds_read2_b32 v[98:99], v65 offset1:1
	v_lshrrev_b32_e32 v71, 4, v111
	v_and_b32_e32 v71, 0xf0f0f0f, v71
	v_dot4c_i32_i8_e32 v73, v71, v103
	v_cvt_f32_i32_e32 v102, v67
	s_waitcnt lgkmcnt(0)
	v_and_b32_e32 v65, 0xf0f0f0f, v98
	v_lshrrev_b32_e32 v71, 4, v98
	v_and_b32_e32 v71, 0xf0f0f0f, v71
	v_dot4c_i32_i8_e32 v73, v65, v100
	v_dot4c_i32_i8_e32 v73, v71, v104
	v_and_b32_e32 v65, 0xf0f0f0f, v99
	v_lshrrev_b32_e32 v71, 4, v99
	v_and_b32_e32 v71, 0xf0f0f0f, v71
	v_dot4c_i32_i8_e32 v73, v65, v101
	v_dot4c_i32_i8_e32 v73, v71, v105
	v_cvt_f32_f16_sdwa v99, v15 dst_sel:DWORD dst_unused:UNUSED_PAD src0_sel:WORD_1
	v_cvt_f32_f16_e32 v98, v15
	v_cvt_f32_i32_e32 v103, v69
	v_cvt_f32_i32_e32 v96, v73
	v_add_u32_e32 v14, 16, v14
	v_pk_mul_f32 v[100:101], v[96:97], v[98:99]
	v_pk_mul_f32 v[98:99], v[98:99], v[102:103] op_sel_hi:[0,1]
	v_sub_f32_e32 v99, v99, v101
	v_sub_f32_e32 v98, v98, v101
	v_fma_mix_f32 v102, v15, v63, -v101 op_sel_hi:[1,0,0]
	v_sub_f32_e32 v103, v100, v101
	v_pk_fma_f32 v[6:7], v[108:109], v[102:103], v[6:7]
	v_pk_fma_f32 v[4:5], v[106:107], v[98:99], v[4:5]
	s_cbranch_scc1 .LBB178_19
; %bb.20:                               ;   in Loop: Header=BB178_5 Depth=1
	s_barrier
	s_branch .LBB178_4
.LBB178_21:
	v_mov_b32_e32 v4, v3
	v_mov_b32_e32 v5, v3
	;; [unrolled: 1-line block ×3, first 2 shown]
	v_mov_b64_e32 v[6:7], v[4:5]
	v_mov_b64_e32 v[4:5], v[2:3]
.LBB178_22:
	s_mul_i32 s0, s10, s7
	s_waitcnt vmcnt(0)
	v_cmp_gt_i32_e32 vcc, s0, v1
	s_and_saveexec_b64 s[0:1], vcc
	s_cbranch_execz .LBB178_31
; %bb.23:
	v_and_b32_e32 v0, 0x3ff, v0
	v_add_u32_e32 v2, s11, v0
	v_mul_lo_u32 v0, v1, s9
	v_cmp_gt_u32_e32 vcc, s9, v2
	s_and_saveexec_b64 s[0:1], vcc
	s_cbranch_execz .LBB178_25
; %bb.24:
	v_add_u32_e32 v8, v0, v2
	v_mov_b32_e32 v9, 0
	v_lshl_add_u64 v[8:9], v[8:9], 2, s[16:17]
	global_store_dword v[8:9], v4, off
.LBB178_25:
	s_or_b64 exec, exec, s[0:1]
	v_add_u32_e32 v1, 32, v2
	v_cmp_gt_u32_e32 vcc, s9, v1
	s_and_saveexec_b64 s[0:1], vcc
	s_cbranch_execz .LBB178_27
; %bb.26:
	v_add_u32_e32 v8, v0, v1
	v_mov_b32_e32 v9, 0
	v_lshl_add_u64 v[8:9], v[8:9], 2, s[16:17]
	global_store_dword v[8:9], v5, off
.LBB178_27:
	s_or_b64 exec, exec, s[0:1]
	v_add_u32_e32 v1, 64, v2
	;; [unrolled: 11-line block ×3, first 2 shown]
	v_cmp_gt_u32_e32 vcc, s9, v1
	s_and_b64 exec, exec, vcc
	s_cbranch_execz .LBB178_31
; %bb.30:
	v_add_u32_e32 v0, v0, v1
	v_mov_b32_e32 v1, 0
	v_lshl_add_u64 v[0:1], v[0:1], 2, s[16:17]
	global_store_dword v[0:1], v7, off
.LBB178_31:
	s_endpgm
	.section	.rodata,"a",@progbits
	.p2align	6, 0x0
	.amdhsa_kernel _ZL8moe_q4_0IfLb1EEvPKvS1_PT_PKiS5_S5_iiiiiii
		.amdhsa_group_segment_fixed_size 22272
		.amdhsa_private_segment_fixed_size 0
		.amdhsa_kernarg_size 76
		.amdhsa_user_sgpr_count 2
		.amdhsa_user_sgpr_dispatch_ptr 0
		.amdhsa_user_sgpr_queue_ptr 0
		.amdhsa_user_sgpr_kernarg_segment_ptr 1
		.amdhsa_user_sgpr_dispatch_id 0
		.amdhsa_user_sgpr_kernarg_preload_length 0
		.amdhsa_user_sgpr_kernarg_preload_offset 0
		.amdhsa_user_sgpr_private_segment_size 0
		.amdhsa_uses_dynamic_stack 0
		.amdhsa_enable_private_segment 0
		.amdhsa_system_sgpr_workgroup_id_x 1
		.amdhsa_system_sgpr_workgroup_id_y 1
		.amdhsa_system_sgpr_workgroup_id_z 0
		.amdhsa_system_sgpr_workgroup_info 0
		.amdhsa_system_vgpr_workitem_id 1
		.amdhsa_next_free_vgpr 112
		.amdhsa_next_free_sgpr 75
		.amdhsa_accum_offset 112
		.amdhsa_reserve_vcc 1
		.amdhsa_float_round_mode_32 0
		.amdhsa_float_round_mode_16_64 0
		.amdhsa_float_denorm_mode_32 3
		.amdhsa_float_denorm_mode_16_64 3
		.amdhsa_dx10_clamp 1
		.amdhsa_ieee_mode 1
		.amdhsa_fp16_overflow 0
		.amdhsa_tg_split 0
		.amdhsa_exception_fp_ieee_invalid_op 0
		.amdhsa_exception_fp_denorm_src 0
		.amdhsa_exception_fp_ieee_div_zero 0
		.amdhsa_exception_fp_ieee_overflow 0
		.amdhsa_exception_fp_ieee_underflow 0
		.amdhsa_exception_fp_ieee_inexact 0
		.amdhsa_exception_int_div_zero 0
	.end_amdhsa_kernel
	.section	.text._ZL8moe_q4_0IfLb1EEvPKvS1_PT_PKiS5_S5_iiiiiii,"axG",@progbits,_ZL8moe_q4_0IfLb1EEvPKvS1_PT_PKiS5_S5_iiiiiii,comdat
.Lfunc_end178:
	.size	_ZL8moe_q4_0IfLb1EEvPKvS1_PT_PKiS5_S5_iiiiiii, .Lfunc_end178-_ZL8moe_q4_0IfLb1EEvPKvS1_PT_PKiS5_S5_iiiiiii
                                        ; -- End function
	.set _ZL8moe_q4_0IfLb1EEvPKvS1_PT_PKiS5_S5_iiiiiii.num_vgpr, 112
	.set _ZL8moe_q4_0IfLb1EEvPKvS1_PT_PKiS5_S5_iiiiiii.num_agpr, 0
	.set _ZL8moe_q4_0IfLb1EEvPKvS1_PT_PKiS5_S5_iiiiiii.numbered_sgpr, 23
	.set _ZL8moe_q4_0IfLb1EEvPKvS1_PT_PKiS5_S5_iiiiiii.num_named_barrier, 0
	.set _ZL8moe_q4_0IfLb1EEvPKvS1_PT_PKiS5_S5_iiiiiii.private_seg_size, 0
	.set _ZL8moe_q4_0IfLb1EEvPKvS1_PT_PKiS5_S5_iiiiiii.uses_vcc, 1
	.set _ZL8moe_q4_0IfLb1EEvPKvS1_PT_PKiS5_S5_iiiiiii.uses_flat_scratch, 0
	.set _ZL8moe_q4_0IfLb1EEvPKvS1_PT_PKiS5_S5_iiiiiii.has_dyn_sized_stack, 0
	.set _ZL8moe_q4_0IfLb1EEvPKvS1_PT_PKiS5_S5_iiiiiii.has_recursion, 0
	.set _ZL8moe_q4_0IfLb1EEvPKvS1_PT_PKiS5_S5_iiiiiii.has_indirect_call, 0
	.section	.AMDGPU.csdata,"",@progbits
; Kernel info:
; codeLenInByte = 4236
; TotalNumSgprs: 29
; NumVgprs: 112
; NumAgprs: 0
; TotalNumVgprs: 112
; ScratchSize: 0
; MemoryBound: 0
; FloatMode: 240
; IeeeMode: 1
; LDSByteSize: 22272 bytes/workgroup (compile time only)
; SGPRBlocks: 10
; VGPRBlocks: 13
; NumSGPRsForWavesPerEU: 81
; NumVGPRsForWavesPerEU: 112
; AccumOffset: 112
; Occupancy: 4
; WaveLimiterHint : 1
; COMPUTE_PGM_RSRC2:SCRATCH_EN: 0
; COMPUTE_PGM_RSRC2:USER_SGPR: 2
; COMPUTE_PGM_RSRC2:TRAP_HANDLER: 0
; COMPUTE_PGM_RSRC2:TGID_X_EN: 1
; COMPUTE_PGM_RSRC2:TGID_Y_EN: 1
; COMPUTE_PGM_RSRC2:TGID_Z_EN: 0
; COMPUTE_PGM_RSRC2:TIDIG_COMP_CNT: 1
; COMPUTE_PGM_RSRC3_GFX90A:ACCUM_OFFSET: 27
; COMPUTE_PGM_RSRC3_GFX90A:TG_SPLIT: 0
	.section	.text._ZL8moe_q4_1IfLb0EEvPKvS1_PT_PKiS5_S5_iiiiiii,"axG",@progbits,_ZL8moe_q4_1IfLb0EEvPKvS1_PT_PKiS5_S5_iiiiiii,comdat
	.globl	_ZL8moe_q4_1IfLb0EEvPKvS1_PT_PKiS5_S5_iiiiiii ; -- Begin function _ZL8moe_q4_1IfLb0EEvPKvS1_PT_PKiS5_S5_iiiiiii
	.p2align	8
	.type	_ZL8moe_q4_1IfLb0EEvPKvS1_PT_PKiS5_S5_iiiiiii,@function
_ZL8moe_q4_1IfLb0EEvPKvS1_PT_PKiS5_S5_iiiiiii: ; @_ZL8moe_q4_1IfLb0EEvPKvS1_PT_PKiS5_S5_iiiiiii
; %bb.0:
	s_load_dwordx4 s[4:7], s[0:1], 0x18
	s_mov_b32 s8, s3
	s_mov_b32 s9, 0
	s_lshl_b64 s[10:11], s[8:9], 2
	s_waitcnt lgkmcnt(0)
	s_add_u32 s6, s6, s10
	s_addc_u32 s7, s7, s11
	s_load_dword s3, s[6:7], 0x0
	s_waitcnt lgkmcnt(0)
	s_cmpk_gt_u32 s3, 0xff
	s_cbranch_scc1 .LBB179_31
; %bb.1:
	s_load_dwordx2 s[6:7], s[0:1], 0x28
	s_waitcnt lgkmcnt(0)
	s_load_dword s7, s[6:7], 0x0
	s_lshl_b32 s6, s8, 3
	s_waitcnt lgkmcnt(0)
	s_cmp_gt_u32 s6, s7
	s_cbranch_scc1 .LBB179_31
; %bb.2:
	v_bfe_u32 v4, v0, 10, 10
	v_mov_b32_e32 v6, s4
	v_mov_b32_e32 v7, s5
	v_add_u32_e32 v2, s6, v4
	v_mov_b32_e32 v3, 0
	v_lshl_add_u64 v[6:7], v[2:3], 2, v[6:7]
	global_load_dword v1, v[6:7], off
	s_load_dwordx2 s[14:15], s[0:1], 0x30
	s_load_dwordx2 s[12:13], s[0:1], 0x10
	s_load_dwordx4 s[4:7], s[0:1], 0x3c
	s_lshl_b32 s18, s2, 7
	s_mov_b32 s19, 0
	s_waitcnt lgkmcnt(0)
	s_cmp_lt_i32 s15, 32
	s_cbranch_scc1 .LBB179_21
; %bb.3:
	s_load_dwordx4 s[8:11], s[0:1], 0x0
	s_ashr_i32 s0, s15, 31
	s_ashr_i32 s1, s5, 31
	s_lshr_b32 s0, s0, 27
	s_lshr_b32 s1, s1, 27
	s_add_i32 s0, s15, s0
	s_add_i32 s1, s5, s1
	s_mul_i32 s3, s3, s14
	s_ashr_i32 s20, s0, 5
	s_ashr_i32 s5, s1, 5
	;; [unrolled: 1-line block ×3, first 2 shown]
	s_waitcnt lgkmcnt(0)
	s_add_u32 s2, s8, s3
	s_mul_i32 s3, s20, s18
	s_addc_u32 s1, s9, s1
	s_mul_hi_i32 s8, s3, 20
	s_mul_i32 s3, s3, 20
	v_bfe_u32 v47, v0, 3, 7
	s_add_u32 s14, s2, s3
	v_and_b32_e32 v28, 7, v0
	v_lshl_add_u32 v6, v4, 2, v47
	v_mov_b32_e32 v33, 0x5280
	s_addc_u32 s21, s1, s8
	v_and_b32_e32 v7, 0x1ffc, v6
	v_lshlrev_b32_e32 v8, 2, v28
	s_movk_i32 s1, 0x4200
	v_and_b32_e32 v32, 31, v0
	v_lshl_add_u32 v49, v4, 7, v33
	v_and_b32_e32 v17, 0x3ff, v0
	v_add3_u32 v9, v7, v8, s1
	v_add_u32_e32 v7, 32, v6
	v_lshl_or_b32 v51, v32, 2, v49
	v_mov_b32_e32 v32, 0x5680
	v_lshlrev_b32_e32 v5, 2, v17
	s_movk_i32 s2, 0x84
	v_mul_lo_u32 v30, s20, v6
	v_lshlrev_b32_e32 v10, 5, v6
	v_and_b32_e32 v11, 0x3ffc, v7
	v_lshlrev_b32_e32 v12, 5, v7
	v_add_u32_e32 v7, 64, v6
	v_add_u32_e32 v6, 0x60, v6
	v_lshl_add_u32 v53, v4, 4, v32
	s_abs_i32 s8, s7
	v_and_b32_e32 v2, 12, v5
	v_mad_u32_u24 v19, v4, s2, v5
	v_and_b32_e32 v13, 0x3ffc, v7
	v_lshlrev_b32_e32 v14, 5, v7
	v_and_b32_e32 v7, 0x3ffc, v6
	v_lshlrev_b32_e32 v15, 5, v6
	v_and_b32_e32 v6, 28, v5
	v_add_u32_e32 v55, v53, v5
	v_cvt_f32_u32_e32 v5, s8
	s_and_b32 s16, s0, 0xffffffe0
	s_sub_i32 s0, 0, s8
	s_waitcnt vmcnt(0)
	v_sub_u32_e32 v33, 0, v1
	v_rcp_iflag_f32_e32 v5, v5
	v_max_i32_e32 v33, v1, v33
	v_add3_u32 v11, v11, v8, s1
	v_add3_u32 v13, v13, v8, s1
	v_mul_f32_e32 v5, 0x4f7ffffe, v5
	v_cvt_u32_f32_e32 v5, v5
	v_add3_u32 v8, v7, v8, s1
	v_mul_lo_u32 v16, s20, v4
	s_lshl_b32 s3, s20, 3
	v_mul_lo_u32 v34, s0, v5
	v_mul_hi_u32 v34, v5, v34
	v_add_u32_e32 v5, v5, v34
	v_mul_hi_u32 v5, v33, v5
	v_mul_lo_u32 v34, v5, s8
	v_sub_u32_e32 v33, v33, v34
	v_add_u32_e32 v34, 1, v5
	v_cmp_le_u32_e64 s[0:1], s8, v33
	v_add_u32_e32 v18, s3, v16
	v_xor_b32_e32 v32, s7, v1
	v_cndmask_b32_e64 v5, v5, v34, s[0:1]
	v_subrev_u32_e32 v34, s8, v33
	v_cndmask_b32_e64 v33, v33, v34, s[0:1]
	v_add_u32_e32 v34, 1, v5
	v_cmp_le_u32_e64 s[0:1], s8, v33
	v_add_u32_e32 v20, s3, v18
	v_ashrrev_i32_e32 v32, 31, v32
	v_cndmask_b32_e64 v5, v5, v34, s[0:1]
	v_add_u32_e32 v22, s3, v20
	v_xor_b32_e32 v5, v5, v32
	v_add_u32_e32 v24, s3, v22
	v_mov_b32_e32 v7, v3
	v_add_u32_e32 v4, 32, v17
	v_add_u32_e32 v36, 64, v17
	;; [unrolled: 1-line block ×3, first 2 shown]
	v_sub_u32_e32 v5, v5, v32
	v_add_u32_e32 v26, s3, v24
	v_lshrrev_b32_e32 v59, 3, v4
	v_cmp_gt_i32_e64 s[0:1], s4, v5
	v_mul_lo_u32 v32, v5, s5
	v_lshl_add_u64 v[34:35], s[10:11], 0, v[6:7]
	v_lshlrev_b32_e32 v5, 5, v17
	v_and_b32_e32 v6, 0x1fc, v38
	v_and_b32_e32 v7, 0x1fc, v36
	;; [unrolled: 1-line block ×4, first 2 shown]
	v_add_u32_e32 v6, v5, v6
	v_add_u32_e32 v7, v5, v7
	;; [unrolled: 1-line block ×13, first 2 shown]
	v_cmp_gt_u32_e32 vcc, 4, v17
	v_add_u32_e32 v52, s3, v50
	v_add_u32_e32 v58, s16, v56
	;; [unrolled: 1-line block ×13, first 2 shown]
	v_mul_u32_u24_e32 v57, 0x84, v17
	s_and_b64 s[8:9], vcc, s[0:1]
	v_ashrrev_i32_e32 v33, 31, v32
	v_add_u32_e32 v61, 0x4e00, v6
	v_add_u32_e32 v64, 0x4a00, v7
	;; [unrolled: 1-line block ×12, first 2 shown]
	v_mov_b32_e32 v4, v3
	v_mov_b32_e32 v5, v3
	;; [unrolled: 1-line block ×4, first 2 shown]
	v_mad_u32_u24 v75, v17, s2, 64
	v_add_u32_e32 v54, s3, v52
	v_add_u32_e32 v60, s16, v58
	s_branch .LBB179_5
.LBB179_4:                              ;   in Loop: Header=BB179_5 Depth=1
	s_add_i32 s19, s19, 8
	s_cmp_ge_i32 s19, s20
	s_cbranch_scc1 .LBB179_22
.LBB179_5:                              ; =>This Loop Header: Depth=1
                                        ;     Child Loop BB179_11 Depth 2
                                        ;     Child Loop BB179_19 Depth 2
	s_mul_i32 s2, s19, 20
	s_mul_hi_u32 s3, s19, 20
	s_add_u32 s2, s14, s2
	s_addc_u32 s3, s21, s3
	v_bfe_u32 v8, v0, 2, 8
	v_mad_u64_u32 v[8:9], s[16:17], v8, 20, s[2:3]
	v_mad_u64_u32 v[10:11], s[16:17], v16, 20, v[8:9]
	;; [unrolled: 1-line block ×8, first 2 shown]
	v_lshl_add_u64 v[10:11], v[10:11], 0, v[2:3]
	v_lshl_add_u64 v[12:13], v[12:13], 0, v[2:3]
	;; [unrolled: 1-line block ×7, first 2 shown]
	v_mad_u64_u32 v[82:83], s[16:17], v38, 20, v[8:9]
	v_lshl_add_u64 v[82:83], v[82:83], 0, v[2:3]
	global_load_dword v84, v[10:11], off offset:4
	global_load_dword v85, v[12:13], off offset:4
	;; [unrolled: 1-line block ×8, first 2 shown]
	v_mad_u64_u32 v[10:11], s[16:17], v40, 20, v[8:9]
	v_mad_u64_u32 v[12:13], s[16:17], v42, 20, v[8:9]
	;; [unrolled: 1-line block ×8, first 2 shown]
	v_lshl_add_u64 v[10:11], v[10:11], 0, v[2:3]
	v_lshl_add_u64 v[8:9], v[8:9], 0, v[2:3]
	;; [unrolled: 1-line block ×8, first 2 shown]
	global_load_dword v82, v[10:11], off offset:4
	global_load_dword v83, v[12:13], off offset:4
	;; [unrolled: 1-line block ×8, first 2 shown]
	v_mad_u64_u32 v[8:9], s[2:3], v28, 20, s[2:3]
	v_mad_u64_u32 v[10:11], s[2:3], v30, 20, v[8:9]
	;; [unrolled: 1-line block ×5, first 2 shown]
	global_load_dword v62, v[10:11], off
	global_load_dword v63, v[12:13], off
	;; [unrolled: 1-line block ×3, first 2 shown]
	s_lshl_b32 s16, s19, 5
	global_load_dword v8, v[8:9], off
	v_add_u32_e32 v9, 0x420, v19
	s_cmp_lt_i32 s16, s15
	s_waitcnt vmcnt(19)
	ds_write_b32 v19, v84
	s_waitcnt vmcnt(18)
	ds_write_b32 v9, v85
	v_add_u32_e32 v9, 0x840, v19
	s_waitcnt vmcnt(17)
	ds_write_b32 v9, v86
	v_add_u32_e32 v9, 0xc60, v19
	;; [unrolled: 3-line block ×3, first 2 shown]
	s_waitcnt vmcnt(15)
	ds_write_b32 v9, v88
	s_waitcnt vmcnt(14)
	ds_write_b32 v21, v89
	;; [unrolled: 2-line block ×16, first 2 shown]
	s_cbranch_scc0 .LBB179_4
; %bb.6:                                ;   in Loop: Header=BB179_5 Depth=1
	v_add_u32_e32 v8, s19, v47
	v_cmp_gt_i32_e64 s[2:3], s5, v8
	s_and_b64 s[22:23], s[0:1], s[2:3]
	s_and_saveexec_b64 s[2:3], s[22:23]
	s_cbranch_execz .LBB179_8
; %bb.7:                                ;   in Loop: Header=BB179_5 Depth=1
	v_add_u32_e32 v8, v32, v8
	v_mad_i64_i32 v[8:9], s[22:23], v8, 36, v[34:35]
	global_load_dword v8, v[8:9], off offset:4
	s_waitcnt vmcnt(0)
	ds_write_b32 v51, v8
.LBB179_8:                              ;   in Loop: Header=BB179_5 Depth=1
	s_or_b64 exec, exec, s[2:3]
	v_add_u32_e32 v62, s19, v17
	v_cmp_gt_i32_e64 s[2:3], s5, v62
	s_and_b64 s[22:23], s[8:9], s[2:3]
	s_and_saveexec_b64 s[2:3], s[22:23]
	s_cbranch_execz .LBB179_10
; %bb.9:                                ;   in Loop: Header=BB179_5 Depth=1
	v_add_u32_e32 v8, v32, v62
	v_mad_i64_i32 v[8:9], s[22:23], v8, 36, s[10:11]
	global_load_dword v8, v[8:9], off
	s_waitcnt vmcnt(0)
	ds_write_b32 v55, v8
.LBB179_10:                             ;   in Loop: Header=BB179_5 Depth=1
	s_or_b64 exec, exec, s[2:3]
	s_mov_b32 s2, -4
	v_mov_b32_e32 v63, v49
	v_mov_b32_e32 v76, v53
	v_mov_b32_e32 v77, v66
	v_mov_b32_e32 v78, v65
	v_mov_b32_e32 v79, v64
	v_mov_b32_e32 v80, v61
	v_mov_b32_e32 v81, v57
	s_waitcnt lgkmcnt(0)
	s_barrier
.LBB179_11:                             ;   Parent Loop BB179_5 Depth=1
                                        ; =>  This Inner Loop Header: Depth=2
	ds_read_b128 v[8:11], v63
	ds_read_b128 v[12:15], v63 offset:16
	ds_read_b32 v88, v76
	ds_read_b32 v84, v77
	ds_read2_b32 v[82:83], v81 offset1:1
	v_mov_b32_e32 v89, 0
	v_mov_b32_e32 v90, 0
	;; [unrolled: 1-line block ×4, first 2 shown]
	s_waitcnt lgkmcnt(0)
	v_and_b32_e32 v85, 0xf0f0f0f, v82
	v_lshrrev_b32_e32 v82, 4, v82
	v_and_b32_e32 v82, 0xf0f0f0f, v82
	v_dot4c_i32_i8_e32 v89, v85, v8
	v_dot4c_i32_i8_e32 v89, v82, v12
	v_and_b32_e32 v82, 0xf0f0f0f, v83
	v_lshrrev_b32_e32 v83, 4, v83
	v_and_b32_e32 v83, 0xf0f0f0f, v83
	v_dot4c_i32_i8_e32 v89, v82, v9
	v_dot4c_i32_i8_e32 v89, v83, v13
	ds_read2_b32 v[82:83], v81 offset0:2 offset1:3
	v_pk_mul_f16 v84, v88, v84
	s_add_i32 s2, s2, 4
	v_add_u32_e32 v77, 4, v77
	v_add_u32_e32 v76, 4, v76
	s_waitcnt lgkmcnt(0)
	v_and_b32_e32 v85, 0xf0f0f0f, v82
	v_lshrrev_b32_e32 v82, 4, v82
	v_and_b32_e32 v82, 0xf0f0f0f, v82
	v_dot4c_i32_i8_e32 v89, v85, v10
	v_dot4c_i32_i8_e32 v89, v82, v14
	v_and_b32_e32 v82, 0xf0f0f0f, v83
	v_lshrrev_b32_e32 v83, 4, v83
	v_and_b32_e32 v83, 0xf0f0f0f, v83
	v_dot4c_i32_i8_e32 v89, v82, v11
	v_add_u32_e32 v82, 0x1080, v81
	v_dot4c_i32_i8_e32 v89, v83, v15
	ds_read_b32 v85, v78
	ds_read2_b32 v[82:83], v82 offset1:1
	v_add_u32_e32 v78, 4, v78
	v_add_u32_e32 v63, 32, v63
	s_cmp_lt_u32 s2, 12
	s_waitcnt lgkmcnt(1)
	v_pk_mul_f16 v85, v88, v85
	s_waitcnt lgkmcnt(0)
	v_and_b32_e32 v86, 0xf0f0f0f, v82
	v_lshrrev_b32_e32 v82, 4, v82
	v_and_b32_e32 v82, 0xf0f0f0f, v82
	v_dot4c_i32_i8_e32 v90, v86, v8
	v_dot4c_i32_i8_e32 v90, v82, v12
	v_and_b32_e32 v82, 0xf0f0f0f, v83
	v_lshrrev_b32_e32 v83, 4, v83
	v_and_b32_e32 v83, 0xf0f0f0f, v83
	v_dot4c_i32_i8_e32 v90, v82, v9
	v_add_u32_e32 v82, 0x1088, v81
	v_dot4c_i32_i8_e32 v90, v83, v13
	ds_read2_b32 v[82:83], v82 offset1:1
	s_waitcnt lgkmcnt(0)
	v_and_b32_e32 v86, 0xf0f0f0f, v82
	v_dot4c_i32_i8_e32 v90, v86, v10
	v_add_u32_e32 v86, 0x2100, v81
	ds_read_b32 v91, v79
	ds_read2_b32 v[86:87], v86 offset1:1
	v_lshrrev_b32_e32 v82, 4, v82
	v_and_b32_e32 v82, 0xf0f0f0f, v82
	v_dot4c_i32_i8_e32 v90, v82, v14
	v_and_b32_e32 v82, 0xf0f0f0f, v83
	s_waitcnt lgkmcnt(0)
	v_and_b32_e32 v92, 0xf0f0f0f, v86
	v_lshrrev_b32_e32 v86, 4, v86
	v_and_b32_e32 v86, 0xf0f0f0f, v86
	v_dot4c_i32_i8_e32 v93, v92, v8
	v_dot4c_i32_i8_e32 v93, v86, v12
	v_and_b32_e32 v86, 0xf0f0f0f, v87
	v_lshrrev_b32_e32 v87, 4, v87
	v_and_b32_e32 v87, 0xf0f0f0f, v87
	v_dot4c_i32_i8_e32 v93, v86, v9
	v_add_u32_e32 v86, 0x2108, v81
	v_dot4c_i32_i8_e32 v93, v87, v13
	ds_read2_b32 v[86:87], v86 offset1:1
	v_lshrrev_b32_e32 v83, 4, v83
	v_and_b32_e32 v83, 0xf0f0f0f, v83
	v_dot4c_i32_i8_e32 v90, v82, v11
	v_dot4c_i32_i8_e32 v90, v83, v15
	s_waitcnt lgkmcnt(0)
	v_and_b32_e32 v92, 0xf0f0f0f, v86
	v_lshrrev_b32_e32 v86, 4, v86
	v_and_b32_e32 v86, 0xf0f0f0f, v86
	v_dot4c_i32_i8_e32 v93, v92, v10
	v_dot4c_i32_i8_e32 v93, v86, v14
	v_and_b32_e32 v86, 0xf0f0f0f, v87
	v_lshrrev_b32_e32 v87, 4, v87
	v_and_b32_e32 v87, 0xf0f0f0f, v87
	v_dot4c_i32_i8_e32 v93, v86, v11
	v_add_u32_e32 v86, 0x3180, v81
	v_dot4c_i32_i8_e32 v93, v87, v15
	ds_read_b32 v92, v80
	ds_read2_b32 v[86:87], v86 offset1:1
	v_pk_mul_f16 v91, v88, v91
	v_cvt_f32_f16_e32 v83, v85
	v_cvt_f32_f16_e32 v82, v84
	v_cvt_f32_f16_sdwa v85, v85 dst_sel:DWORD dst_unused:UNUSED_PAD src0_sel:WORD_1
	s_waitcnt lgkmcnt(0)
	v_and_b32_e32 v94, 0xf0f0f0f, v86
	v_lshrrev_b32_e32 v86, 4, v86
	v_and_b32_e32 v86, 0xf0f0f0f, v86
	v_dot4c_i32_i8_e32 v95, v94, v8
	v_dot4c_i32_i8_e32 v95, v86, v12
	v_and_b32_e32 v8, 0xf0f0f0f, v87
	v_dot4c_i32_i8_e32 v95, v8, v9
	v_add_u32_e32 v8, 0x3188, v81
	ds_read2_b32 v[8:9], v8 offset1:1
	v_lshrrev_b32_e32 v12, 4, v87
	v_and_b32_e32 v12, 0xf0f0f0f, v12
	v_dot4c_i32_i8_e32 v95, v12, v13
	v_cvt_f32_f16_sdwa v84, v84 dst_sel:DWORD dst_unused:UNUSED_PAD src0_sel:WORD_1
	s_waitcnt lgkmcnt(0)
	v_and_b32_e32 v12, 0xf0f0f0f, v8
	v_lshrrev_b32_e32 v8, 4, v8
	v_and_b32_e32 v8, 0xf0f0f0f, v8
	v_dot4c_i32_i8_e32 v95, v12, v10
	v_dot4c_i32_i8_e32 v95, v8, v14
	v_and_b32_e32 v8, 0xf0f0f0f, v9
	v_lshrrev_b32_e32 v9, 4, v9
	v_and_b32_e32 v9, 0xf0f0f0f, v9
	v_dot4c_i32_i8_e32 v95, v8, v11
	v_dot4c_i32_i8_e32 v95, v9, v15
	v_pk_mul_f16 v10, v88, v92
	v_cvt_f32_f16_e32 v8, v91
	v_cvt_f32_f16_e32 v9, v10
	v_cvt_f32_f16_sdwa v11, v10 dst_sel:DWORD dst_unused:UNUSED_PAD src0_sel:WORD_1
	v_cvt_f32_f16_sdwa v10, v91 dst_sel:DWORD dst_unused:UNUSED_PAD src0_sel:WORD_1
	v_cvt_f32_i32_e32 v13, v95
	v_cvt_f32_i32_e32 v12, v93
	v_cvt_f32_i32_e32 v14, v89
	v_cvt_f32_i32_e32 v15, v90
	v_add_u32_e32 v81, 16, v81
	v_pk_fma_f32 v[8:9], v[8:9], v[12:13], v[10:11]
	v_add_u32_e32 v80, 4, v80
	v_pk_fma_f32 v[14:15], v[82:83], v[14:15], v[84:85]
	v_pk_add_f32 v[6:7], v[6:7], v[8:9]
	v_pk_add_f32 v[4:5], v[4:5], v[14:15]
	v_add_u32_e32 v79, 4, v79
	s_cbranch_scc1 .LBB179_11
; %bb.12:                               ;   in Loop: Header=BB179_5 Depth=1
	s_bitset1_b32 s16, 7
	s_cmp_ge_i32 s16, s15
	s_barrier
	s_cbranch_scc1 .LBB179_4
; %bb.13:                               ;   in Loop: Header=BB179_5 Depth=1
	v_add_u32_e32 v8, s19, v59
	v_cmp_gt_i32_e64 s[2:3], s5, v8
	s_and_b64 s[16:17], s[0:1], s[2:3]
	s_and_saveexec_b64 s[2:3], s[16:17]
	s_cbranch_execz .LBB179_15
; %bb.14:                               ;   in Loop: Header=BB179_5 Depth=1
	v_add_u32_e32 v8, v32, v8
	v_mad_i64_i32 v[8:9], s[16:17], v8, 36, v[34:35]
	global_load_dword v8, v[8:9], off offset:4
	s_waitcnt vmcnt(0)
	ds_write_b32 v51, v8
.LBB179_15:                             ;   in Loop: Header=BB179_5 Depth=1
	s_or_b64 exec, exec, s[2:3]
	s_and_saveexec_b64 s[16:17], vcc
	s_cbranch_execz .LBB179_18
; %bb.16:                               ;   in Loop: Header=BB179_5 Depth=1
	v_or_b32_e32 v8, 4, v62
	v_cmp_gt_i32_e64 s[2:3], s5, v8
	s_and_b64 s[2:3], s[0:1], s[2:3]
	s_and_b64 exec, exec, s[2:3]
	s_cbranch_execz .LBB179_18
; %bb.17:                               ;   in Loop: Header=BB179_5 Depth=1
	v_ashrrev_i32_e32 v63, 31, v62
	v_lshl_add_u64 v[8:9], v[32:33], 0, v[62:63]
	v_mad_u64_u32 v[10:11], s[2:3], v8, 36, s[10:11]
	v_mad_i32_i24 v11, v9, 36, v11
	global_load_dword v8, v[10:11], off offset:144
	s_waitcnt vmcnt(0)
	ds_write_b32 v55, v8
.LBB179_18:                             ;   in Loop: Header=BB179_5 Depth=1
	s_or_b64 exec, exec, s[16:17]
	s_mov_b32 s2, 12
	v_mov_b32_e32 v62, v53
	v_mov_b32_e32 v63, v49
	;; [unrolled: 1-line block ×7, first 2 shown]
	s_waitcnt lgkmcnt(0)
	s_barrier
.LBB179_19:                             ;   Parent Loop BB179_5 Depth=1
                                        ; =>  This Inner Loop Header: Depth=2
	ds_read_b128 v[8:11], v63
	ds_read_b128 v[12:15], v63 offset:16
	ds_read_b32 v81, v62
	ds_read_b32 v84, v76
	ds_read2_b32 v[82:83], v80 offset1:1
	v_mov_b32_e32 v88, 0
	v_mov_b32_e32 v89, 0
	;; [unrolled: 1-line block ×4, first 2 shown]
	s_waitcnt lgkmcnt(0)
	v_and_b32_e32 v85, 0xf0f0f0f, v82
	v_lshrrev_b32_e32 v82, 4, v82
	v_and_b32_e32 v82, 0xf0f0f0f, v82
	v_dot4c_i32_i8_e32 v88, v85, v8
	v_dot4c_i32_i8_e32 v88, v82, v12
	v_and_b32_e32 v82, 0xf0f0f0f, v83
	v_lshrrev_b32_e32 v83, 4, v83
	v_and_b32_e32 v83, 0xf0f0f0f, v83
	v_dot4c_i32_i8_e32 v88, v82, v9
	v_dot4c_i32_i8_e32 v88, v83, v13
	ds_read2_b32 v[82:83], v80 offset0:2 offset1:3
	v_pk_mul_f16 v84, v81, v84
	s_add_i32 s2, s2, 4
	v_add_u32_e32 v76, 4, v76
	v_add_u32_e32 v63, 32, v63
	s_waitcnt lgkmcnt(0)
	v_and_b32_e32 v85, 0xf0f0f0f, v82
	v_lshrrev_b32_e32 v82, 4, v82
	v_and_b32_e32 v82, 0xf0f0f0f, v82
	v_dot4c_i32_i8_e32 v88, v85, v10
	v_dot4c_i32_i8_e32 v88, v82, v14
	v_and_b32_e32 v82, 0xf0f0f0f, v83
	v_lshrrev_b32_e32 v83, 4, v83
	v_and_b32_e32 v83, 0xf0f0f0f, v83
	v_dot4c_i32_i8_e32 v88, v82, v11
	v_add_u32_e32 v82, 0x1080, v80
	v_dot4c_i32_i8_e32 v88, v83, v15
	ds_read_b32 v85, v77
	ds_read2_b32 v[82:83], v82 offset1:1
	v_add_u32_e32 v77, 4, v77
	v_add_u32_e32 v62, 4, v62
	s_cmp_lt_u32 s2, 28
	s_waitcnt lgkmcnt(1)
	v_pk_mul_f16 v85, v81, v85
	s_waitcnt lgkmcnt(0)
	v_and_b32_e32 v86, 0xf0f0f0f, v82
	v_lshrrev_b32_e32 v82, 4, v82
	v_and_b32_e32 v82, 0xf0f0f0f, v82
	v_dot4c_i32_i8_e32 v89, v86, v8
	v_dot4c_i32_i8_e32 v89, v82, v12
	v_and_b32_e32 v82, 0xf0f0f0f, v83
	v_lshrrev_b32_e32 v83, 4, v83
	v_and_b32_e32 v83, 0xf0f0f0f, v83
	v_dot4c_i32_i8_e32 v89, v82, v9
	v_add_u32_e32 v82, 0x1088, v80
	v_dot4c_i32_i8_e32 v89, v83, v13
	ds_read2_b32 v[82:83], v82 offset1:1
	s_waitcnt lgkmcnt(0)
	v_and_b32_e32 v86, 0xf0f0f0f, v82
	v_dot4c_i32_i8_e32 v89, v86, v10
	v_add_u32_e32 v86, 0x2100, v80
	ds_read_b32 v90, v78
	ds_read2_b32 v[86:87], v86 offset1:1
	v_lshrrev_b32_e32 v82, 4, v82
	v_and_b32_e32 v82, 0xf0f0f0f, v82
	v_dot4c_i32_i8_e32 v89, v82, v14
	v_and_b32_e32 v82, 0xf0f0f0f, v83
	s_waitcnt lgkmcnt(0)
	v_and_b32_e32 v91, 0xf0f0f0f, v86
	v_lshrrev_b32_e32 v86, 4, v86
	v_and_b32_e32 v86, 0xf0f0f0f, v86
	v_dot4c_i32_i8_e32 v92, v91, v8
	v_dot4c_i32_i8_e32 v92, v86, v12
	v_and_b32_e32 v86, 0xf0f0f0f, v87
	v_lshrrev_b32_e32 v87, 4, v87
	v_and_b32_e32 v87, 0xf0f0f0f, v87
	v_dot4c_i32_i8_e32 v92, v86, v9
	v_add_u32_e32 v86, 0x2108, v80
	v_dot4c_i32_i8_e32 v92, v87, v13
	ds_read2_b32 v[86:87], v86 offset1:1
	v_lshrrev_b32_e32 v83, 4, v83
	v_and_b32_e32 v83, 0xf0f0f0f, v83
	v_dot4c_i32_i8_e32 v89, v82, v11
	v_dot4c_i32_i8_e32 v89, v83, v15
	s_waitcnt lgkmcnt(0)
	v_and_b32_e32 v91, 0xf0f0f0f, v86
	v_lshrrev_b32_e32 v86, 4, v86
	v_and_b32_e32 v86, 0xf0f0f0f, v86
	v_dot4c_i32_i8_e32 v92, v91, v10
	v_dot4c_i32_i8_e32 v92, v86, v14
	v_and_b32_e32 v86, 0xf0f0f0f, v87
	v_lshrrev_b32_e32 v87, 4, v87
	v_and_b32_e32 v87, 0xf0f0f0f, v87
	v_dot4c_i32_i8_e32 v92, v86, v11
	v_add_u32_e32 v86, 0x3180, v80
	v_dot4c_i32_i8_e32 v92, v87, v15
	ds_read_b32 v91, v79
	ds_read2_b32 v[86:87], v86 offset1:1
	v_pk_mul_f16 v90, v81, v90
	v_cvt_f32_f16_e32 v83, v85
	v_cvt_f32_f16_e32 v82, v84
	v_cvt_f32_f16_sdwa v85, v85 dst_sel:DWORD dst_unused:UNUSED_PAD src0_sel:WORD_1
	s_waitcnt lgkmcnt(0)
	v_and_b32_e32 v93, 0xf0f0f0f, v86
	v_lshrrev_b32_e32 v86, 4, v86
	v_and_b32_e32 v86, 0xf0f0f0f, v86
	v_dot4c_i32_i8_e32 v94, v93, v8
	v_dot4c_i32_i8_e32 v94, v86, v12
	v_and_b32_e32 v8, 0xf0f0f0f, v87
	v_dot4c_i32_i8_e32 v94, v8, v9
	v_add_u32_e32 v8, 0x3188, v80
	ds_read2_b32 v[8:9], v8 offset1:1
	v_lshrrev_b32_e32 v12, 4, v87
	v_and_b32_e32 v12, 0xf0f0f0f, v12
	v_dot4c_i32_i8_e32 v94, v12, v13
	v_cvt_f32_f16_sdwa v84, v84 dst_sel:DWORD dst_unused:UNUSED_PAD src0_sel:WORD_1
	s_waitcnt lgkmcnt(0)
	v_and_b32_e32 v12, 0xf0f0f0f, v8
	v_lshrrev_b32_e32 v8, 4, v8
	v_and_b32_e32 v8, 0xf0f0f0f, v8
	v_dot4c_i32_i8_e32 v94, v12, v10
	v_dot4c_i32_i8_e32 v94, v8, v14
	v_and_b32_e32 v8, 0xf0f0f0f, v9
	v_lshrrev_b32_e32 v9, 4, v9
	v_and_b32_e32 v9, 0xf0f0f0f, v9
	v_dot4c_i32_i8_e32 v94, v8, v11
	v_dot4c_i32_i8_e32 v94, v9, v15
	v_pk_mul_f16 v10, v81, v91
	v_cvt_f32_f16_e32 v8, v90
	v_cvt_f32_f16_e32 v9, v10
	v_cvt_f32_f16_sdwa v11, v10 dst_sel:DWORD dst_unused:UNUSED_PAD src0_sel:WORD_1
	v_cvt_f32_f16_sdwa v10, v90 dst_sel:DWORD dst_unused:UNUSED_PAD src0_sel:WORD_1
	v_cvt_f32_i32_e32 v13, v94
	v_cvt_f32_i32_e32 v12, v92
	;; [unrolled: 1-line block ×4, first 2 shown]
	v_add_u32_e32 v80, 16, v80
	v_pk_fma_f32 v[8:9], v[8:9], v[12:13], v[10:11]
	v_add_u32_e32 v79, 4, v79
	v_pk_fma_f32 v[14:15], v[82:83], v[14:15], v[84:85]
	v_pk_add_f32 v[6:7], v[6:7], v[8:9]
	v_pk_add_f32 v[4:5], v[4:5], v[14:15]
	v_add_u32_e32 v78, 4, v78
	s_cbranch_scc1 .LBB179_19
; %bb.20:                               ;   in Loop: Header=BB179_5 Depth=1
	s_barrier
	s_branch .LBB179_4
.LBB179_21:
	v_mov_b32_e32 v4, v3
	v_mov_b32_e32 v5, v3
	;; [unrolled: 1-line block ×3, first 2 shown]
	v_mov_b64_e32 v[6:7], v[4:5]
	v_mov_b64_e32 v[4:5], v[2:3]
.LBB179_22:
	s_mul_i32 s0, s7, s4
	s_waitcnt vmcnt(0)
	v_cmp_gt_i32_e32 vcc, s0, v1
	s_and_saveexec_b64 s[0:1], vcc
	s_cbranch_execz .LBB179_31
; %bb.23:
	v_and_b32_e32 v0, 0x3ff, v0
	v_add_u32_e32 v2, s18, v0
	v_mul_lo_u32 v0, v1, s6
	v_cmp_gt_u32_e32 vcc, s6, v2
	s_and_saveexec_b64 s[0:1], vcc
	s_cbranch_execz .LBB179_25
; %bb.24:
	v_add_u32_e32 v8, v0, v2
	v_mov_b32_e32 v9, 0
	v_lshl_add_u64 v[8:9], v[8:9], 2, s[12:13]
	global_store_dword v[8:9], v4, off
.LBB179_25:
	s_or_b64 exec, exec, s[0:1]
	v_add_u32_e32 v1, 32, v2
	v_cmp_gt_u32_e32 vcc, s6, v1
	s_and_saveexec_b64 s[0:1], vcc
	s_cbranch_execz .LBB179_27
; %bb.26:
	v_add_u32_e32 v8, v0, v1
	v_mov_b32_e32 v9, 0
	v_lshl_add_u64 v[8:9], v[8:9], 2, s[12:13]
	global_store_dword v[8:9], v5, off
.LBB179_27:
	s_or_b64 exec, exec, s[0:1]
	v_add_u32_e32 v1, 64, v2
	;; [unrolled: 11-line block ×3, first 2 shown]
	v_cmp_gt_u32_e32 vcc, s6, v1
	s_and_b64 exec, exec, vcc
	s_cbranch_execz .LBB179_31
; %bb.30:
	v_add_u32_e32 v0, v0, v1
	v_mov_b32_e32 v1, 0
	v_lshl_add_u64 v[0:1], v[0:1], 2, s[12:13]
	global_store_dword v[0:1], v7, off
.LBB179_31:
	s_endpgm
	.section	.rodata,"a",@progbits
	.p2align	6, 0x0
	.amdhsa_kernel _ZL8moe_q4_1IfLb0EEvPKvS1_PT_PKiS5_S5_iiiiiii
		.amdhsa_group_segment_fixed_size 22272
		.amdhsa_private_segment_fixed_size 0
		.amdhsa_kernarg_size 76
		.amdhsa_user_sgpr_count 2
		.amdhsa_user_sgpr_dispatch_ptr 0
		.amdhsa_user_sgpr_queue_ptr 0
		.amdhsa_user_sgpr_kernarg_segment_ptr 1
		.amdhsa_user_sgpr_dispatch_id 0
		.amdhsa_user_sgpr_kernarg_preload_length 0
		.amdhsa_user_sgpr_kernarg_preload_offset 0
		.amdhsa_user_sgpr_private_segment_size 0
		.amdhsa_uses_dynamic_stack 0
		.amdhsa_enable_private_segment 0
		.amdhsa_system_sgpr_workgroup_id_x 1
		.amdhsa_system_sgpr_workgroup_id_y 1
		.amdhsa_system_sgpr_workgroup_id_z 0
		.amdhsa_system_sgpr_workgroup_info 0
		.amdhsa_system_vgpr_workitem_id 1
		.amdhsa_next_free_vgpr 98
		.amdhsa_next_free_sgpr 75
		.amdhsa_accum_offset 100
		.amdhsa_reserve_vcc 1
		.amdhsa_float_round_mode_32 0
		.amdhsa_float_round_mode_16_64 0
		.amdhsa_float_denorm_mode_32 3
		.amdhsa_float_denorm_mode_16_64 3
		.amdhsa_dx10_clamp 1
		.amdhsa_ieee_mode 1
		.amdhsa_fp16_overflow 0
		.amdhsa_tg_split 0
		.amdhsa_exception_fp_ieee_invalid_op 0
		.amdhsa_exception_fp_denorm_src 0
		.amdhsa_exception_fp_ieee_div_zero 0
		.amdhsa_exception_fp_ieee_overflow 0
		.amdhsa_exception_fp_ieee_underflow 0
		.amdhsa_exception_fp_ieee_inexact 0
		.amdhsa_exception_int_div_zero 0
	.end_amdhsa_kernel
	.section	.text._ZL8moe_q4_1IfLb0EEvPKvS1_PT_PKiS5_S5_iiiiiii,"axG",@progbits,_ZL8moe_q4_1IfLb0EEvPKvS1_PT_PKiS5_S5_iiiiiii,comdat
.Lfunc_end179:
	.size	_ZL8moe_q4_1IfLb0EEvPKvS1_PT_PKiS5_S5_iiiiiii, .Lfunc_end179-_ZL8moe_q4_1IfLb0EEvPKvS1_PT_PKiS5_S5_iiiiiii
                                        ; -- End function
	.set _ZL8moe_q4_1IfLb0EEvPKvS1_PT_PKiS5_S5_iiiiiii.num_vgpr, 98
	.set _ZL8moe_q4_1IfLb0EEvPKvS1_PT_PKiS5_S5_iiiiiii.num_agpr, 0
	.set _ZL8moe_q4_1IfLb0EEvPKvS1_PT_PKiS5_S5_iiiiiii.numbered_sgpr, 24
	.set _ZL8moe_q4_1IfLb0EEvPKvS1_PT_PKiS5_S5_iiiiiii.num_named_barrier, 0
	.set _ZL8moe_q4_1IfLb0EEvPKvS1_PT_PKiS5_S5_iiiiiii.private_seg_size, 0
	.set _ZL8moe_q4_1IfLb0EEvPKvS1_PT_PKiS5_S5_iiiiiii.uses_vcc, 1
	.set _ZL8moe_q4_1IfLb0EEvPKvS1_PT_PKiS5_S5_iiiiiii.uses_flat_scratch, 0
	.set _ZL8moe_q4_1IfLb0EEvPKvS1_PT_PKiS5_S5_iiiiiii.has_dyn_sized_stack, 0
	.set _ZL8moe_q4_1IfLb0EEvPKvS1_PT_PKiS5_S5_iiiiiii.has_recursion, 0
	.set _ZL8moe_q4_1IfLb0EEvPKvS1_PT_PKiS5_S5_iiiiiii.has_indirect_call, 0
	.section	.AMDGPU.csdata,"",@progbits
; Kernel info:
; codeLenInByte = 4080
; TotalNumSgprs: 30
; NumVgprs: 98
; NumAgprs: 0
; TotalNumVgprs: 98
; ScratchSize: 0
; MemoryBound: 0
; FloatMode: 240
; IeeeMode: 1
; LDSByteSize: 22272 bytes/workgroup (compile time only)
; SGPRBlocks: 10
; VGPRBlocks: 12
; NumSGPRsForWavesPerEU: 81
; NumVGPRsForWavesPerEU: 98
; AccumOffset: 100
; Occupancy: 4
; WaveLimiterHint : 1
; COMPUTE_PGM_RSRC2:SCRATCH_EN: 0
; COMPUTE_PGM_RSRC2:USER_SGPR: 2
; COMPUTE_PGM_RSRC2:TRAP_HANDLER: 0
; COMPUTE_PGM_RSRC2:TGID_X_EN: 1
; COMPUTE_PGM_RSRC2:TGID_Y_EN: 1
; COMPUTE_PGM_RSRC2:TGID_Z_EN: 0
; COMPUTE_PGM_RSRC2:TIDIG_COMP_CNT: 1
; COMPUTE_PGM_RSRC3_GFX90A:ACCUM_OFFSET: 24
; COMPUTE_PGM_RSRC3_GFX90A:TG_SPLIT: 0
	.section	.text._ZL8moe_q4_1IfLb1EEvPKvS1_PT_PKiS5_S5_iiiiiii,"axG",@progbits,_ZL8moe_q4_1IfLb1EEvPKvS1_PT_PKiS5_S5_iiiiiii,comdat
	.globl	_ZL8moe_q4_1IfLb1EEvPKvS1_PT_PKiS5_S5_iiiiiii ; -- Begin function _ZL8moe_q4_1IfLb1EEvPKvS1_PT_PKiS5_S5_iiiiiii
	.p2align	8
	.type	_ZL8moe_q4_1IfLb1EEvPKvS1_PT_PKiS5_S5_iiiiiii,@function
_ZL8moe_q4_1IfLb1EEvPKvS1_PT_PKiS5_S5_iiiiiii: ; @_ZL8moe_q4_1IfLb1EEvPKvS1_PT_PKiS5_S5_iiiiiii
; %bb.0:
	s_load_dwordx4 s[4:7], s[0:1], 0x18
	s_mov_b32 s8, s3
	s_mov_b32 s9, 0
	s_lshl_b64 s[10:11], s[8:9], 2
	s_waitcnt lgkmcnt(0)
	s_add_u32 s6, s6, s10
	s_addc_u32 s7, s7, s11
	s_load_dword s3, s[6:7], 0x0
	s_waitcnt lgkmcnt(0)
	s_cmpk_gt_u32 s3, 0xff
	s_cbranch_scc1 .LBB180_31
; %bb.1:
	s_load_dwordx2 s[6:7], s[0:1], 0x28
	s_waitcnt lgkmcnt(0)
	s_load_dword s7, s[6:7], 0x0
	s_lshl_b32 s6, s8, 3
	s_waitcnt lgkmcnt(0)
	s_cmp_gt_u32 s6, s7
	s_cbranch_scc1 .LBB180_31
; %bb.2:
	v_bfe_u32 v4, v0, 10, 10
	v_mov_b32_e32 v6, s4
	v_mov_b32_e32 v7, s5
	v_add_u32_e32 v2, s6, v4
	v_mov_b32_e32 v3, 0
	v_lshl_add_u64 v[6:7], v[2:3], 2, v[6:7]
	global_load_dword v1, v[6:7], off
	s_load_dwordx8 s[4:11], s[0:1], 0x30
	s_load_dwordx2 s[16:17], s[0:1], 0x10
	s_waitcnt lgkmcnt(0)
	s_lshl_b32 s11, s2, 7
	s_mov_b32 s20, 0
	s_cmp_lt_i32 s5, 32
	s_cbranch_scc1 .LBB180_21
; %bb.3:
	s_load_dwordx4 s[12:15], s[0:1], 0x0
	s_ashr_i32 s0, s5, 31
	s_lshr_b32 s0, s0, 27
	s_add_i32 s0, s5, s0
	s_ashr_i32 s21, s0, 5
	s_ashr_i32 s0, s8, 31
	s_lshr_b32 s0, s0, 27
	s_add_i32 s0, s8, s0
	s_mul_i32 s3, s3, s4
	s_ashr_i32 s8, s0, 5
	s_ashr_i32 s0, s3, 31
	s_waitcnt lgkmcnt(0)
	s_add_u32 s1, s12, s3
	s_mul_i32 s2, s21, s11
	s_addc_u32 s0, s13, s0
	s_mul_hi_i32 s3, s2, 20
	s_mul_i32 s2, s2, 20
	s_add_u32 s4, s1, s2
	s_addc_u32 s22, s0, s3
	s_not_b32 s0, s11
	s_add_i32 s0, s6, s0
	v_add_u32_e32 v5, 8, v4
	v_min_i32_e32 v9, s0, v5
	v_add_u32_e32 v5, 16, v4
	v_min_i32_e32 v10, s0, v5
	;; [unrolled: 2-line block ×5, first 2 shown]
	v_add_u32_e32 v5, 48, v4
	v_and_b32_e32 v41, 0x3ff, v0
	v_min_i32_e32 v14, s0, v5
	v_add_u32_e32 v5, 56, v4
	v_lshlrev_b32_e32 v6, 2, v41
	s_movk_i32 s2, 0x84
	v_min_i32_e32 v15, s0, v5
	v_add_u32_e32 v5, 64, v4
	v_mad_u64_u32 v[26:27], s[12:13], v13, s2, v[6:7]
	v_min_i32_e32 v59, s0, v5
	v_add_u32_e32 v5, 0x48, v4
	s_abs_i32 s3, s10
	v_min_i32_e32 v61, s0, v5
	v_add_u32_e32 v5, 0x50, v4
	v_cvt_f32_u32_e32 v27, s3
	v_min_i32_e32 v63, s0, v5
	v_add_u32_e32 v5, 0x58, v4
	v_min_i32_e32 v8, s0, v4
	v_min_i32_e32 v65, s0, v5
	v_add_u32_e32 v5, 0x60, v4
	v_mad_u64_u32 v[16:17], s[12:13], v8, s2, v[6:7]
	v_min_i32_e32 v67, s0, v5
	v_add_u32_e32 v5, 0x68, v4
	v_min_i32_e32 v69, s0, v5
	v_add_u32_e32 v5, 0x70, v4
	v_bfe_u32 v17, v0, 3, 7
	v_rcp_iflag_f32_e32 v27, v27
	v_mad_u64_u32 v[22:23], s[12:13], v11, s2, v[6:7]
	v_mad_u64_u32 v[24:25], s[12:13], v12, s2, v[6:7]
	v_min_i32_e32 v71, s0, v5
	v_lshl_add_u32 v5, v4, 2, v17
	v_min_i32_e32 v73, s0, v5
	v_add_u32_e32 v23, 32, v5
	v_add_u32_e32 v25, 64, v5
	;; [unrolled: 1-line block ×3, first 2 shown]
	v_min_i32_e32 v75, s0, v23
	v_min_i32_e32 v77, s0, v25
	;; [unrolled: 1-line block ×3, first 2 shown]
	v_mad_u64_u32 v[18:19], s[12:13], v9, s2, v[6:7]
	v_mad_u64_u32 v[20:21], s[12:13], v10, s2, v[6:7]
	;; [unrolled: 1-line block ×8, first 2 shown]
	v_ashrrev_i32_e32 v7, 31, v73
	v_ashrrev_i32_e32 v23, 31, v75
	;; [unrolled: 1-line block ×4, first 2 shown]
	v_mul_f32_e32 v27, 0x4f7ffffe, v27
	v_lshrrev_b32_e32 v7, 30, v7
	v_lshrrev_b32_e32 v23, 30, v23
	;; [unrolled: 1-line block ×4, first 2 shown]
	v_cvt_u32_f32_e32 v27, v27
	v_and_b32_e32 v40, 7, v0
	v_add_u32_e32 v7, v73, v7
	v_add_u32_e32 v23, v75, v23
	;; [unrolled: 1-line block ×4, first 2 shown]
	v_and_b32_e32 v7, -4, v7
	v_lshlrev_b32_e32 v19, 2, v40
	s_movk_i32 s1, 0x4200
	v_and_b32_e32 v23, -4, v23
	v_and_b32_e32 v25, -4, v25
	;; [unrolled: 1-line block ×3, first 2 shown]
	v_add3_u32 v7, v7, v19, s1
	v_add3_u32 v23, v23, v19, s1
	;; [unrolled: 1-line block ×4, first 2 shown]
	s_sub_i32 s1, 0, s3
	v_mul_lo_u32 v37, s1, v27
	s_waitcnt vmcnt(0)
	v_sub_u32_e32 v33, 0, v1
	v_mul_hi_u32 v37, v27, v37
	v_max_i32_e32 v33, v1, v33
	v_add_u32_e32 v27, v27, v37
	v_mul_hi_u32 v27, v33, v27
	v_mul_lo_u32 v37, v27, s3
	v_sub_u32_e32 v33, v33, v37
	v_add_u32_e32 v37, 1, v27
	v_cmp_le_u32_e32 vcc, s3, v33
	v_xor_b32_e32 v31, s10, v1
	v_ashrrev_i32_e32 v31, 31, v31
	v_cndmask_b32_e32 v27, v27, v37, vcc
	v_subrev_u32_e32 v37, s3, v33
	v_cndmask_b32_e32 v33, v33, v37, vcc
	v_add_u32_e32 v37, 1, v27
	v_cmp_le_u32_e32 vcc, s3, v33
	v_add_u32_e32 v19, 64, v41
	v_add_u32_e32 v35, 32, v41
	v_cndmask_b32_e32 v27, v27, v37, vcc
	v_xor_b32_e32 v27, v27, v31
	v_sub_u32_e32 v37, v27, v31
	v_lshlrev_b32_e32 v27, 5, v41
	v_and_b32_e32 v19, 0x1fc, v19
	v_add_u32_e32 v29, 0x60, v41
	v_add_u32_e32 v54, v27, v19
	v_and_b32_e32 v19, 0x1fc, v35
	v_and_b32_e32 v29, 0x1fc, v29
	v_add_u32_e32 v55, v27, v19
	v_and_b32_e32 v19, 0xfc, v0
	v_lshlrev_b32_e32 v21, 5, v73
	v_add_u32_e32 v39, v27, v29
	v_add_u32_e32 v56, v27, v19
	v_lshlrev_b32_e32 v27, 5, v75
	v_add_u32_e32 v19, v7, v21
	v_lshlrev_b32_e32 v7, 5, v77
	;; [unrolled: 2-line block ×3, first 2 shown]
	v_add_u32_e32 v23, v25, v7
	v_mov_b32_e32 v7, 0x5280
	v_add_u32_e32 v27, v5, v27
	v_mov_b32_e32 v5, 0x5680
	v_lshl_add_u32 v25, v4, 7, v7
	v_lshl_add_u32 v29, v4, 4, v5
	v_add_u32_e32 v4, 0x78, v4
	v_min_i32_e32 v81, s0, v4
	v_mad_u64_u32 v[42:43], s[0:1], v67, s2, v[6:7]
	v_mad_u64_u32 v[44:45], s[0:1], v69, s2, v[6:7]
	;; [unrolled: 1-line block ×4, first 2 shown]
	v_and_b32_e32 v2, 12, v6
	v_add_u32_e32 v31, v29, v6
	v_and_b32_e32 v4, 28, v6
	v_mov_b32_e32 v5, v3
	v_and_b32_e32 v6, 31, v0
	v_cmp_gt_u32_e32 vcc, 4, v41
	v_cmp_gt_i32_e64 s[0:1], s7, v37
	v_mul_lo_u32 v52, v37, s8
	v_lshl_or_b32 v33, v6, 2, v25
	v_lshrrev_b32_e32 v35, 3, v35
	v_lshl_add_u64 v[50:51], s[14:15], 0, v[4:5]
	s_and_b64 s[12:13], vcc, s[0:1]
	v_ashrrev_i32_e32 v53, 31, v52
	v_add_u32_e32 v37, 0x4e00, v39
	v_add_u32_e32 v39, 0x4e10, v39
	;; [unrolled: 1-line block ×8, first 2 shown]
	v_mov_b32_e32 v4, v3
	v_mov_b32_e32 v6, v3
	;; [unrolled: 1-line block ×3, first 2 shown]
	v_mul_lo_u32 v54, v8, s21
	v_mul_lo_u32 v56, v9, s21
	v_mul_lo_u32 v58, v10, s21
	v_mul_lo_u32 v60, v11, s21
	v_mul_lo_u32 v62, v12, s21
	v_mul_lo_u32 v64, v13, s21
	v_mul_lo_u32 v66, v14, s21
	v_mul_lo_u32 v68, v15, s21
	v_mul_lo_u32 v70, v59, s21
	v_mul_lo_u32 v72, v61, s21
	v_mul_lo_u32 v74, v63, s21
	v_mul_lo_u32 v76, v65, s21
	v_mul_lo_u32 v78, v67, s21
	v_mul_lo_u32 v80, v69, s21
	v_mul_lo_u32 v82, v71, s21
	v_mul_lo_u32 v84, v81, s21
	v_mul_lo_u32 v86, v73, s21
	v_mul_lo_u32 v88, v75, s21
	v_mul_lo_u32 v90, v77, s21
	v_mul_lo_u32 v92, v79, s21
	v_mul_u32_u24_e32 v59, 0x84, v41
	v_mad_u32_u24 v61, v41, s2, 64
	v_bfe_u32 v94, v0, 2, 8
	s_branch .LBB180_5
.LBB180_4:                              ;   in Loop: Header=BB180_5 Depth=1
	s_add_i32 s20, s20, 8
	s_cmp_ge_i32 s20, s21
	s_cbranch_scc1 .LBB180_22
.LBB180_5:                              ; =>This Loop Header: Depth=1
                                        ;     Child Loop BB180_11 Depth 2
                                        ;     Child Loop BB180_19 Depth 2
	s_mul_i32 s2, s20, 20
	s_mul_hi_u32 s3, s20, 20
	s_add_u32 s2, s4, s2
	s_addc_u32 s3, s22, s3
	v_mad_u64_u32 v[8:9], s[18:19], v94, 20, s[2:3]
	v_mad_i64_i32 v[10:11], s[18:19], v54, 20, v[8:9]
	v_mad_i64_i32 v[12:13], s[18:19], v56, 20, v[8:9]
	;; [unrolled: 1-line block ×7, first 2 shown]
	v_lshl_add_u64 v[10:11], v[10:11], 0, v[2:3]
	v_lshl_add_u64 v[12:13], v[12:13], 0, v[2:3]
	;; [unrolled: 1-line block ×7, first 2 shown]
	v_mad_i64_i32 v[104:105], s[18:19], v68, 20, v[8:9]
	v_lshl_add_u64 v[104:105], v[104:105], 0, v[2:3]
	global_load_dword v63, v[10:11], off offset:4
	global_load_dword v65, v[12:13], off offset:4
	;; [unrolled: 1-line block ×8, first 2 shown]
	v_mad_i64_i32 v[10:11], s[18:19], v70, 20, v[8:9]
	v_mad_i64_i32 v[12:13], s[18:19], v72, 20, v[8:9]
	;; [unrolled: 1-line block ×8, first 2 shown]
	v_lshl_add_u64 v[10:11], v[10:11], 0, v[2:3]
	v_lshl_add_u64 v[8:9], v[8:9], 0, v[2:3]
	;; [unrolled: 1-line block ×8, first 2 shown]
	global_load_dword v79, v[10:11], off offset:4
	global_load_dword v81, v[12:13], off offset:4
	;; [unrolled: 1-line block ×8, first 2 shown]
	v_mad_u64_u32 v[8:9], s[2:3], v40, 20, s[2:3]
	v_mad_i64_i32 v[10:11], s[2:3], v86, 20, v[8:9]
	v_mad_i64_i32 v[12:13], s[2:3], v88, 20, v[8:9]
	;; [unrolled: 1-line block ×4, first 2 shown]
	global_load_dword v95, v[10:11], off
	global_load_dword v96, v[12:13], off
	;; [unrolled: 1-line block ×3, first 2 shown]
	s_lshl_b32 s6, s20, 5
	global_load_dword v8, v[8:9], off
	s_cmp_lt_i32 s6, s5
	s_waitcnt vmcnt(19)
	ds_write_b32 v16, v63
	s_waitcnt vmcnt(18)
	ds_write_b32 v18, v65
	;; [unrolled: 2-line block ×20, first 2 shown]
	s_cbranch_scc0 .LBB180_4
; %bb.6:                                ;   in Loop: Header=BB180_5 Depth=1
	v_add_u32_e32 v8, s20, v17
	v_cmp_gt_i32_e64 s[2:3], s8, v8
	s_and_b64 s[18:19], s[0:1], s[2:3]
	s_and_saveexec_b64 s[2:3], s[18:19]
	s_cbranch_execz .LBB180_8
; %bb.7:                                ;   in Loop: Header=BB180_5 Depth=1
	v_add_u32_e32 v8, v52, v8
	v_mad_i64_i32 v[8:9], s[18:19], v8, 36, v[50:51]
	global_load_dword v8, v[8:9], off offset:4
	s_waitcnt vmcnt(0)
	ds_write_b32 v33, v8
.LBB180_8:                              ;   in Loop: Header=BB180_5 Depth=1
	s_or_b64 exec, exec, s[2:3]
	v_add_u32_e32 v96, s20, v41
	v_cmp_gt_i32_e64 s[2:3], s8, v96
	s_and_b64 s[18:19], s[12:13], s[2:3]
	s_and_saveexec_b64 s[2:3], s[18:19]
	s_cbranch_execz .LBB180_10
; %bb.9:                                ;   in Loop: Header=BB180_5 Depth=1
	v_add_u32_e32 v8, v52, v96
	v_mad_i64_i32 v[8:9], s[18:19], v8, 36, s[14:15]
	global_load_dword v8, v[8:9], off
	s_waitcnt vmcnt(0)
	ds_write_b32 v31, v8
.LBB180_10:                             ;   in Loop: Header=BB180_5 Depth=1
	s_or_b64 exec, exec, s[2:3]
	s_mov_b32 s2, -4
	v_mov_b32_e32 v63, v25
	v_mov_b32_e32 v65, v29
	;; [unrolled: 1-line block ×7, first 2 shown]
	s_waitcnt lgkmcnt(0)
	s_barrier
.LBB180_11:                             ;   Parent Loop BB180_5 Depth=1
                                        ; =>  This Inner Loop Header: Depth=2
	ds_read_b128 v[8:11], v63
	ds_read_b128 v[12:15], v63 offset:16
	ds_read_b32 v77, v65
	ds_read_b32 v79, v67
	ds_read2_b32 v[98:99], v75 offset1:1
	v_mov_b32_e32 v85, 0
	v_mov_b32_e32 v89, 0
	;; [unrolled: 1-line block ×3, first 2 shown]
	s_waitcnt lgkmcnt(1)
	v_pk_mul_f16 v79, v77, v79
	s_waitcnt lgkmcnt(0)
	v_and_b32_e32 v81, 0xf0f0f0f, v98
	v_lshrrev_b32_e32 v83, 4, v98
	v_and_b32_e32 v83, 0xf0f0f0f, v83
	v_dot4c_i32_i8_e32 v85, v81, v8
	v_dot4c_i32_i8_e32 v85, v83, v12
	v_and_b32_e32 v81, 0xf0f0f0f, v99
	v_lshrrev_b32_e32 v83, 4, v99
	ds_read2_b32 v[98:99], v75 offset0:2 offset1:3
	v_and_b32_e32 v83, 0xf0f0f0f, v83
	v_dot4c_i32_i8_e32 v85, v81, v9
	v_dot4c_i32_i8_e32 v85, v83, v13
	v_cvt_f32_f16_sdwa v100, v79 dst_sel:DWORD dst_unused:UNUSED_PAD src0_sel:WORD_1
	s_waitcnt lgkmcnt(0)
	v_and_b32_e32 v81, 0xf0f0f0f, v98
	v_lshrrev_b32_e32 v83, 4, v98
	v_and_b32_e32 v83, 0xf0f0f0f, v83
	v_dot4c_i32_i8_e32 v85, v81, v10
	v_dot4c_i32_i8_e32 v85, v83, v14
	v_and_b32_e32 v81, 0xf0f0f0f, v99
	v_lshrrev_b32_e32 v83, 4, v99
	v_and_b32_e32 v83, 0xf0f0f0f, v83
	v_dot4c_i32_i8_e32 v85, v81, v11
	v_dot4c_i32_i8_e32 v85, v83, v15
	v_add_u32_e32 v81, 0x1080, v75
	ds_read_b32 v83, v69
	ds_read2_b32 v[98:99], v81 offset1:1
	s_add_i32 s2, s2, 4
	v_add_u32_e32 v69, 4, v69
	v_add_u32_e32 v67, 4, v67
	;; [unrolled: 1-line block ×3, first 2 shown]
	s_waitcnt lgkmcnt(0)
	v_and_b32_e32 v81, 0xf0f0f0f, v98
	v_lshrrev_b32_e32 v87, 4, v98
	v_and_b32_e32 v87, 0xf0f0f0f, v87
	v_dot4c_i32_i8_e32 v89, v81, v8
	v_dot4c_i32_i8_e32 v89, v87, v12
	v_and_b32_e32 v81, 0xf0f0f0f, v99
	v_dot4c_i32_i8_e32 v89, v81, v9
	v_add_u32_e32 v81, 0x1088, v75
	v_lshrrev_b32_e32 v87, 4, v99
	ds_read2_b32 v[98:99], v81 offset1:1
	v_and_b32_e32 v87, 0xf0f0f0f, v87
	v_dot4c_i32_i8_e32 v89, v87, v13
	v_add_u32_e32 v63, 32, v63
	s_cmp_lt_u32 s2, 12
	s_waitcnt lgkmcnt(0)
	v_and_b32_e32 v81, 0xf0f0f0f, v98
	v_lshrrev_b32_e32 v87, 4, v98
	v_and_b32_e32 v87, 0xf0f0f0f, v87
	v_dot4c_i32_i8_e32 v89, v81, v10
	v_dot4c_i32_i8_e32 v89, v87, v14
	v_and_b32_e32 v81, 0xf0f0f0f, v99
	v_dot4c_i32_i8_e32 v89, v81, v11
	v_pk_mul_f16 v81, v77, v83
	v_lshrrev_b32_e32 v87, 4, v99
	v_cvt_f32_f16_e32 v99, v81
	v_cvt_f32_f16_e32 v98, v79
	v_cvt_f32_f16_sdwa v101, v81 dst_sel:DWORD dst_unused:UNUSED_PAD src0_sel:WORD_1
	v_add_u32_e32 v79, 0x2100, v75
	ds_read_b32 v81, v71
	ds_read2_b32 v[102:103], v79 offset1:1
	v_and_b32_e32 v87, 0xf0f0f0f, v87
	v_dot4c_i32_i8_e32 v89, v87, v15
	v_mov_b32_e32 v87, 0
	v_add_u32_e32 v71, 4, v71
	s_waitcnt lgkmcnt(0)
	v_and_b32_e32 v79, 0xf0f0f0f, v102
	v_lshrrev_b32_e32 v83, 4, v102
	v_and_b32_e32 v83, 0xf0f0f0f, v83
	v_dot4c_i32_i8_e32 v87, v79, v8
	v_dot4c_i32_i8_e32 v87, v83, v12
	v_and_b32_e32 v79, 0xf0f0f0f, v103
	v_dot4c_i32_i8_e32 v87, v79, v9
	v_add_u32_e32 v79, 0x2108, v75
	v_lshrrev_b32_e32 v83, 4, v103
	ds_read2_b32 v[102:103], v79 offset1:1
	v_and_b32_e32 v83, 0xf0f0f0f, v83
	v_dot4c_i32_i8_e32 v87, v83, v13
	s_waitcnt lgkmcnt(0)
	v_and_b32_e32 v79, 0xf0f0f0f, v102
	v_lshrrev_b32_e32 v83, 4, v102
	v_and_b32_e32 v83, 0xf0f0f0f, v83
	v_dot4c_i32_i8_e32 v87, v79, v10
	v_dot4c_i32_i8_e32 v87, v83, v14
	v_and_b32_e32 v79, 0xf0f0f0f, v103
	v_lshrrev_b32_e32 v83, 4, v103
	v_and_b32_e32 v83, 0xf0f0f0f, v83
	v_dot4c_i32_i8_e32 v87, v79, v11
	v_dot4c_i32_i8_e32 v87, v83, v15
	v_pk_mul_f16 v79, v77, v81
	v_add_u32_e32 v81, 0x3180, v75
	ds_read_b32 v83, v73
	ds_read2_b32 v[102:103], v81 offset1:1
	v_add_u32_e32 v73, 4, v73
	s_waitcnt lgkmcnt(0)
	v_and_b32_e32 v81, 0xf0f0f0f, v102
	v_lshrrev_b32_e32 v91, 4, v102
	v_and_b32_e32 v91, 0xf0f0f0f, v91
	v_dot4c_i32_i8_e32 v93, v81, v8
	v_dot4c_i32_i8_e32 v93, v91, v12
	v_and_b32_e32 v8, 0xf0f0f0f, v103
	v_dot4c_i32_i8_e32 v93, v8, v9
	v_add_u32_e32 v8, 0x3188, v75
	ds_read2_b32 v[8:9], v8 offset1:1
	v_lshrrev_b32_e32 v12, 4, v103
	v_and_b32_e32 v12, 0xf0f0f0f, v12
	v_dot4c_i32_i8_e32 v93, v12, v13
	v_add_u32_e32 v75, 16, v75
	s_waitcnt lgkmcnt(0)
	v_and_b32_e32 v12, 0xf0f0f0f, v8
	v_lshrrev_b32_e32 v8, 4, v8
	v_and_b32_e32 v8, 0xf0f0f0f, v8
	v_dot4c_i32_i8_e32 v93, v12, v10
	v_dot4c_i32_i8_e32 v93, v8, v14
	v_and_b32_e32 v8, 0xf0f0f0f, v9
	v_lshrrev_b32_e32 v9, 4, v9
	v_and_b32_e32 v9, 0xf0f0f0f, v9
	v_dot4c_i32_i8_e32 v93, v8, v11
	v_dot4c_i32_i8_e32 v93, v9, v15
	v_pk_mul_f16 v10, v77, v83
	v_cvt_f32_f16_e32 v8, v79
	v_cvt_f32_f16_e32 v9, v10
	v_cvt_f32_f16_sdwa v11, v10 dst_sel:DWORD dst_unused:UNUSED_PAD src0_sel:WORD_1
	v_cvt_f32_f16_sdwa v10, v79 dst_sel:DWORD dst_unused:UNUSED_PAD src0_sel:WORD_1
	v_cvt_f32_i32_e32 v13, v93
	v_cvt_f32_i32_e32 v12, v87
	;; [unrolled: 1-line block ×4, first 2 shown]
	v_pk_fma_f32 v[8:9], v[8:9], v[12:13], v[10:11]
	s_nop 0
	v_pk_add_f32 v[6:7], v[6:7], v[8:9]
	v_pk_fma_f32 v[14:15], v[98:99], v[14:15], v[100:101]
	s_nop 0
	v_pk_add_f32 v[4:5], v[4:5], v[14:15]
	s_cbranch_scc1 .LBB180_11
; %bb.12:                               ;   in Loop: Header=BB180_5 Depth=1
	s_bitset1_b32 s6, 7
	s_cmp_ge_i32 s6, s5
	s_barrier
	s_cbranch_scc1 .LBB180_4
; %bb.13:                               ;   in Loop: Header=BB180_5 Depth=1
	v_add_u32_e32 v8, s20, v35
	v_cmp_gt_i32_e64 s[2:3], s8, v8
	s_and_b64 s[18:19], s[0:1], s[2:3]
	s_and_saveexec_b64 s[2:3], s[18:19]
	s_cbranch_execz .LBB180_15
; %bb.14:                               ;   in Loop: Header=BB180_5 Depth=1
	v_add_u32_e32 v8, v52, v8
	v_mad_i64_i32 v[8:9], s[18:19], v8, 36, v[50:51]
	global_load_dword v8, v[8:9], off offset:4
	s_waitcnt vmcnt(0)
	ds_write_b32 v33, v8
.LBB180_15:                             ;   in Loop: Header=BB180_5 Depth=1
	s_or_b64 exec, exec, s[2:3]
	s_and_saveexec_b64 s[18:19], vcc
	s_cbranch_execz .LBB180_18
; %bb.16:                               ;   in Loop: Header=BB180_5 Depth=1
	v_or_b32_e32 v8, 4, v96
	v_cmp_gt_i32_e64 s[2:3], s8, v8
	s_and_b64 s[2:3], s[0:1], s[2:3]
	s_and_b64 exec, exec, s[2:3]
	s_cbranch_execz .LBB180_18
; %bb.17:                               ;   in Loop: Header=BB180_5 Depth=1
	v_ashrrev_i32_e32 v97, 31, v96
	v_lshl_add_u64 v[8:9], v[52:53], 0, v[96:97]
	v_mad_u64_u32 v[10:11], s[2:3], v8, 36, s[14:15]
	v_mad_i32_i24 v11, v9, 36, v11
	global_load_dword v8, v[10:11], off offset:144
	s_waitcnt vmcnt(0)
	ds_write_b32 v31, v8
.LBB180_18:                             ;   in Loop: Header=BB180_5 Depth=1
	s_or_b64 exec, exec, s[18:19]
	s_mov_b32 s2, 12
	v_mov_b32_e32 v8, v29
	v_mov_b32_e32 v9, v25
	;; [unrolled: 1-line block ×7, first 2 shown]
	s_waitcnt lgkmcnt(0)
	s_barrier
.LBB180_19:                             ;   Parent Loop BB180_5 Depth=1
                                        ; =>  This Inner Loop Header: Depth=2
	ds_read_b128 v[96:99], v9
	ds_read_b128 v[100:103], v9 offset:16
	ds_read_b32 v15, v8
	ds_read_b32 v63, v10
	ds_read2_b32 v[104:105], v14 offset1:1
	v_mov_b32_e32 v69, 0
	v_mov_b32_e32 v73, 0
	;; [unrolled: 1-line block ×3, first 2 shown]
	s_waitcnt lgkmcnt(1)
	v_pk_mul_f16 v63, v15, v63
	s_waitcnt lgkmcnt(0)
	v_and_b32_e32 v65, 0xf0f0f0f, v104
	v_lshrrev_b32_e32 v67, 4, v104
	v_and_b32_e32 v67, 0xf0f0f0f, v67
	v_dot4c_i32_i8_e32 v69, v65, v96
	v_dot4c_i32_i8_e32 v69, v67, v100
	v_and_b32_e32 v65, 0xf0f0f0f, v105
	v_lshrrev_b32_e32 v67, 4, v105
	ds_read2_b32 v[104:105], v14 offset0:2 offset1:3
	v_and_b32_e32 v67, 0xf0f0f0f, v67
	v_dot4c_i32_i8_e32 v69, v65, v97
	v_dot4c_i32_i8_e32 v69, v67, v101
	v_cvt_f32_f16_sdwa v106, v63 dst_sel:DWORD dst_unused:UNUSED_PAD src0_sel:WORD_1
	s_waitcnt lgkmcnt(0)
	v_and_b32_e32 v65, 0xf0f0f0f, v104
	v_lshrrev_b32_e32 v67, 4, v104
	v_and_b32_e32 v67, 0xf0f0f0f, v67
	v_dot4c_i32_i8_e32 v69, v65, v98
	v_dot4c_i32_i8_e32 v69, v67, v102
	v_and_b32_e32 v65, 0xf0f0f0f, v105
	v_lshrrev_b32_e32 v67, 4, v105
	v_and_b32_e32 v67, 0xf0f0f0f, v67
	v_dot4c_i32_i8_e32 v69, v65, v99
	v_dot4c_i32_i8_e32 v69, v67, v103
	v_add_u32_e32 v65, 0x1080, v14
	ds_read_b32 v67, v11
	ds_read2_b32 v[104:105], v65 offset1:1
	s_add_i32 s2, s2, 4
	v_add_u32_e32 v11, 4, v11
	v_add_u32_e32 v10, 4, v10
	;; [unrolled: 1-line block ×3, first 2 shown]
	s_waitcnt lgkmcnt(0)
	v_and_b32_e32 v65, 0xf0f0f0f, v104
	v_lshrrev_b32_e32 v71, 4, v104
	v_and_b32_e32 v71, 0xf0f0f0f, v71
	v_dot4c_i32_i8_e32 v73, v65, v96
	v_dot4c_i32_i8_e32 v73, v71, v100
	v_and_b32_e32 v65, 0xf0f0f0f, v105
	v_dot4c_i32_i8_e32 v73, v65, v97
	v_add_u32_e32 v65, 0x1088, v14
	v_lshrrev_b32_e32 v71, 4, v105
	ds_read2_b32 v[104:105], v65 offset1:1
	v_and_b32_e32 v71, 0xf0f0f0f, v71
	v_dot4c_i32_i8_e32 v73, v71, v101
	v_add_u32_e32 v8, 4, v8
	s_cmp_lt_u32 s2, 28
	s_waitcnt lgkmcnt(0)
	v_and_b32_e32 v65, 0xf0f0f0f, v104
	v_lshrrev_b32_e32 v71, 4, v104
	v_and_b32_e32 v71, 0xf0f0f0f, v71
	v_dot4c_i32_i8_e32 v73, v65, v98
	v_dot4c_i32_i8_e32 v73, v71, v102
	v_and_b32_e32 v65, 0xf0f0f0f, v105
	v_dot4c_i32_i8_e32 v73, v65, v99
	v_pk_mul_f16 v65, v15, v67
	v_lshrrev_b32_e32 v71, 4, v105
	v_cvt_f32_f16_e32 v105, v65
	v_cvt_f32_f16_e32 v104, v63
	v_cvt_f32_f16_sdwa v107, v65 dst_sel:DWORD dst_unused:UNUSED_PAD src0_sel:WORD_1
	v_add_u32_e32 v63, 0x2100, v14
	ds_read_b32 v65, v12
	ds_read2_b32 v[108:109], v63 offset1:1
	v_and_b32_e32 v71, 0xf0f0f0f, v71
	v_dot4c_i32_i8_e32 v73, v71, v103
	v_mov_b32_e32 v71, 0
	v_add_u32_e32 v12, 4, v12
	s_waitcnt lgkmcnt(0)
	v_and_b32_e32 v63, 0xf0f0f0f, v108
	v_lshrrev_b32_e32 v67, 4, v108
	v_and_b32_e32 v67, 0xf0f0f0f, v67
	v_dot4c_i32_i8_e32 v71, v63, v96
	v_dot4c_i32_i8_e32 v71, v67, v100
	v_and_b32_e32 v63, 0xf0f0f0f, v109
	v_dot4c_i32_i8_e32 v71, v63, v97
	v_add_u32_e32 v63, 0x2108, v14
	v_lshrrev_b32_e32 v67, 4, v109
	ds_read2_b32 v[108:109], v63 offset1:1
	v_and_b32_e32 v67, 0xf0f0f0f, v67
	v_dot4c_i32_i8_e32 v71, v67, v101
	s_waitcnt lgkmcnt(0)
	v_and_b32_e32 v63, 0xf0f0f0f, v108
	v_lshrrev_b32_e32 v67, 4, v108
	v_and_b32_e32 v67, 0xf0f0f0f, v67
	v_dot4c_i32_i8_e32 v71, v63, v98
	v_dot4c_i32_i8_e32 v71, v67, v102
	v_and_b32_e32 v63, 0xf0f0f0f, v109
	v_lshrrev_b32_e32 v67, 4, v109
	v_and_b32_e32 v67, 0xf0f0f0f, v67
	v_dot4c_i32_i8_e32 v71, v63, v99
	v_dot4c_i32_i8_e32 v71, v67, v103
	v_pk_mul_f16 v63, v15, v65
	v_add_u32_e32 v65, 0x3180, v14
	ds_read_b32 v67, v13
	ds_read2_b32 v[108:109], v65 offset1:1
	v_add_u32_e32 v13, 4, v13
	s_waitcnt lgkmcnt(1)
	v_pk_mul_f16 v15, v15, v67
	s_waitcnt lgkmcnt(0)
	v_and_b32_e32 v65, 0xf0f0f0f, v108
	v_lshrrev_b32_e32 v75, 4, v108
	v_and_b32_e32 v75, 0xf0f0f0f, v75
	v_dot4c_i32_i8_e32 v77, v65, v96
	v_dot4c_i32_i8_e32 v77, v75, v100
	v_and_b32_e32 v65, 0xf0f0f0f, v109
	v_dot4c_i32_i8_e32 v77, v65, v97
	v_add_u32_e32 v65, 0x3188, v14
	ds_read2_b32 v[96:97], v65 offset1:1
	v_lshrrev_b32_e32 v75, 4, v109
	v_and_b32_e32 v75, 0xf0f0f0f, v75
	v_dot4c_i32_i8_e32 v77, v75, v101
	v_cvt_f32_i32_e32 v100, v71
	s_waitcnt lgkmcnt(0)
	v_and_b32_e32 v65, 0xf0f0f0f, v96
	v_lshrrev_b32_e32 v75, 4, v96
	v_and_b32_e32 v75, 0xf0f0f0f, v75
	v_dot4c_i32_i8_e32 v77, v65, v98
	v_dot4c_i32_i8_e32 v77, v75, v102
	v_and_b32_e32 v65, 0xf0f0f0f, v97
	v_lshrrev_b32_e32 v75, 4, v97
	v_and_b32_e32 v75, 0xf0f0f0f, v75
	v_dot4c_i32_i8_e32 v77, v65, v99
	v_dot4c_i32_i8_e32 v77, v75, v103
	v_cvt_f32_f16_e32 v97, v15
	v_cvt_f32_f16_e32 v96, v63
	v_cvt_f32_f16_sdwa v99, v15 dst_sel:DWORD dst_unused:UNUSED_PAD src0_sel:WORD_1
	v_cvt_f32_f16_sdwa v98, v63 dst_sel:DWORD dst_unused:UNUSED_PAD src0_sel:WORD_1
	v_cvt_f32_i32_e32 v101, v77
	v_cvt_f32_i32_e32 v102, v69
	;; [unrolled: 1-line block ×3, first 2 shown]
	v_add_u32_e32 v14, 16, v14
	v_pk_fma_f32 v[96:97], v[96:97], v[100:101], v[98:99]
	v_pk_fma_f32 v[102:103], v[104:105], v[102:103], v[106:107]
	v_pk_add_f32 v[6:7], v[6:7], v[96:97]
	v_pk_add_f32 v[4:5], v[4:5], v[102:103]
	s_cbranch_scc1 .LBB180_19
; %bb.20:                               ;   in Loop: Header=BB180_5 Depth=1
	s_barrier
	s_branch .LBB180_4
.LBB180_21:
	v_mov_b32_e32 v4, v3
	v_mov_b32_e32 v5, v3
	;; [unrolled: 1-line block ×3, first 2 shown]
	v_mov_b64_e32 v[6:7], v[4:5]
	v_mov_b64_e32 v[4:5], v[2:3]
.LBB180_22:
	s_mul_i32 s0, s10, s7
	s_waitcnt vmcnt(0)
	v_cmp_gt_i32_e32 vcc, s0, v1
	s_and_saveexec_b64 s[0:1], vcc
	s_cbranch_execz .LBB180_31
; %bb.23:
	v_and_b32_e32 v0, 0x3ff, v0
	v_add_u32_e32 v2, s11, v0
	v_mul_lo_u32 v0, v1, s9
	v_cmp_gt_u32_e32 vcc, s9, v2
	s_and_saveexec_b64 s[0:1], vcc
	s_cbranch_execz .LBB180_25
; %bb.24:
	v_add_u32_e32 v8, v0, v2
	v_mov_b32_e32 v9, 0
	v_lshl_add_u64 v[8:9], v[8:9], 2, s[16:17]
	global_store_dword v[8:9], v4, off
.LBB180_25:
	s_or_b64 exec, exec, s[0:1]
	v_add_u32_e32 v1, 32, v2
	v_cmp_gt_u32_e32 vcc, s9, v1
	s_and_saveexec_b64 s[0:1], vcc
	s_cbranch_execz .LBB180_27
; %bb.26:
	v_add_u32_e32 v8, v0, v1
	v_mov_b32_e32 v9, 0
	v_lshl_add_u64 v[8:9], v[8:9], 2, s[16:17]
	global_store_dword v[8:9], v5, off
.LBB180_27:
	s_or_b64 exec, exec, s[0:1]
	v_add_u32_e32 v1, 64, v2
	;; [unrolled: 11-line block ×3, first 2 shown]
	v_cmp_gt_u32_e32 vcc, s9, v1
	s_and_b64 exec, exec, vcc
	s_cbranch_execz .LBB180_31
; %bb.30:
	v_add_u32_e32 v0, v0, v1
	v_mov_b32_e32 v1, 0
	v_lshl_add_u64 v[0:1], v[0:1], 2, s[16:17]
	global_store_dword v[0:1], v7, off
.LBB180_31:
	s_endpgm
	.section	.rodata,"a",@progbits
	.p2align	6, 0x0
	.amdhsa_kernel _ZL8moe_q4_1IfLb1EEvPKvS1_PT_PKiS5_S5_iiiiiii
		.amdhsa_group_segment_fixed_size 22272
		.amdhsa_private_segment_fixed_size 0
		.amdhsa_kernarg_size 76
		.amdhsa_user_sgpr_count 2
		.amdhsa_user_sgpr_dispatch_ptr 0
		.amdhsa_user_sgpr_queue_ptr 0
		.amdhsa_user_sgpr_kernarg_segment_ptr 1
		.amdhsa_user_sgpr_dispatch_id 0
		.amdhsa_user_sgpr_kernarg_preload_length 0
		.amdhsa_user_sgpr_kernarg_preload_offset 0
		.amdhsa_user_sgpr_private_segment_size 0
		.amdhsa_uses_dynamic_stack 0
		.amdhsa_enable_private_segment 0
		.amdhsa_system_sgpr_workgroup_id_x 1
		.amdhsa_system_sgpr_workgroup_id_y 1
		.amdhsa_system_sgpr_workgroup_id_z 0
		.amdhsa_system_sgpr_workgroup_info 0
		.amdhsa_system_vgpr_workitem_id 1
		.amdhsa_next_free_vgpr 110
		.amdhsa_next_free_sgpr 75
		.amdhsa_accum_offset 112
		.amdhsa_reserve_vcc 1
		.amdhsa_float_round_mode_32 0
		.amdhsa_float_round_mode_16_64 0
		.amdhsa_float_denorm_mode_32 3
		.amdhsa_float_denorm_mode_16_64 3
		.amdhsa_dx10_clamp 1
		.amdhsa_ieee_mode 1
		.amdhsa_fp16_overflow 0
		.amdhsa_tg_split 0
		.amdhsa_exception_fp_ieee_invalid_op 0
		.amdhsa_exception_fp_denorm_src 0
		.amdhsa_exception_fp_ieee_div_zero 0
		.amdhsa_exception_fp_ieee_overflow 0
		.amdhsa_exception_fp_ieee_underflow 0
		.amdhsa_exception_fp_ieee_inexact 0
		.amdhsa_exception_int_div_zero 0
	.end_amdhsa_kernel
	.section	.text._ZL8moe_q4_1IfLb1EEvPKvS1_PT_PKiS5_S5_iiiiiii,"axG",@progbits,_ZL8moe_q4_1IfLb1EEvPKvS1_PT_PKiS5_S5_iiiiiii,comdat
.Lfunc_end180:
	.size	_ZL8moe_q4_1IfLb1EEvPKvS1_PT_PKiS5_S5_iiiiiii, .Lfunc_end180-_ZL8moe_q4_1IfLb1EEvPKvS1_PT_PKiS5_S5_iiiiiii
                                        ; -- End function
	.set _ZL8moe_q4_1IfLb1EEvPKvS1_PT_PKiS5_S5_iiiiiii.num_vgpr, 110
	.set _ZL8moe_q4_1IfLb1EEvPKvS1_PT_PKiS5_S5_iiiiiii.num_agpr, 0
	.set _ZL8moe_q4_1IfLb1EEvPKvS1_PT_PKiS5_S5_iiiiiii.numbered_sgpr, 23
	.set _ZL8moe_q4_1IfLb1EEvPKvS1_PT_PKiS5_S5_iiiiiii.num_named_barrier, 0
	.set _ZL8moe_q4_1IfLb1EEvPKvS1_PT_PKiS5_S5_iiiiiii.private_seg_size, 0
	.set _ZL8moe_q4_1IfLb1EEvPKvS1_PT_PKiS5_S5_iiiiiii.uses_vcc, 1
	.set _ZL8moe_q4_1IfLb1EEvPKvS1_PT_PKiS5_S5_iiiiiii.uses_flat_scratch, 0
	.set _ZL8moe_q4_1IfLb1EEvPKvS1_PT_PKiS5_S5_iiiiiii.has_dyn_sized_stack, 0
	.set _ZL8moe_q4_1IfLb1EEvPKvS1_PT_PKiS5_S5_iiiiiii.has_recursion, 0
	.set _ZL8moe_q4_1IfLb1EEvPKvS1_PT_PKiS5_S5_iiiiiii.has_indirect_call, 0
	.section	.AMDGPU.csdata,"",@progbits
; Kernel info:
; codeLenInByte = 4328
; TotalNumSgprs: 29
; NumVgprs: 110
; NumAgprs: 0
; TotalNumVgprs: 110
; ScratchSize: 0
; MemoryBound: 0
; FloatMode: 240
; IeeeMode: 1
; LDSByteSize: 22272 bytes/workgroup (compile time only)
; SGPRBlocks: 10
; VGPRBlocks: 13
; NumSGPRsForWavesPerEU: 81
; NumVGPRsForWavesPerEU: 110
; AccumOffset: 112
; Occupancy: 4
; WaveLimiterHint : 1
; COMPUTE_PGM_RSRC2:SCRATCH_EN: 0
; COMPUTE_PGM_RSRC2:USER_SGPR: 2
; COMPUTE_PGM_RSRC2:TRAP_HANDLER: 0
; COMPUTE_PGM_RSRC2:TGID_X_EN: 1
; COMPUTE_PGM_RSRC2:TGID_Y_EN: 1
; COMPUTE_PGM_RSRC2:TGID_Z_EN: 0
; COMPUTE_PGM_RSRC2:TIDIG_COMP_CNT: 1
; COMPUTE_PGM_RSRC3_GFX90A:ACCUM_OFFSET: 27
; COMPUTE_PGM_RSRC3_GFX90A:TG_SPLIT: 0
	.section	.text._ZL8moe_q5_0IfLb0EEvPKvS1_PT_PKiS5_S5_iiiiiii,"axG",@progbits,_ZL8moe_q5_0IfLb0EEvPKvS1_PT_PKiS5_S5_iiiiiii,comdat
	.globl	_ZL8moe_q5_0IfLb0EEvPKvS1_PT_PKiS5_S5_iiiiiii ; -- Begin function _ZL8moe_q5_0IfLb0EEvPKvS1_PT_PKiS5_S5_iiiiiii
	.p2align	8
	.type	_ZL8moe_q5_0IfLb0EEvPKvS1_PT_PKiS5_S5_iiiiiii,@function
_ZL8moe_q5_0IfLb0EEvPKvS1_PT_PKiS5_S5_iiiiiii: ; @_ZL8moe_q5_0IfLb0EEvPKvS1_PT_PKiS5_S5_iiiiiii
; %bb.0:
	s_load_dwordx4 s[4:7], s[0:1], 0x18
	s_mov_b32 s8, s3
	s_mov_b32 s9, 0
	s_lshl_b64 s[10:11], s[8:9], 2
	s_waitcnt lgkmcnt(0)
	s_add_u32 s6, s6, s10
	s_addc_u32 s7, s7, s11
	s_load_dword s3, s[6:7], 0x0
	s_waitcnt lgkmcnt(0)
	s_cmpk_gt_u32 s3, 0xff
	s_cbranch_scc1 .LBB181_26
; %bb.1:
	s_load_dwordx2 s[6:7], s[0:1], 0x28
	s_waitcnt lgkmcnt(0)
	s_load_dword s7, s[6:7], 0x0
	s_lshl_b32 s6, s8, 3
	s_waitcnt lgkmcnt(0)
	s_cmp_gt_u32 s6, s7
	s_cbranch_scc1 .LBB181_26
; %bb.2:
	v_bfe_u32 v2, v0, 10, 10
	v_mov_b32_e32 v4, s4
	v_mov_b32_e32 v5, s5
	v_add_u32_e32 v86, s6, v2
	v_mov_b32_e32 v87, 0
	v_lshl_add_u64 v[4:5], v[86:87], 2, v[4:5]
	global_load_dword v1, v[4:5], off
	s_load_dwordx2 s[14:15], s[0:1], 0x30
	s_load_dwordx2 s[12:13], s[0:1], 0x10
	s_load_dwordx4 s[4:7], s[0:1], 0x3c
	s_lshl_b32 s24, s2, 7
	v_mov_b32_e32 v86, v87
	s_waitcnt lgkmcnt(0)
	s_cmp_lt_i32 s15, 32
	v_mov_b32_e32 v105, v87
	v_mov_b32_e32 v104, v87
	s_cbranch_scc1 .LBB181_17
; %bb.3:
	s_load_dwordx4 s[8:11], s[0:1], 0x0
	s_ashr_i32 s0, s15, 31
	s_ashr_i32 s1, s5, 31
	s_lshr_b32 s0, s0, 27
	s_lshr_b32 s1, s1, 27
	s_add_i32 s0, s15, s0
	s_add_i32 s1, s5, s1
	v_and_b32_e32 v22, 0x3ff, v0
	s_ashr_i32 s25, s0, 5
	s_ashr_i32 s5, s1, 5
	v_lshlrev_b32_e32 v4, 3, v22
	s_movk_i32 s1, 0x104
	v_mul_lo_u32 v9, s25, v2
	v_mad_u32_u24 v112, v2, s1, v4
	s_lshl_b32 s1, s25, 3
	v_add_u32_e32 v10, s1, v9
	v_add_u32_e32 v11, s1, v10
	;; [unrolled: 1-line block ×13, first 2 shown]
	v_bfe_u32 v128, v0, 3, 7
	v_add_u32_e32 v86, s1, v82
	v_and_b32_e32 v102, 7, v0
	v_lshl_add_u32 v4, v2, 2, v128
	v_add_u32_e32 v87, s1, v86
	v_and_b32_e32 v5, 0x1ffc, v4
	v_lshlrev_b32_e32 v6, 2, v102
	s_mov_b32 s1, 0x8200
	v_add3_u32 v104, v5, v6, s1
	v_add_u32_e32 v5, 32, v4
	v_and_b32_e32 v7, 0x3ffc, v5
	v_lshlrev_b32_e32 v107, 5, v5
	v_add_u32_e32 v5, 64, v4
	v_mul_lo_u32 v96, s25, v4
	v_lshlrev_b32_e32 v105, 5, v4
	v_add3_u32 v106, v7, v6, s1
	v_and_b32_e32 v7, 0x3ffc, v5
	v_add_u32_e32 v4, 0x60, v4
	v_add3_u32 v108, v7, v6, s1
	v_lshlrev_b32_e32 v109, 5, v5
	v_and_b32_e32 v5, 0x3ffc, v4
	v_mov_b32_e32 v7, 0x9280
	s_mul_i32 s16, s3, s14
	v_add3_u32 v110, v5, v6, s1
	v_and_b32_e32 v6, 31, v0
	v_lshl_add_u32 v129, v2, 7, v7
	s_abs_i32 s3, s7
	v_lshl_or_b32 v130, v6, 2, v129
	v_mov_b32_e32 v6, 0x9680
	v_cvt_f32_u32_e32 v7, s3
	v_lshlrev_b32_e32 v3, 2, v22
	v_lshl_add_u32 v131, v2, 4, v6
	v_and_b32_e32 v24, 12, v3
	v_lshlrev_b32_e32 v111, 5, v4
	v_and_b32_e32 v4, 28, v3
	v_add_u32_e32 v132, v131, v3
	v_and_b32_e32 v2, 0xfc, v0
	v_lshlrev_b32_e32 v3, 5, v22
	v_add3_u32 v134, v3, v2, s1
	v_add_u32_e32 v2, 32, v22
	v_and_b32_e32 v3, 0x1fc, v2
	v_lshlrev_b32_e32 v6, 5, v2
	v_lshrrev_b32_e32 v138, 3, v2
	v_rcp_iflag_f32_e32 v2, v7
	s_andn2_b32 s0, s0, 31
	v_add_u32_e32 v98, s0, v96
	v_add3_u32 v135, v6, v3, s1
	v_mul_f32_e32 v2, 0x4f7ffffe, v2
	v_cvt_u32_f32_e32 v2, v2
	v_add_u32_e32 v3, 64, v22
	v_add_u32_e32 v100, s0, v98
	v_and_b32_e32 v6, 0x1fc, v3
	v_lshlrev_b32_e32 v3, 5, v3
	v_add_u32_e32 v103, s0, v100
	v_add3_u32 v136, v3, v6, s1
	v_add_u32_e32 v3, 0x60, v22
	s_sub_i32 s0, 0, s3
	v_and_b32_e32 v6, 0x1fc, v3
	v_lshlrev_b32_e32 v3, 5, v3
	v_mul_lo_u32 v7, s0, v2
	v_add3_u32 v137, v3, v6, s1
	s_waitcnt vmcnt(0)
	v_sub_u32_e32 v6, 0, v1
	v_mul_hi_u32 v7, v2, v7
	v_max_i32_e32 v6, v1, v6
	v_add_u32_e32 v2, v2, v7
	v_mul_hi_u32 v2, v6, v2
	v_mul_lo_u32 v7, v2, s3
	v_sub_u32_e32 v6, v6, v7
	v_add_u32_e32 v7, 1, v2
	v_cmp_le_u32_e64 s[0:1], s3, v6
	v_xor_b32_e32 v3, s7, v1
	v_ashrrev_i32_e32 v3, 31, v3
	v_cndmask_b32_e64 v2, v2, v7, s[0:1]
	v_subrev_u32_e32 v7, s3, v6
	v_cndmask_b32_e64 v6, v6, v7, s[0:1]
	v_add_u32_e32 v7, 1, v2
	v_cmp_le_u32_e64 s[0:1], s3, v6
	v_mov_b32_e32 v25, 0
	v_mov_b32_e32 v5, v25
	v_cndmask_b32_e64 v2, v2, v7, s[0:1]
	v_xor_b32_e32 v2, v2, v3
	v_sub_u32_e32 v2, v2, v3
	v_cmp_gt_i32_e64 s[0:1], s4, v2
	v_mul_lo_u32 v2, v2, s5
	v_ashrrev_i32_e32 v3, 31, v2
	v_mov_b32_e32 v23, v25
	s_waitcnt lgkmcnt(0)
	v_lshl_add_u64 v[26:27], s[10:11], 0, v[4:5]
	v_lshl_add_u64 v[4:5], v[2:3], 0, v[22:23]
	v_mad_u64_u32 v[6:7], s[20:21], v4, 36, s[10:11]
	s_mul_i32 s2, s25, s24
	v_mad_i32_i24 v7, v5, 36, v7
	s_mov_b64 s[20:21], 0x90
	v_lshl_add_u64 v[28:29], v[6:7], 0, s[20:21]
	s_mul_hi_i32 s3, s2, 22
	s_mul_i32 s20, s2, 22
	v_bfe_u32 v8, v0, 2, 8
	v_add_u32_e32 v139, v138, v2
	v_add_u32_e32 v140, v128, v2
	;; [unrolled: 1-line block ×3, first 2 shown]
	v_mov_b32_e32 v2, s20
	v_mov_b32_e32 v3, s3
	v_mad_u64_u32 v[2:3], s[20:21], v8, 22, v[2:3]
	v_mad_u64_u32 v[4:5], s[20:21], v9, 22, v[2:3]
	v_lshl_add_u64 v[6:7], v[4:5], 0, v[24:25]
	v_lshl_add_u64 v[6:7], s[8:9], 0, v[6:7]
	v_lshl_add_u64 v[32:33], s[8:9], 0, v[4:5]
	v_mad_u64_u32 v[4:5], s[20:21], v10, 22, v[2:3]
	v_lshl_add_u64 v[30:31], v[6:7], 0, 6
	v_lshl_add_u64 v[6:7], v[4:5], 0, v[24:25]
	v_lshl_add_u64 v[4:5], s[8:9], 0, v[4:5]
	v_lshl_add_u64 v[6:7], s[8:9], 0, v[6:7]
	v_lshl_add_u64 v[36:37], v[4:5], 0, 2
	v_mad_u64_u32 v[4:5], s[20:21], v11, 22, v[2:3]
	v_lshl_add_u64 v[34:35], v[6:7], 0, 6
	v_lshl_add_u64 v[6:7], v[4:5], 0, v[24:25]
	v_lshl_add_u64 v[4:5], s[8:9], 0, v[4:5]
	v_lshl_add_u64 v[6:7], s[8:9], 0, v[6:7]
	v_lshl_add_u64 v[40:41], v[4:5], 0, 2
	v_mad_u64_u32 v[4:5], s[20:21], v12, 22, v[2:3]
	v_lshl_add_u64 v[38:39], v[6:7], 0, 6
	v_lshl_add_u64 v[6:7], v[4:5], 0, v[24:25]
	v_lshl_add_u64 v[4:5], s[8:9], 0, v[4:5]
	v_lshl_add_u64 v[6:7], s[8:9], 0, v[6:7]
	v_lshl_add_u64 v[44:45], v[4:5], 0, 2
	v_mad_u64_u32 v[4:5], s[20:21], v13, 22, v[2:3]
	v_lshl_add_u64 v[42:43], v[6:7], 0, 6
	v_lshl_add_u64 v[6:7], v[4:5], 0, v[24:25]
	v_lshl_add_u64 v[4:5], s[8:9], 0, v[4:5]
	v_lshl_add_u64 v[6:7], s[8:9], 0, v[6:7]
	v_lshl_add_u64 v[48:49], v[4:5], 0, 2
	v_mad_u64_u32 v[4:5], s[20:21], v14, 22, v[2:3]
	v_lshl_add_u64 v[46:47], v[6:7], 0, 6
	v_lshl_add_u64 v[6:7], v[4:5], 0, v[24:25]
	v_lshl_add_u64 v[4:5], s[8:9], 0, v[4:5]
	v_lshl_add_u64 v[6:7], s[8:9], 0, v[6:7]
	v_lshl_add_u64 v[52:53], v[4:5], 0, 2
	v_mad_u64_u32 v[4:5], s[20:21], v15, 22, v[2:3]
	v_lshl_add_u64 v[50:51], v[6:7], 0, 6
	v_lshl_add_u64 v[6:7], v[4:5], 0, v[24:25]
	v_lshl_add_u64 v[4:5], s[8:9], 0, v[4:5]
	v_lshl_add_u64 v[6:7], s[8:9], 0, v[6:7]
	v_lshl_add_u64 v[56:57], v[4:5], 0, 2
	v_mad_u64_u32 v[4:5], s[20:21], v16, 22, v[2:3]
	v_lshl_add_u64 v[54:55], v[6:7], 0, 6
	v_lshl_add_u64 v[6:7], v[4:5], 0, v[24:25]
	v_lshl_add_u64 v[4:5], s[8:9], 0, v[4:5]
	v_lshl_add_u64 v[6:7], s[8:9], 0, v[6:7]
	v_lshl_add_u64 v[60:61], v[4:5], 0, 2
	v_mad_u64_u32 v[4:5], s[20:21], v17, 22, v[2:3]
	v_lshl_add_u64 v[58:59], v[6:7], 0, 6
	v_lshl_add_u64 v[6:7], v[4:5], 0, v[24:25]
	v_lshl_add_u64 v[4:5], s[8:9], 0, v[4:5]
	v_lshl_add_u64 v[6:7], s[8:9], 0, v[6:7]
	v_lshl_add_u64 v[64:65], v[4:5], 0, 2
	v_mad_u64_u32 v[4:5], s[20:21], v18, 22, v[2:3]
	v_lshl_add_u64 v[62:63], v[6:7], 0, 6
	v_lshl_add_u64 v[6:7], v[4:5], 0, v[24:25]
	v_lshl_add_u64 v[4:5], s[8:9], 0, v[4:5]
	v_lshl_add_u64 v[6:7], s[8:9], 0, v[6:7]
	v_lshl_add_u64 v[68:69], v[4:5], 0, 2
	v_mad_u64_u32 v[4:5], s[20:21], v19, 22, v[2:3]
	v_lshl_add_u64 v[66:67], v[6:7], 0, 6
	v_lshl_add_u64 v[6:7], v[4:5], 0, v[24:25]
	v_lshl_add_u64 v[4:5], s[8:9], 0, v[4:5]
	v_lshl_add_u64 v[6:7], s[8:9], 0, v[6:7]
	v_lshl_add_u64 v[72:73], v[4:5], 0, 2
	v_mad_u64_u32 v[4:5], s[20:21], v20, 22, v[2:3]
	v_lshl_add_u64 v[70:71], v[6:7], 0, 6
	v_lshl_add_u64 v[6:7], v[4:5], 0, v[24:25]
	v_lshl_add_u64 v[4:5], s[8:9], 0, v[4:5]
	v_lshl_add_u64 v[6:7], s[8:9], 0, v[6:7]
	v_lshl_add_u64 v[76:77], v[4:5], 0, 2
	v_mad_u64_u32 v[4:5], s[20:21], v21, 22, v[2:3]
	v_lshl_add_u64 v[74:75], v[6:7], 0, 6
	v_lshl_add_u64 v[6:7], v[4:5], 0, v[24:25]
	v_lshl_add_u64 v[4:5], s[8:9], 0, v[4:5]
	v_lshl_add_u64 v[6:7], s[8:9], 0, v[6:7]
	v_lshl_add_u64 v[80:81], v[4:5], 0, 2
	v_mad_u64_u32 v[4:5], s[20:21], v82, 22, v[2:3]
	v_lshl_add_u64 v[78:79], v[6:7], 0, 6
	v_lshl_add_u64 v[6:7], v[4:5], 0, v[24:25]
	v_lshl_add_u64 v[4:5], s[8:9], 0, v[4:5]
	v_lshl_add_u64 v[6:7], s[8:9], 0, v[6:7]
	v_lshl_add_u64 v[84:85], v[4:5], 0, 2
	v_mad_u64_u32 v[4:5], s[20:21], v86, 22, v[2:3]
	v_lshl_add_u64 v[82:83], v[6:7], 0, 6
	v_lshl_add_u64 v[6:7], v[4:5], 0, v[24:25]
	v_lshl_add_u64 v[4:5], s[8:9], 0, v[4:5]
	v_mad_u64_u32 v[2:3], s[20:21], v87, 22, v[2:3]
	v_lshl_add_u64 v[90:91], v[4:5], 0, 2
	v_lshl_add_u64 v[4:5], v[2:3], 0, v[24:25]
	;; [unrolled: 1-line block ×4, first 2 shown]
	v_mad_u64_u32 v[2:3], s[20:21], v96, 22, 0
	v_mad_i64_i32 v[2:3], s[20:21], s2, 22, v[2:3]
	v_mad_u64_u32 v[2:3], s[20:21], v102, 22, v[2:3]
	v_lshl_add_u64 v[96:97], s[8:9], 0, v[2:3]
	v_mad_u64_u32 v[2:3], s[20:21], v98, 22, 0
	v_mad_i64_i32 v[2:3], s[20:21], s2, 22, v[2:3]
	v_mad_u64_u32 v[2:3], s[20:21], v102, 22, v[2:3]
	v_lshl_add_u64 v[98:99], s[8:9], 0, v[2:3]
	;; [unrolled: 4-line block ×3, first 2 shown]
	v_mad_u64_u32 v[2:3], s[20:21], v103, 22, 0
	v_mad_i64_i32 v[2:3], s[2:3], s2, 22, v[2:3]
	v_cmp_gt_u32_e32 vcc, 4, v22
	v_lshl_add_u64 v[6:7], s[8:9], 0, v[6:7]
	v_lshl_add_u64 v[4:5], s[8:9], 0, v[4:5]
	v_mad_u64_u32 v[2:3], s[2:3], v102, 22, v[2:3]
	s_ashr_i32 s17, s16, 31
	v_add_u32_e32 v113, 0x820, v112
	v_add_u32_e32 v114, 0x1040, v112
	;; [unrolled: 1-line block ×15, first 2 shown]
	v_mul_u32_u24_e32 v133, 0x104, v22
	s_mov_b32 s14, 0
	s_and_b64 s[18:19], vcc, s[0:1]
	v_lshl_add_u64 v[88:89], v[6:7], 0, 6
	v_lshl_add_u64 v[92:93], v[4:5], 0, 6
	;; [unrolled: 1-line block ×3, first 2 shown]
	s_movk_i32 s26, 0x80
	s_movk_i32 s27, 0x1f00
	s_mov_b32 s28, 0xc0c0105
	v_add_u32_e32 v141, v104, v105
	v_add_u32_e32 v142, v106, v107
	;; [unrolled: 1-line block ×4, first 2 shown]
	s_mov_b64 s[8:9], 0x120
	s_mov_b64 s[20:21], 0xb0
	v_mov_b32_e32 v145, 8
	v_mov_b32_e32 v104, v25
	;; [unrolled: 1-line block ×5, first 2 shown]
	s_branch .LBB181_6
.LBB181_4:                              ;   in Loop: Header=BB181_6 Depth=1
	s_or_b64 exec, exec, s[22:23]
	s_waitcnt lgkmcnt(0)
	s_barrier
	ds_read_b128 v[14:17], v129
	ds_read_b128 v[18:21], v129 offset:16
	ds_read2_b32 v[106:107], v133 offset0:32 offset1:33
	ds_read_b128 v[2:5], v129 offset:32
	ds_read_b128 v[6:9], v129 offset:48
	ds_read_b128 v[10:13], v131
	ds_read2_b32 v[110:111], v133 offset0:34 offset1:35
	v_mov_b32_e32 v25, 0
	s_waitcnt lgkmcnt(4)
	v_dot4c_i32_i8_e32 v25, v106, v14
	v_dot4c_i32_i8_e32 v25, v107, v18
	ds_read2_b32 v[106:107], v133 offset0:36 offset1:37
	ds_read2_b32 v[146:147], v133 offset0:38 offset1:39
	;; [unrolled: 1-line block ×3, first 2 shown]
	s_waitcnt lgkmcnt(3)
	v_dot4c_i32_i8_e32 v25, v110, v15
	v_dot4c_i32_i8_e32 v25, v111, v19
	s_waitcnt lgkmcnt(2)
	v_dot4c_i32_i8_e32 v25, v106, v16
	v_add_u32_e32 v106, 0x2100, v133
	v_dot4c_i32_i8_e32 v25, v107, v20
	ds_read2_b32 v[148:149], v106 offset1:1
	s_waitcnt lgkmcnt(2)
	v_dot4c_i32_i8_e32 v25, v146, v17
	v_add_u32_e32 v146, 0x2108, v133
	v_dot4c_i32_i8_e32 v25, v147, v21
	ds_read2_b32 v[106:107], v137 offset0:4 offset1:5
	ds_read2_b32 v[110:111], v137 offset0:6 offset1:7
	ds_read2_b32 v[146:147], v146 offset1:1
	v_mov_b32_e32 v156, 0
	s_waitcnt lgkmcnt(3)
	v_dot4c_i32_i8_e32 v156, v148, v14
	v_add_u32_e32 v148, 0x2110, v133
	v_add_u32_e32 v150, 0x2118, v133
	v_add_u32_e32 v152, 0x4180, v133
	v_dot4c_i32_i8_e32 v156, v149, v18
	ds_read2_b32 v[148:149], v148 offset1:1
	ds_read2_b32 v[150:151], v150 offset1:1
	;; [unrolled: 1-line block ×3, first 2 shown]
	s_waitcnt lgkmcnt(3)
	v_dot4c_i32_i8_e32 v156, v146, v15
	v_dot4c_i32_i8_e32 v156, v147, v19
	s_waitcnt lgkmcnt(2)
	v_dot4c_i32_i8_e32 v156, v148, v16
	v_dot4c_i32_i8_e32 v156, v149, v20
	v_mov_b32_e32 v157, 0
	s_waitcnt lgkmcnt(1)
	v_dot4c_i32_i8_e32 v156, v150, v17
	s_waitcnt lgkmcnt(0)
	v_dot4c_i32_i8_e32 v157, v152, v14
	v_add_u32_e32 v148, 0x4188, v133
	v_add_u32_e32 v150, 0x4190, v133
	v_add_u32_e32 v152, 0x4198, v133
	v_add_u32_e32 v154, 0x6200, v133
	v_dot4c_i32_i8_e32 v156, v151, v21
	ds_read2_b32 v[146:147], v136 offset0:4 offset1:5
	ds_read2_b32 v[148:149], v148 offset1:1
	v_dot4c_i32_i8_e32 v157, v153, v18
	ds_read2_b32 v[150:151], v150 offset1:1
	ds_read2_b32 v[152:153], v152 offset1:1
	;; [unrolled: 1-line block ×3, first 2 shown]
	v_mov_b32_e32 v158, 0
	v_mov_b32_e32 v159, 0
	s_waitcnt lgkmcnt(3)
	v_dot4c_i32_i8_e32 v157, v148, v15
	v_dot4c_i32_i8_e32 v157, v149, v19
	s_waitcnt lgkmcnt(0)
	v_dot4c_i32_i8_e32 v158, v154, v14
	v_add_u32_e32 v14, 0x6208, v133
	ds_read2_b32 v[148:149], v14 offset1:1
	v_dot4c_i32_i8_e32 v157, v150, v16
	v_dot4c_i32_i8_e32 v157, v151, v20
	v_dot4c_i32_i8_e32 v157, v152, v17
	v_add_u32_e32 v14, 0x6210, v133
	v_add_u32_e32 v154, 0x2120, v133
	v_dot4c_i32_i8_e32 v157, v153, v21
	v_dot4c_i32_i8_e32 v158, v155, v18
	v_add_u32_e32 v18, 0x6218, v133
	ds_read2_b32 v[150:151], v14 offset1:1
	ds_read2_b32 v[152:153], v18 offset1:1
	;; [unrolled: 1-line block ×3, first 2 shown]
	s_waitcnt lgkmcnt(3)
	v_dot4c_i32_i8_e32 v158, v148, v15
	v_dot4c_i32_i8_e32 v158, v149, v19
	ds_read2_b32 v[14:15], v133 offset0:42 offset1:43
	s_waitcnt lgkmcnt(3)
	v_dot4c_i32_i8_e32 v158, v150, v16
	v_dot4c_i32_i8_e32 v158, v151, v20
	s_waitcnt lgkmcnt(2)
	v_dot4c_i32_i8_e32 v158, v152, v17
	v_dot4c_i32_i8_e32 v159, v108, v2
	;; [unrolled: 1-line block ×4, first 2 shown]
	ds_read2_b32 v[16:17], v133 offset0:44 offset1:45
	ds_read2_b32 v[18:19], v133 offset0:46 offset1:47
	;; [unrolled: 1-line block ×3, first 2 shown]
	s_waitcnt lgkmcnt(3)
	v_dot4c_i32_i8_e32 v159, v14, v3
	v_add_u32_e32 v14, 0x2128, v133
	v_dot4c_i32_i8_e32 v159, v15, v7
	ds_read2_b32 v[14:15], v14 offset1:1
	s_waitcnt lgkmcnt(3)
	v_dot4c_i32_i8_e32 v159, v16, v4
	v_dot4c_i32_i8_e32 v159, v17, v8
	v_mov_b32_e32 v160, 0
	s_waitcnt lgkmcnt(2)
	v_dot4c_i32_i8_e32 v159, v18, v5
	v_dot4c_i32_i8_e32 v160, v154, v2
	v_add_u32_e32 v16, 0x2130, v133
	v_add_u32_e32 v18, 0x2138, v133
	;; [unrolled: 1-line block ×3, first 2 shown]
	v_dot4c_i32_i8_e32 v159, v19, v9
	v_dot4c_i32_i8_e32 v160, v155, v6
	ds_read2_b32 v[16:17], v16 offset1:1
	ds_read2_b32 v[18:19], v18 offset1:1
	;; [unrolled: 1-line block ×3, first 2 shown]
	s_waitcnt lgkmcnt(3)
	v_dot4c_i32_i8_e32 v160, v14, v3
	v_add_u32_e32 v14, 0x41a8, v133
	v_dot4c_i32_i8_e32 v160, v15, v7
	ds_read2_b32 v[14:15], v14 offset1:1
	s_waitcnt lgkmcnt(3)
	v_dot4c_i32_i8_e32 v160, v16, v4
	v_dot4c_i32_i8_e32 v160, v17, v8
	v_mov_b32_e32 v148, 0
	s_waitcnt lgkmcnt(2)
	v_dot4c_i32_i8_e32 v160, v18, v5
	s_waitcnt lgkmcnt(1)
	v_dot4c_i32_i8_e32 v148, v108, v2
	v_add_u32_e32 v16, 0x41b0, v133
	v_add_u32_e32 v18, 0x41b8, v133
	v_add_u32_e32 v108, 0x6220, v133
	v_dot4c_i32_i8_e32 v160, v19, v9
	v_dot4c_i32_i8_e32 v148, v109, v6
	ds_read2_b32 v[16:17], v16 offset1:1
	ds_read2_b32 v[18:19], v18 offset1:1
	;; [unrolled: 1-line block ×3, first 2 shown]
	s_waitcnt lgkmcnt(3)
	v_dot4c_i32_i8_e32 v148, v14, v3
	v_dot4c_i32_i8_e32 v148, v15, v7
	s_waitcnt lgkmcnt(2)
	v_dot4c_i32_i8_e32 v148, v16, v4
	v_dot4c_i32_i8_e32 v148, v17, v8
	;; [unrolled: 3-line block ×3, first 2 shown]
	v_cvt_f32_i32_e32 v157, v157
	v_mov_b32_e32 v167, 0
	s_nop 0
	v_cvt_f32_i32_e32 v150, v148
	v_mov_b32_e32 v148, 0
	s_waitcnt lgkmcnt(0)
	v_dot4c_i32_i8_e32 v148, v108, v2
	v_add_u32_e32 v2, 0x6228, v133
	ds_read2_b32 v[14:15], v2 offset1:1
	v_add_u32_e32 v2, 0x6230, v133
	v_add_u32_e32 v108, 0x2140, v133
	v_dot4c_i32_i8_e32 v148, v109, v6
	v_add_u32_e32 v6, 0x6238, v133
	ds_read2_b32 v[16:17], v2 offset1:1
	ds_read2_b32 v[18:19], v6 offset1:1
	;; [unrolled: 1-line block ×3, first 2 shown]
	s_waitcnt lgkmcnt(3)
	v_dot4c_i32_i8_e32 v148, v14, v3
	v_dot4c_i32_i8_e32 v148, v15, v7
	s_waitcnt lgkmcnt(2)
	v_dot4c_i32_i8_e32 v148, v16, v4
	v_dot4c_i32_i8_e32 v148, v17, v8
	;; [unrolled: 3-line block ×3, first 2 shown]
	v_cvt_f32_i32_e32 v2, v158
	v_mul_f32_e32 v4, v10, v146
	v_mul_f32_e32 v18, v4, v157
	v_cvt_f32_i32_e32 v3, v148
	v_pk_mul_f32 v[4:5], v[10:11], v[106:107]
	ds_read2_b32 v[14:15], v135 offset0:4 offset1:5
	ds_read2_b32 v[16:17], v135 offset0:6 offset1:7
	v_mul_f32_e32 v19, v11, v147
	v_pk_mul_f32 v[106:107], v[4:5], v[2:3]
	ds_read_b128 v[2:5], v129 offset:64
	ds_read_b128 v[6:9], v129 offset:80
	ds_read2_b32 v[148:149], v136 offset0:6 offset1:7
	v_mul_f32_e32 v146, v19, v150
	ds_read2_b32 v[150:151], v133 offset0:50 offset1:51
	v_mov_b32_e32 v19, 0
	s_waitcnt lgkmcnt(3)
	v_dot4c_i32_i8_e32 v19, v20, v2
	s_waitcnt lgkmcnt(2)
	v_dot4c_i32_i8_e32 v19, v21, v6
	ds_read2_b32 v[20:21], v133 offset0:52 offset1:53
	ds_read2_b32 v[152:153], v133 offset0:54 offset1:55
	;; [unrolled: 1-line block ×3, first 2 shown]
	s_waitcnt lgkmcnt(3)
	v_dot4c_i32_i8_e32 v19, v150, v3
	v_dot4c_i32_i8_e32 v19, v151, v7
	s_waitcnt lgkmcnt(2)
	v_dot4c_i32_i8_e32 v19, v20, v4
	v_add_u32_e32 v20, 0x2148, v133
	v_dot4c_i32_i8_e32 v19, v21, v8
	ds_read2_b32 v[20:21], v20 offset1:1
	v_mov_b32_e32 v147, 0
	s_waitcnt lgkmcnt(2)
	v_dot4c_i32_i8_e32 v19, v152, v5
	v_dot4c_i32_i8_e32 v147, v108, v2
	v_add_u32_e32 v108, 0x2150, v133
	v_add_u32_e32 v150, 0x2158, v133
	;; [unrolled: 1-line block ×3, first 2 shown]
	v_dot4c_i32_i8_e32 v19, v153, v9
	v_dot4c_i32_i8_e32 v147, v109, v6
	ds_read2_b32 v[108:109], v108 offset1:1
	ds_read2_b32 v[150:151], v150 offset1:1
	;; [unrolled: 1-line block ×3, first 2 shown]
	s_waitcnt lgkmcnt(3)
	v_dot4c_i32_i8_e32 v147, v20, v3
	v_dot4c_i32_i8_e32 v147, v21, v7
	s_waitcnt lgkmcnt(2)
	v_dot4c_i32_i8_e32 v147, v108, v4
	v_dot4c_i32_i8_e32 v147, v109, v8
	v_mov_b32_e32 v157, 0
	s_waitcnt lgkmcnt(1)
	v_dot4c_i32_i8_e32 v147, v150, v5
	s_waitcnt lgkmcnt(0)
	v_dot4c_i32_i8_e32 v157, v152, v2
	v_add_u32_e32 v20, 0x41c8, v133
	v_add_u32_e32 v108, 0x41d0, v133
	;; [unrolled: 1-line block ×4, first 2 shown]
	v_dot4c_i32_i8_e32 v147, v151, v9
	v_dot4c_i32_i8_e32 v157, v153, v6
	ds_read2_b32 v[20:21], v20 offset1:1
	ds_read2_b32 v[108:109], v108 offset1:1
	;; [unrolled: 1-line block ×4, first 2 shown]
	v_mov_b32_e32 v163, v14
	s_waitcnt lgkmcnt(3)
	v_dot4c_i32_i8_e32 v157, v20, v3
	s_waitcnt lgkmcnt(0)
	v_dot4c_i32_i8_e32 v167, v152, v2
	v_add_u32_e32 v2, 0x6248, v133
	v_dot4c_i32_i8_e32 v157, v21, v7
	ds_read2_b32 v[20:21], v2 offset1:1
	v_dot4c_i32_i8_e32 v157, v108, v4
	v_dot4c_i32_i8_e32 v157, v109, v8
	;; [unrolled: 1-line block ×3, first 2 shown]
	v_add_u32_e32 v2, 0x6250, v133
	v_add_u32_e32 v152, 0x2160, v133
	v_dot4c_i32_i8_e32 v157, v151, v9
	v_dot4c_i32_i8_e32 v167, v153, v6
	v_add_u32_e32 v6, 0x6258, v133
	ds_read2_b32 v[108:109], v2 offset1:1
	ds_read2_b32 v[150:151], v6 offset1:1
	;; [unrolled: 1-line block ×3, first 2 shown]
	s_waitcnt lgkmcnt(3)
	v_dot4c_i32_i8_e32 v167, v20, v3
	v_dot4c_i32_i8_e32 v167, v21, v7
	s_waitcnt lgkmcnt(2)
	v_dot4c_i32_i8_e32 v167, v108, v4
	v_dot4c_i32_i8_e32 v167, v109, v8
	;; [unrolled: 3-line block ×3, first 2 shown]
	ds_read_b128 v[2:5], v129 offset:96
	ds_read_b128 v[6:9], v129 offset:112
	ds_read2_b32 v[108:109], v134 offset0:4 offset1:5
	v_cvt_f32_i32_e32 v166, v157
	v_cvt_f32_i32_e32 v21, v156
	;; [unrolled: 1-line block ×4, first 2 shown]
	s_waitcnt lgkmcnt(0)
	v_mov_b32_e32 v162, v108
	v_mov_b32_e32 v14, v109
	v_add_u32_e32 v108, 0x2168, v133
	ds_read2_b32 v[156:157], v133 offset0:58 offset1:59
	ds_read2_b32 v[158:159], v133 offset0:60 offset1:61
	;; [unrolled: 1-line block ×4, first 2 shown]
	ds_read2_b32 v[108:109], v108 offset1:1
	v_pk_mul_f32 v[162:163], v[10:11], v[162:163] op_sel_hi:[0,1]
	v_pk_mul_f32 v[10:11], v[10:11], v[14:15] op_sel:[1,0]
	v_cvt_f32_i32_e32 v14, v19
	v_mov_b32_e32 v19, 0
	v_dot4c_i32_i8_e32 v19, v154, v2
	v_cvt_f32_i32_e32 v20, v25
	v_dot4c_i32_i8_e32 v19, v155, v6
	v_mov_b32_e32 v25, 0
	v_cvt_f32_i32_e32 v15, v147
	s_waitcnt lgkmcnt(4)
	v_dot4c_i32_i8_e32 v19, v156, v3
	v_dot4c_i32_i8_e32 v25, v152, v2
	v_add_u32_e32 v147, 0x2170, v133
	v_add_u32_e32 v154, 0x2178, v133
	v_add_u32_e32 v156, 0x41e0, v133
	v_dot4c_i32_i8_e32 v19, v157, v7
	v_dot4c_i32_i8_e32 v25, v153, v6
	ds_read2_b32 v[152:153], v147 offset1:1
	ds_read2_b32 v[154:155], v154 offset1:1
	ds_read2_b32 v[156:157], v156 offset1:1
	s_waitcnt lgkmcnt(3)
	v_dot4c_i32_i8_e32 v25, v108, v3
	v_dot4c_i32_i8_e32 v25, v109, v7
	;; [unrolled: 1-line block ×3, first 2 shown]
	s_waitcnt lgkmcnt(2)
	v_dot4c_i32_i8_e32 v25, v152, v4
	v_dot4c_i32_i8_e32 v19, v159, v8
	;; [unrolled: 1-line block ×4, first 2 shown]
	s_waitcnt lgkmcnt(1)
	v_dot4c_i32_i8_e32 v25, v154, v5
	v_dot4c_i32_i8_e32 v19, v161, v9
	;; [unrolled: 1-line block ×3, first 2 shown]
	v_add_u32_e32 v158, 0x6260, v133
	v_add_u32_e32 v147, 0x41f8, v133
	v_cvt_f32_i32_e32 v108, v19
	v_cvt_f32_i32_e32 v109, v25
	v_mov_b32_e32 v19, 0
	v_add_u32_e32 v25, 0x41e8, v133
	s_waitcnt lgkmcnt(0)
	v_dot4c_i32_i8_e32 v19, v156, v2
	ds_read2_b32 v[152:153], v25 offset1:1
	v_add_u32_e32 v25, 0x41f0, v133
	v_dot4c_i32_i8_e32 v19, v157, v6
	ds_read2_b32 v[154:155], v25 offset1:1
	ds_read2_b32 v[156:157], v147 offset1:1
	;; [unrolled: 1-line block ×3, first 2 shown]
	v_mov_b32_e32 v25, 0
	s_waitcnt lgkmcnt(3)
	v_dot4c_i32_i8_e32 v19, v152, v3
	v_dot4c_i32_i8_e32 v19, v153, v7
	s_waitcnt lgkmcnt(2)
	v_dot4c_i32_i8_e32 v19, v154, v4
	s_waitcnt lgkmcnt(0)
	v_dot4c_i32_i8_e32 v25, v158, v2
	v_add_u32_e32 v2, 0x6268, v133
	ds_read2_b32 v[152:153], v2 offset1:1
	v_add_u32_e32 v2, 0x6270, v133
	v_dot4c_i32_i8_e32 v19, v155, v8
	ds_read2_b32 v[154:155], v2 offset1:1
	v_dot4c_i32_i8_e32 v19, v156, v5
	v_add_u32_e32 v2, 0x6278, v133
	v_dot4c_i32_i8_e32 v19, v157, v9
	v_dot4c_i32_i8_e32 v25, v159, v6
	ds_read2_b32 v[156:157], v2 offset1:1
	s_waitcnt lgkmcnt(2)
	v_dot4c_i32_i8_e32 v25, v152, v3
	v_dot4c_i32_i8_e32 v25, v153, v7
	s_waitcnt lgkmcnt(1)
	v_dot4c_i32_i8_e32 v25, v154, v4
	v_dot4c_i32_i8_e32 v25, v155, v8
	s_waitcnt lgkmcnt(0)
	v_dot4c_i32_i8_e32 v25, v156, v5
	v_dot4c_i32_i8_e32 v25, v157, v9
	v_cvt_f32_i32_e32 v19, v19
	v_cvt_f32_i32_e32 v4, v167
	v_mov_b32_e32 v2, v164
	v_cvt_f32_i32_e32 v5, v25
	v_mov_b32_e32 v3, v16
	v_pk_mul_f32 v[8:9], v[12:13], v[110:111]
	v_mul_f32_e32 v7, v13, v149
	v_pk_mul_f32 v[2:3], v[12:13], v[2:3] op_sel_hi:[0,1]
	v_mul_f32_e32 v6, v12, v148
	v_pk_mul_f32 v[4:5], v[8:9], v[4:5]
	v_mov_b32_e32 v8, v13
	v_mov_b32_e32 v16, v165
	v_mul_f32_e32 v12, v7, v19
	v_mov_b32_e32 v19, v106
	v_pk_mul_f32 v[8:9], v[8:9], v[16:17] op_sel_hi:[0,1]
	v_mov_b32_e32 v147, v107
	v_mov_b32_e32 v7, v4
	;; [unrolled: 1-line block ×3, first 2 shown]
	v_pk_fma_f32 v[4:5], v[162:163], v[20:21], v[104:105]
	v_pk_add_f32 v[16:17], v[86:87], v[18:19]
	v_mul_f32_e32 v6, v6, v166
	v_pk_fma_f32 v[4:5], v[10:11], v[150:151], v[4:5]
	v_pk_add_f32 v[10:11], v[16:17], v[146:147]
	v_pk_fma_f32 v[2:3], v[2:3], v[14:15], v[4:5]
	v_pk_add_f32 v[4:5], v[10:11], v[6:7]
	;; [unrolled: 2-line block ×3, first 2 shown]
	s_barrier
.LBB181_5:                              ;   in Loop: Header=BB181_6 Depth=1
	s_add_i32 s14, s14, 8
	s_addk_i32 s26, 0x100
	v_lshl_add_u64 v[28:29], v[28:29], 0, s[8:9]
	v_lshl_add_u64 v[30:31], v[30:31], 0, s[20:21]
	;; [unrolled: 1-line block ×36, first 2 shown]
	s_cmp_ge_i32 s14, s25
	v_lshl_add_u64 v[102:103], v[102:103], 0, s[20:21]
	s_cbranch_scc1 .LBB181_17
.LBB181_6:                              ; =>This Inner Loop Header: Depth=1
	v_lshl_add_u64 v[2:3], v[30:31], 0, s[16:17]
	global_load_dword v4, v[2:3], off
	v_lshl_add_u64 v[2:3], v[32:33], 0, s[16:17]
	global_load_dword v2, v[2:3], off offset:2
	s_add_i32 s2, s26, 0xffffff80
	s_cmp_lt_i32 s2, s15
	s_waitcnt vmcnt(1)
	v_and_b32_e32 v3, 0xf0f0f0f, v4
	v_lshrrev_b32_e32 v4, 4, v4
	s_waitcnt vmcnt(0)
	v_ashrrev_i32_e32 v2, v24, v2
	v_lshlrev_b32_e32 v5, 4, v2
	v_lshlrev_b32_e32 v6, 11, v2
	v_and_b32_e32 v5, 16, v5
	v_and_b32_e32 v6, 0x1000, v6
	v_or3_b32 v5, v5, v3, v6
	v_lshlrev_b32_e32 v6, 18, v2
	v_lshlrev_b32_e32 v7, 25, v2
	v_and_b32_e32 v6, 0x100000, v6
	v_and_b32_e32 v7, 0x10000000, v7
	v_or3_b32 v3, v3, v6, v7
	v_and_b32_e32 v6, 0x1f00, v5
	v_lshlrev_b16_e32 v5, 8, v5
	v_add_u16_e32 v6, 0xf000, v6
	v_add_u16_e32 v5, 0xf000, v5
	v_perm_b32 v5, v5, v6, s28
	v_and_b32_sdwa v6, v3, s27 dst_sel:DWORD dst_unused:UNUSED_PAD src0_sel:WORD_1 src1_sel:DWORD
	v_lshlrev_b16_sdwa v3, v145, v3 dst_sel:DWORD dst_unused:UNUSED_PAD src0_sel:DWORD src1_sel:WORD_1
	v_add_u16_e32 v6, 0xf000, v6
	v_add_u16_e32 v3, 0xf000, v3
	v_perm_b32 v3, v3, v6, s28
	v_lshl_or_b32 v3, v3, 16, v5
	v_lshrrev_b32_e32 v5, 12, v2
	v_lshrrev_b32_e32 v6, 5, v2
	v_and_b32_e32 v4, 0xf0f0f0f, v4
	v_and_b32_e32 v5, 16, v5
	v_and_b32_e32 v6, 0x1000, v6
	v_or3_b32 v5, v5, v4, v6
	v_lshlrev_b32_e32 v6, 2, v2
	v_lshlrev_b32_e32 v2, 9, v2
	v_and_b32_e32 v6, 0x100000, v6
	v_and_b32_e32 v2, 0x10000000, v2
	v_or3_b32 v2, v4, v6, v2
	v_and_b32_sdwa v4, v2, s27 dst_sel:DWORD dst_unused:UNUSED_PAD src0_sel:WORD_1 src1_sel:DWORD
	v_lshlrev_b16_sdwa v2, v145, v2 dst_sel:DWORD dst_unused:UNUSED_PAD src0_sel:DWORD src1_sel:WORD_1
	v_add_u16_e32 v4, 0xf000, v4
	v_add_u16_e32 v2, 0xf000, v2
	v_perm_b32 v2, v2, v4, s28
	v_lshlrev_b16_e32 v4, 8, v5
	v_add_u16_e32 v4, 0xf000, v4
	v_lshrrev_b16_e32 v4, 8, v4
	v_bitop3_b16 v4, v5, v4, s27 bitop3:0xec
	v_add_u16_e32 v4, 0xf000, v4
	v_lshl_or_b32 v2, v2, 16, v4
	ds_write2_b32 v112, v3, v2 offset1:1
	v_lshl_add_u64 v[2:3], v[34:35], 0, s[16:17]
	global_load_dword v4, v[2:3], off
	v_lshl_add_u64 v[2:3], v[36:37], 0, s[16:17]
	global_load_dword v2, v[2:3], off
	s_waitcnt vmcnt(1)
	v_and_b32_e32 v3, 0xf0f0f0f, v4
	v_lshrrev_b32_e32 v4, 4, v4
	s_waitcnt vmcnt(0)
	v_ashrrev_i32_e32 v2, v24, v2
	v_lshlrev_b32_e32 v5, 4, v2
	v_lshlrev_b32_e32 v6, 11, v2
	v_and_b32_e32 v5, 16, v5
	v_and_b32_e32 v6, 0x1000, v6
	v_or3_b32 v5, v5, v3, v6
	v_lshlrev_b32_e32 v6, 18, v2
	v_lshlrev_b32_e32 v7, 25, v2
	v_and_b32_e32 v6, 0x100000, v6
	v_and_b32_e32 v7, 0x10000000, v7
	v_or3_b32 v3, v3, v6, v7
	v_and_b32_e32 v6, 0x1f00, v5
	v_lshlrev_b16_e32 v5, 8, v5
	v_add_u16_e32 v6, 0xf000, v6
	v_add_u16_e32 v5, 0xf000, v5
	v_perm_b32 v5, v5, v6, s28
	v_and_b32_sdwa v6, v3, s27 dst_sel:DWORD dst_unused:UNUSED_PAD src0_sel:WORD_1 src1_sel:DWORD
	v_lshlrev_b16_sdwa v3, v145, v3 dst_sel:DWORD dst_unused:UNUSED_PAD src0_sel:DWORD src1_sel:WORD_1
	v_add_u16_e32 v6, 0xf000, v6
	v_add_u16_e32 v3, 0xf000, v3
	v_perm_b32 v3, v3, v6, s28
	v_lshl_or_b32 v3, v3, 16, v5
	v_lshrrev_b32_e32 v5, 12, v2
	v_lshrrev_b32_e32 v6, 5, v2
	v_and_b32_e32 v4, 0xf0f0f0f, v4
	v_and_b32_e32 v5, 16, v5
	v_and_b32_e32 v6, 0x1000, v6
	v_or3_b32 v5, v5, v4, v6
	v_lshlrev_b32_e32 v6, 2, v2
	v_lshlrev_b32_e32 v2, 9, v2
	v_and_b32_e32 v6, 0x100000, v6
	v_and_b32_e32 v2, 0x10000000, v2
	v_or3_b32 v2, v4, v6, v2
	v_and_b32_sdwa v4, v2, s27 dst_sel:DWORD dst_unused:UNUSED_PAD src0_sel:WORD_1 src1_sel:DWORD
	v_lshlrev_b16_sdwa v2, v145, v2 dst_sel:DWORD dst_unused:UNUSED_PAD src0_sel:DWORD src1_sel:WORD_1
	v_add_u16_e32 v4, 0xf000, v4
	v_add_u16_e32 v2, 0xf000, v2
	v_perm_b32 v2, v2, v4, s28
	v_lshlrev_b16_e32 v4, 8, v5
	v_add_u16_e32 v4, 0xf000, v4
	v_lshrrev_b16_e32 v4, 8, v4
	v_bitop3_b16 v4, v5, v4, s27 bitop3:0xec
	v_add_u16_e32 v4, 0xf000, v4
	v_lshl_or_b32 v2, v2, 16, v4
	ds_write2_b32 v113, v3, v2 offset1:1
	v_lshl_add_u64 v[2:3], v[38:39], 0, s[16:17]
	global_load_dword v4, v[2:3], off
	v_lshl_add_u64 v[2:3], v[40:41], 0, s[16:17]
	global_load_dword v2, v[2:3], off
	;; [unrolled: 53-line block ×15, first 2 shown]
	s_waitcnt vmcnt(1)
	v_and_b32_e32 v3, 0xf0f0f0f, v4
	v_lshrrev_b32_e32 v4, 4, v4
	s_waitcnt vmcnt(0)
	v_ashrrev_i32_e32 v2, v24, v2
	v_lshlrev_b32_e32 v5, 4, v2
	v_lshlrev_b32_e32 v6, 11, v2
	v_and_b32_e32 v5, 16, v5
	v_and_b32_e32 v6, 0x1000, v6
	v_or3_b32 v5, v5, v3, v6
	v_lshlrev_b32_e32 v6, 18, v2
	v_lshlrev_b32_e32 v7, 25, v2
	v_and_b32_e32 v6, 0x100000, v6
	v_and_b32_e32 v7, 0x10000000, v7
	v_or3_b32 v3, v3, v6, v7
	v_and_b32_e32 v6, 0x1f00, v5
	v_lshlrev_b16_e32 v5, 8, v5
	v_add_u16_e32 v6, 0xf000, v6
	v_add_u16_e32 v5, 0xf000, v5
	v_perm_b32 v5, v5, v6, s28
	v_and_b32_sdwa v6, v3, s27 dst_sel:DWORD dst_unused:UNUSED_PAD src0_sel:WORD_1 src1_sel:DWORD
	v_lshlrev_b16_sdwa v3, v145, v3 dst_sel:DWORD dst_unused:UNUSED_PAD src0_sel:DWORD src1_sel:WORD_1
	v_add_u16_e32 v6, 0xf000, v6
	v_add_u16_e32 v3, 0xf000, v3
	v_perm_b32 v3, v3, v6, s28
	v_lshl_or_b32 v3, v3, 16, v5
	v_lshrrev_b32_e32 v5, 12, v2
	v_lshrrev_b32_e32 v6, 5, v2
	v_and_b32_e32 v4, 0xf0f0f0f, v4
	v_and_b32_e32 v5, 16, v5
	;; [unrolled: 1-line block ×3, first 2 shown]
	v_or3_b32 v5, v5, v4, v6
	v_lshlrev_b32_e32 v6, 2, v2
	v_lshlrev_b32_e32 v2, 9, v2
	v_and_b32_e32 v6, 0x100000, v6
	v_and_b32_e32 v2, 0x10000000, v2
	v_or3_b32 v2, v4, v6, v2
	v_and_b32_sdwa v4, v2, s27 dst_sel:DWORD dst_unused:UNUSED_PAD src0_sel:WORD_1 src1_sel:DWORD
	v_lshlrev_b16_sdwa v2, v145, v2 dst_sel:DWORD dst_unused:UNUSED_PAD src0_sel:DWORD src1_sel:WORD_1
	v_add_u16_e32 v4, 0xf000, v4
	v_add_u16_e32 v2, 0xf000, v2
	v_perm_b32 v2, v2, v4, s28
	v_lshlrev_b16_e32 v4, 8, v5
	v_add_u16_e32 v4, 0xf000, v4
	v_lshrrev_b16_e32 v4, 8, v4
	v_bitop3_b16 v4, v5, v4, s27 bitop3:0xec
	v_add_u16_e32 v4, 0xf000, v4
	v_lshl_or_b32 v2, v2, 16, v4
	ds_write2_b32 v127, v3, v2 offset1:1
	v_lshl_add_u64 v[2:3], v[96:97], 0, s[16:17]
	global_load_ushort v2, v[2:3], off
	s_waitcnt vmcnt(0)
	v_cvt_f32_f16_e32 v2, v2
	ds_write_b32 v141, v2
	v_lshl_add_u64 v[2:3], v[98:99], 0, s[16:17]
	global_load_ushort v2, v[2:3], off
	s_waitcnt vmcnt(0)
	v_cvt_f32_f16_e32 v2, v2
	ds_write_b32 v142, v2
	v_lshl_add_u64 v[2:3], v[100:101], 0, s[16:17]
	global_load_ushort v2, v[2:3], off
	s_waitcnt vmcnt(0)
	v_cvt_f32_f16_e32 v2, v2
	ds_write_b32 v143, v2
	v_lshl_add_u64 v[2:3], v[102:103], 0, s[16:17]
	global_load_ushort v2, v[2:3], off
	s_waitcnt vmcnt(0)
	v_cvt_f32_f16_e32 v2, v2
	ds_write_b32 v144, v2
	s_cbranch_scc0 .LBB181_5
; %bb.7:                                ;   in Loop: Header=BB181_6 Depth=1
	v_add_u32_e32 v2, s14, v128
	v_cmp_gt_i32_e64 s[2:3], s5, v2
	s_and_b64 s[22:23], s[0:1], s[2:3]
	s_and_saveexec_b64 s[2:3], s[22:23]
	s_cbranch_execz .LBB181_9
; %bb.8:                                ;   in Loop: Header=BB181_6 Depth=1
	v_add_u32_e32 v2, s14, v140
	v_mad_i64_i32 v[2:3], s[22:23], v2, 36, v[26:27]
	global_load_dword v2, v[2:3], off offset:4
	s_waitcnt vmcnt(0)
	ds_write_b32 v130, v2
.LBB181_9:                              ;   in Loop: Header=BB181_6 Depth=1
	s_or_b64 exec, exec, s[2:3]
	v_add_u32_e32 v25, s14, v22
	v_cmp_gt_i32_e64 s[2:3], s5, v25
	s_and_b64 s[22:23], s[18:19], s[2:3]
	s_and_saveexec_b64 s[2:3], s[22:23]
	s_cbranch_execz .LBB181_11
; %bb.10:                               ;   in Loop: Header=BB181_6 Depth=1
	v_add_u32_e32 v2, s14, v23
	v_mad_i64_i32 v[2:3], s[22:23], v2, 36, s[10:11]
	global_load_dword v2, v[2:3], off
	s_waitcnt vmcnt(0)
	v_cvt_f32_f16_e32 v2, v2
	ds_write_b32 v132, v2
.LBB181_11:                             ;   in Loop: Header=BB181_6 Depth=1
	s_or_b64 exec, exec, s[2:3]
	s_waitcnt lgkmcnt(0)
	s_barrier
	ds_read_b128 v[14:17], v129
	ds_read_b128 v[18:21], v129 offset:16
	ds_read2_b32 v[106:107], v133 offset1:1
	ds_read_b128 v[2:5], v129 offset:32
	ds_read_b128 v[6:9], v129 offset:48
	ds_read_b128 v[10:13], v131
	ds_read2_b32 v[110:111], v133 offset0:2 offset1:3
	v_mov_b32_e32 v146, 0
	s_waitcnt lgkmcnt(4)
	v_dot4c_i32_i8_e32 v146, v106, v14
	v_dot4c_i32_i8_e32 v146, v107, v18
	ds_read2_b32 v[106:107], v133 offset0:4 offset1:5
	ds_read2_b32 v[148:149], v133 offset0:6 offset1:7
	;; [unrolled: 1-line block ×3, first 2 shown]
	s_waitcnt lgkmcnt(3)
	v_dot4c_i32_i8_e32 v146, v110, v15
	v_dot4c_i32_i8_e32 v146, v111, v19
	s_waitcnt lgkmcnt(2)
	v_dot4c_i32_i8_e32 v146, v106, v16
	v_add_u32_e32 v106, 0x2080, v133
	v_dot4c_i32_i8_e32 v146, v107, v20
	ds_read2_b32 v[150:151], v106 offset1:1
	s_waitcnt lgkmcnt(2)
	v_dot4c_i32_i8_e32 v146, v148, v17
	v_add_u32_e32 v148, 0x2088, v133
	v_dot4c_i32_i8_e32 v146, v149, v21
	ds_read2_b32 v[106:107], v137 offset1:1
	ds_read2_b32 v[110:111], v137 offset0:2 offset1:3
	ds_read2_b32 v[148:149], v148 offset1:1
	v_mov_b32_e32 v147, 0
	s_waitcnt lgkmcnt(3)
	v_dot4c_i32_i8_e32 v147, v150, v14
	v_add_u32_e32 v150, 0x2090, v133
	v_add_u32_e32 v152, 0x2098, v133
	;; [unrolled: 1-line block ×3, first 2 shown]
	v_dot4c_i32_i8_e32 v147, v151, v18
	ds_read2_b32 v[150:151], v150 offset1:1
	ds_read2_b32 v[152:153], v152 offset1:1
	;; [unrolled: 1-line block ×3, first 2 shown]
	s_waitcnt lgkmcnt(3)
	v_dot4c_i32_i8_e32 v147, v148, v15
	v_dot4c_i32_i8_e32 v147, v149, v19
	s_waitcnt lgkmcnt(2)
	v_dot4c_i32_i8_e32 v147, v150, v16
	v_dot4c_i32_i8_e32 v147, v151, v20
	v_mov_b32_e32 v158, 0
	s_waitcnt lgkmcnt(1)
	v_dot4c_i32_i8_e32 v147, v152, v17
	s_waitcnt lgkmcnt(0)
	v_dot4c_i32_i8_e32 v158, v154, v14
	v_add_u32_e32 v150, 0x4108, v133
	v_add_u32_e32 v152, 0x4110, v133
	;; [unrolled: 1-line block ×4, first 2 shown]
	v_dot4c_i32_i8_e32 v147, v153, v21
	ds_read2_b32 v[148:149], v136 offset1:1
	ds_read2_b32 v[150:151], v150 offset1:1
	v_dot4c_i32_i8_e32 v158, v155, v18
	ds_read2_b32 v[152:153], v152 offset1:1
	ds_read2_b32 v[154:155], v154 offset1:1
	ds_read2_b32 v[156:157], v156 offset1:1
	v_mov_b32_e32 v159, 0
	v_mov_b32_e32 v160, 0
	s_waitcnt lgkmcnt(3)
	v_dot4c_i32_i8_e32 v158, v150, v15
	v_dot4c_i32_i8_e32 v158, v151, v19
	s_waitcnt lgkmcnt(0)
	v_dot4c_i32_i8_e32 v159, v156, v14
	v_add_u32_e32 v14, 0x6188, v133
	ds_read2_b32 v[150:151], v14 offset1:1
	v_dot4c_i32_i8_e32 v158, v152, v16
	v_dot4c_i32_i8_e32 v158, v153, v20
	;; [unrolled: 1-line block ×3, first 2 shown]
	v_add_u32_e32 v14, 0x6190, v133
	v_add_u32_e32 v156, 0x20a0, v133
	v_dot4c_i32_i8_e32 v158, v155, v21
	v_dot4c_i32_i8_e32 v159, v157, v18
	v_add_u32_e32 v18, 0x6198, v133
	ds_read2_b32 v[152:153], v14 offset1:1
	ds_read2_b32 v[154:155], v18 offset1:1
	;; [unrolled: 1-line block ×3, first 2 shown]
	s_waitcnt lgkmcnt(3)
	v_dot4c_i32_i8_e32 v159, v150, v15
	v_dot4c_i32_i8_e32 v159, v151, v19
	ds_read2_b32 v[14:15], v133 offset0:10 offset1:11
	s_waitcnt lgkmcnt(3)
	v_dot4c_i32_i8_e32 v159, v152, v16
	v_dot4c_i32_i8_e32 v159, v153, v20
	s_waitcnt lgkmcnt(2)
	v_dot4c_i32_i8_e32 v159, v154, v17
	v_dot4c_i32_i8_e32 v160, v108, v2
	;; [unrolled: 1-line block ×4, first 2 shown]
	ds_read2_b32 v[16:17], v133 offset0:12 offset1:13
	ds_read2_b32 v[18:19], v133 offset0:14 offset1:15
	;; [unrolled: 1-line block ×3, first 2 shown]
	s_waitcnt lgkmcnt(3)
	v_dot4c_i32_i8_e32 v160, v14, v3
	v_add_u32_e32 v14, 0x20a8, v133
	v_dot4c_i32_i8_e32 v160, v15, v7
	ds_read2_b32 v[14:15], v14 offset1:1
	s_waitcnt lgkmcnt(3)
	v_dot4c_i32_i8_e32 v160, v16, v4
	v_dot4c_i32_i8_e32 v160, v17, v8
	v_mov_b32_e32 v161, 0
	s_waitcnt lgkmcnt(2)
	v_dot4c_i32_i8_e32 v160, v18, v5
	v_dot4c_i32_i8_e32 v161, v156, v2
	v_add_u32_e32 v16, 0x20b0, v133
	v_add_u32_e32 v18, 0x20b8, v133
	;; [unrolled: 1-line block ×3, first 2 shown]
	v_dot4c_i32_i8_e32 v160, v19, v9
	v_dot4c_i32_i8_e32 v161, v157, v6
	ds_read2_b32 v[16:17], v16 offset1:1
	ds_read2_b32 v[18:19], v18 offset1:1
	;; [unrolled: 1-line block ×3, first 2 shown]
	s_waitcnt lgkmcnt(3)
	v_dot4c_i32_i8_e32 v161, v14, v3
	v_add_u32_e32 v14, 0x4128, v133
	v_dot4c_i32_i8_e32 v161, v15, v7
	ds_read2_b32 v[14:15], v14 offset1:1
	s_waitcnt lgkmcnt(3)
	v_dot4c_i32_i8_e32 v161, v16, v4
	v_dot4c_i32_i8_e32 v161, v17, v8
	v_mov_b32_e32 v150, 0
	s_waitcnt lgkmcnt(2)
	v_dot4c_i32_i8_e32 v161, v18, v5
	s_waitcnt lgkmcnt(1)
	v_dot4c_i32_i8_e32 v150, v108, v2
	v_add_u32_e32 v16, 0x4130, v133
	v_add_u32_e32 v18, 0x4138, v133
	;; [unrolled: 1-line block ×3, first 2 shown]
	v_dot4c_i32_i8_e32 v161, v19, v9
	v_dot4c_i32_i8_e32 v150, v109, v6
	ds_read2_b32 v[16:17], v16 offset1:1
	ds_read2_b32 v[18:19], v18 offset1:1
	;; [unrolled: 1-line block ×3, first 2 shown]
	s_waitcnt lgkmcnt(3)
	v_dot4c_i32_i8_e32 v150, v14, v3
	v_dot4c_i32_i8_e32 v150, v15, v7
	s_waitcnt lgkmcnt(2)
	v_dot4c_i32_i8_e32 v150, v16, v4
	v_dot4c_i32_i8_e32 v150, v17, v8
	s_waitcnt lgkmcnt(1)
	v_dot4c_i32_i8_e32 v150, v18, v5
	v_dot4c_i32_i8_e32 v150, v19, v9
	v_cvt_f32_i32_e32 v158, v158
	v_mov_b32_e32 v167, 0
	s_cmp_ge_i32 s26, s15
	v_cvt_f32_i32_e32 v152, v150
	v_mov_b32_e32 v150, 0
	s_waitcnt lgkmcnt(0)
	v_dot4c_i32_i8_e32 v150, v108, v2
	v_add_u32_e32 v2, 0x61a8, v133
	ds_read2_b32 v[14:15], v2 offset1:1
	v_add_u32_e32 v2, 0x61b0, v133
	v_add_u32_e32 v108, 0x20c0, v133
	v_dot4c_i32_i8_e32 v150, v109, v6
	v_add_u32_e32 v6, 0x61b8, v133
	ds_read2_b32 v[16:17], v2 offset1:1
	ds_read2_b32 v[18:19], v6 offset1:1
	;; [unrolled: 1-line block ×3, first 2 shown]
	s_waitcnt lgkmcnt(3)
	v_dot4c_i32_i8_e32 v150, v14, v3
	v_dot4c_i32_i8_e32 v150, v15, v7
	s_waitcnt lgkmcnt(2)
	v_dot4c_i32_i8_e32 v150, v16, v4
	v_dot4c_i32_i8_e32 v150, v17, v8
	;; [unrolled: 3-line block ×3, first 2 shown]
	v_cvt_f32_i32_e32 v2, v159
	v_mul_f32_e32 v4, v10, v148
	v_mul_f32_e32 v18, v4, v158
	v_cvt_f32_i32_e32 v3, v150
	v_pk_mul_f32 v[4:5], v[10:11], v[106:107]
	ds_read2_b32 v[14:15], v135 offset1:1
	ds_read2_b32 v[16:17], v135 offset0:2 offset1:3
	v_mul_f32_e32 v19, v11, v149
	v_pk_mul_f32 v[106:107], v[4:5], v[2:3]
	ds_read_b128 v[2:5], v129 offset:64
	ds_read_b128 v[6:9], v129 offset:80
	ds_read2_b32 v[150:151], v136 offset0:2 offset1:3
	v_mul_f32_e32 v148, v19, v152
	ds_read2_b32 v[152:153], v133 offset0:18 offset1:19
	v_mov_b32_e32 v19, 0
	s_waitcnt lgkmcnt(3)
	v_dot4c_i32_i8_e32 v19, v20, v2
	s_waitcnt lgkmcnt(2)
	v_dot4c_i32_i8_e32 v19, v21, v6
	ds_read2_b32 v[20:21], v133 offset0:20 offset1:21
	ds_read2_b32 v[154:155], v133 offset0:22 offset1:23
	;; [unrolled: 1-line block ×3, first 2 shown]
	s_waitcnt lgkmcnt(3)
	v_dot4c_i32_i8_e32 v19, v152, v3
	v_dot4c_i32_i8_e32 v19, v153, v7
	s_waitcnt lgkmcnt(2)
	v_dot4c_i32_i8_e32 v19, v20, v4
	v_add_u32_e32 v20, 0x20c8, v133
	v_dot4c_i32_i8_e32 v19, v21, v8
	ds_read2_b32 v[20:21], v20 offset1:1
	v_mov_b32_e32 v149, 0
	s_waitcnt lgkmcnt(2)
	v_dot4c_i32_i8_e32 v19, v154, v5
	v_dot4c_i32_i8_e32 v149, v108, v2
	v_add_u32_e32 v108, 0x20d0, v133
	v_add_u32_e32 v152, 0x20d8, v133
	;; [unrolled: 1-line block ×3, first 2 shown]
	v_dot4c_i32_i8_e32 v19, v155, v9
	v_dot4c_i32_i8_e32 v149, v109, v6
	ds_read2_b32 v[108:109], v108 offset1:1
	ds_read2_b32 v[152:153], v152 offset1:1
	;; [unrolled: 1-line block ×3, first 2 shown]
	s_waitcnt lgkmcnt(3)
	v_dot4c_i32_i8_e32 v149, v20, v3
	v_dot4c_i32_i8_e32 v149, v21, v7
	s_waitcnt lgkmcnt(2)
	v_dot4c_i32_i8_e32 v149, v108, v4
	v_dot4c_i32_i8_e32 v149, v109, v8
	v_mov_b32_e32 v158, 0
	s_waitcnt lgkmcnt(1)
	v_dot4c_i32_i8_e32 v149, v152, v5
	s_waitcnt lgkmcnt(0)
	v_dot4c_i32_i8_e32 v158, v154, v2
	v_add_u32_e32 v20, 0x4148, v133
	v_add_u32_e32 v108, 0x4150, v133
	v_add_u32_e32 v152, 0x4158, v133
	v_add_u32_e32 v154, 0x61c0, v133
	v_dot4c_i32_i8_e32 v149, v153, v9
	v_dot4c_i32_i8_e32 v158, v155, v6
	ds_read2_b32 v[20:21], v20 offset1:1
	ds_read2_b32 v[108:109], v108 offset1:1
	;; [unrolled: 1-line block ×4, first 2 shown]
	v_mov_b32_e32 v163, v14
	s_waitcnt lgkmcnt(3)
	v_dot4c_i32_i8_e32 v158, v20, v3
	s_waitcnt lgkmcnt(0)
	v_dot4c_i32_i8_e32 v167, v154, v2
	v_add_u32_e32 v2, 0x61c8, v133
	v_dot4c_i32_i8_e32 v158, v21, v7
	ds_read2_b32 v[20:21], v2 offset1:1
	v_dot4c_i32_i8_e32 v158, v108, v4
	v_dot4c_i32_i8_e32 v158, v109, v8
	;; [unrolled: 1-line block ×3, first 2 shown]
	v_add_u32_e32 v2, 0x61d0, v133
	v_add_u32_e32 v154, 0x20e0, v133
	v_dot4c_i32_i8_e32 v158, v153, v9
	v_dot4c_i32_i8_e32 v167, v155, v6
	v_add_u32_e32 v6, 0x61d8, v133
	ds_read2_b32 v[108:109], v2 offset1:1
	ds_read2_b32 v[152:153], v6 offset1:1
	ds_read2_b32 v[154:155], v154 offset1:1
	s_waitcnt lgkmcnt(3)
	v_dot4c_i32_i8_e32 v167, v20, v3
	v_dot4c_i32_i8_e32 v167, v21, v7
	s_waitcnt lgkmcnt(2)
	v_dot4c_i32_i8_e32 v167, v108, v4
	v_dot4c_i32_i8_e32 v167, v109, v8
	;; [unrolled: 3-line block ×3, first 2 shown]
	ds_read_b128 v[2:5], v129 offset:96
	ds_read_b128 v[6:9], v129 offset:112
	ds_read2_b32 v[108:109], v134 offset1:1
	v_cvt_f32_i32_e32 v21, v147
	v_cvt_f32_i32_e32 v20, v146
	;; [unrolled: 1-line block ×4, first 2 shown]
	s_waitcnt lgkmcnt(0)
	v_mov_b32_e32 v162, v108
	v_pk_mul_f32 v[162:163], v[10:11], v[162:163] op_sel_hi:[0,1]
	v_mov_b32_e32 v14, v109
	v_pk_fma_f32 v[20:21], v[162:163], v[20:21], v[104:105]
	v_pk_mul_f32 v[10:11], v[10:11], v[14:15] op_sel:[1,0]
	v_cvt_f32_i32_e32 v166, v158
	v_pk_fma_f32 v[10:11], v[10:11], v[146:147], v[20:21]
	v_add_u32_e32 v20, 0x20e8, v133
	ds_read2_b32 v[152:153], v133 offset0:26 offset1:27
	ds_read2_b32 v[158:159], v133 offset0:28 offset1:29
	;; [unrolled: 1-line block ×4, first 2 shown]
	ds_read2_b32 v[20:21], v20 offset1:1
	v_cvt_f32_i32_e32 v14, v19
	v_mov_b32_e32 v19, 0
	v_dot4c_i32_i8_e32 v19, v156, v2
	v_cvt_f32_i32_e32 v15, v149
	v_dot4c_i32_i8_e32 v19, v157, v6
	v_mov_b32_e32 v149, 0
	s_waitcnt lgkmcnt(4)
	v_dot4c_i32_i8_e32 v19, v152, v3
	v_dot4c_i32_i8_e32 v149, v154, v2
	v_add_u32_e32 v104, 0x20f0, v133
	v_add_u32_e32 v108, 0x20f8, v133
	;; [unrolled: 1-line block ×3, first 2 shown]
	v_dot4c_i32_i8_e32 v19, v153, v7
	v_dot4c_i32_i8_e32 v149, v155, v6
	ds_read2_b32 v[104:105], v104 offset1:1
	ds_read2_b32 v[108:109], v108 offset1:1
	;; [unrolled: 1-line block ×3, first 2 shown]
	s_waitcnt lgkmcnt(6)
	v_dot4c_i32_i8_e32 v19, v158, v4
	s_waitcnt lgkmcnt(3)
	v_dot4c_i32_i8_e32 v149, v20, v3
	v_dot4c_i32_i8_e32 v19, v159, v8
	;; [unrolled: 1-line block ×4, first 2 shown]
	s_waitcnt lgkmcnt(2)
	v_dot4c_i32_i8_e32 v149, v104, v4
	v_dot4c_i32_i8_e32 v19, v161, v9
	;; [unrolled: 1-line block ×3, first 2 shown]
	s_waitcnt lgkmcnt(1)
	v_dot4c_i32_i8_e32 v149, v108, v5
	v_dot4c_i32_i8_e32 v149, v109, v9
	v_cvt_f32_i32_e32 v20, v19
	v_mov_b32_e32 v19, 0
	s_waitcnt lgkmcnt(0)
	v_dot4c_i32_i8_e32 v19, v146, v2
	v_add_u32_e32 v104, 0x4168, v133
	v_add_u32_e32 v108, 0x4170, v133
	v_add_u32_e32 v146, 0x4178, v133
	v_cvt_f32_i32_e32 v21, v149
	v_dot4c_i32_i8_e32 v19, v147, v6
	ds_read2_b32 v[104:105], v104 offset1:1
	v_add_u32_e32 v149, 0x61e0, v133
	ds_read2_b32 v[108:109], v108 offset1:1
	ds_read2_b32 v[146:147], v146 offset1:1
	;; [unrolled: 1-line block ×3, first 2 shown]
	v_mov_b32_e32 v149, 0
	s_waitcnt lgkmcnt(3)
	v_dot4c_i32_i8_e32 v19, v104, v3
	v_dot4c_i32_i8_e32 v19, v105, v7
	s_waitcnt lgkmcnt(0)
	v_dot4c_i32_i8_e32 v149, v152, v2
	v_add_u32_e32 v2, 0x61e8, v133
	ds_read2_b32 v[104:105], v2 offset1:1
	v_dot4c_i32_i8_e32 v19, v108, v4
	v_add_u32_e32 v2, 0x61f0, v133
	v_dot4c_i32_i8_e32 v19, v109, v8
	ds_read2_b32 v[108:109], v2 offset1:1
	v_dot4c_i32_i8_e32 v19, v146, v5
	v_add_u32_e32 v2, 0x61f8, v133
	v_dot4c_i32_i8_e32 v19, v147, v9
	v_dot4c_i32_i8_e32 v149, v153, v6
	ds_read2_b32 v[146:147], v2 offset1:1
	s_waitcnt lgkmcnt(2)
	v_dot4c_i32_i8_e32 v149, v104, v3
	v_dot4c_i32_i8_e32 v149, v105, v7
	s_waitcnt lgkmcnt(1)
	v_dot4c_i32_i8_e32 v149, v108, v4
	v_dot4c_i32_i8_e32 v149, v109, v8
	;; [unrolled: 3-line block ×3, first 2 shown]
	v_cvt_f32_i32_e32 v4, v167
	v_cvt_f32_i32_e32 v19, v19
	v_mov_b32_e32 v2, v164
	v_cvt_f32_i32_e32 v5, v149
	v_mov_b32_e32 v3, v16
	v_pk_mul_f32 v[8:9], v[12:13], v[110:111]
	v_pk_mul_f32 v[2:3], v[12:13], v[2:3] op_sel_hi:[0,1]
	v_pk_mul_f32 v[4:5], v[8:9], v[4:5]
	v_mov_b32_e32 v8, v13
	v_mov_b32_e32 v16, v165
	v_pk_fma_f32 v[2:3], v[2:3], v[14:15], v[10:11]
	v_pk_mul_f32 v[8:9], v[8:9], v[16:17] op_sel_hi:[0,1]
	v_pk_fma_f32 v[104:105], v[8:9], v[20:21], v[2:3]
	v_mul_f32_e32 v2, v13, v151
	v_mul_f32_e32 v2, v2, v19
	v_mov_b32_e32 v19, v106
	v_mul_f32_e32 v6, v12, v150
	v_pk_add_f32 v[8:9], v[86:87], v[18:19]
	v_mov_b32_e32 v149, v107
	v_mul_f32_e32 v6, v6, v166
	v_pk_add_f32 v[8:9], v[8:9], v[148:149]
	v_mov_b32_e32 v7, v4
	v_pk_add_f32 v[6:7], v[8:9], v[6:7]
	v_mov_b32_e32 v3, v5
	v_pk_add_f32 v[86:87], v[6:7], v[2:3]
	s_barrier
	s_cbranch_scc1 .LBB181_5
; %bb.12:                               ;   in Loop: Header=BB181_6 Depth=1
	v_add_u32_e32 v2, s14, v138
	v_cmp_gt_i32_e64 s[2:3], s5, v2
	s_and_b64 s[22:23], s[0:1], s[2:3]
	s_and_saveexec_b64 s[2:3], s[22:23]
	s_cbranch_execz .LBB181_14
; %bb.13:                               ;   in Loop: Header=BB181_6 Depth=1
	v_add_u32_e32 v2, s14, v139
	v_mad_i64_i32 v[2:3], s[22:23], v2, 36, v[26:27]
	global_load_dword v2, v[2:3], off offset:4
	s_waitcnt vmcnt(0)
	ds_write_b32 v130, v2
.LBB181_14:                             ;   in Loop: Header=BB181_6 Depth=1
	s_or_b64 exec, exec, s[2:3]
	s_and_saveexec_b64 s[22:23], vcc
	s_cbranch_execz .LBB181_4
; %bb.15:                               ;   in Loop: Header=BB181_6 Depth=1
	v_add_u32_e32 v2, 4, v25
	v_cmp_gt_i32_e64 s[2:3], s5, v2
	s_and_b64 s[2:3], s[0:1], s[2:3]
	s_and_b64 exec, exec, s[2:3]
	s_cbranch_execz .LBB181_4
; %bb.16:                               ;   in Loop: Header=BB181_6 Depth=1
	global_load_dword v2, v[28:29], off
	s_waitcnt vmcnt(0)
	v_cvt_f32_f16_e32 v2, v2
	ds_write_b32 v132, v2
	s_branch .LBB181_4
.LBB181_17:
	s_mul_i32 s0, s7, s4
	s_waitcnt vmcnt(0)
	v_cmp_gt_i32_e32 vcc, s0, v1
	s_and_saveexec_b64 s[0:1], vcc
	s_cbranch_execz .LBB181_26
; %bb.18:
	v_and_b32_e32 v0, 0x3ff, v0
	v_add_u32_e32 v2, s24, v0
	v_mul_lo_u32 v0, v1, s6
	v_cmp_gt_u32_e32 vcc, s6, v2
	s_and_saveexec_b64 s[0:1], vcc
	s_cbranch_execz .LBB181_20
; %bb.19:
	v_add_u32_e32 v4, v0, v2
	v_mov_b32_e32 v5, 0
	v_lshl_add_u64 v[4:5], v[4:5], 2, s[12:13]
	global_store_dword v[4:5], v104, off
.LBB181_20:
	s_or_b64 exec, exec, s[0:1]
	v_add_u32_e32 v1, 32, v2
	v_cmp_gt_u32_e32 vcc, s6, v1
	s_and_saveexec_b64 s[0:1], vcc
	s_cbranch_execz .LBB181_22
; %bb.21:
	v_add_u32_e32 v4, v0, v1
	v_mov_b32_e32 v5, 0
	v_lshl_add_u64 v[4:5], v[4:5], 2, s[12:13]
	global_store_dword v[4:5], v105, off
.LBB181_22:
	s_or_b64 exec, exec, s[0:1]
	v_add_u32_e32 v1, 64, v2
	;; [unrolled: 11-line block ×3, first 2 shown]
	v_cmp_gt_u32_e32 vcc, s6, v1
	s_and_b64 exec, exec, vcc
	s_cbranch_execz .LBB181_26
; %bb.25:
	v_add_u32_e32 v0, v0, v1
	v_mov_b32_e32 v1, 0
	v_lshl_add_u64 v[0:1], v[0:1], 2, s[12:13]
	global_store_dword v[0:1], v87, off
.LBB181_26:
	s_endpgm
	.section	.rodata,"a",@progbits
	.p2align	6, 0x0
	.amdhsa_kernel _ZL8moe_q5_0IfLb0EEvPKvS1_PT_PKiS5_S5_iiiiiii
		.amdhsa_group_segment_fixed_size 38656
		.amdhsa_private_segment_fixed_size 0
		.amdhsa_kernarg_size 76
		.amdhsa_user_sgpr_count 2
		.amdhsa_user_sgpr_dispatch_ptr 0
		.amdhsa_user_sgpr_queue_ptr 0
		.amdhsa_user_sgpr_kernarg_segment_ptr 1
		.amdhsa_user_sgpr_dispatch_id 0
		.amdhsa_user_sgpr_kernarg_preload_length 0
		.amdhsa_user_sgpr_kernarg_preload_offset 0
		.amdhsa_user_sgpr_private_segment_size 0
		.amdhsa_uses_dynamic_stack 0
		.amdhsa_enable_private_segment 0
		.amdhsa_system_sgpr_workgroup_id_x 1
		.amdhsa_system_sgpr_workgroup_id_y 1
		.amdhsa_system_sgpr_workgroup_id_z 0
		.amdhsa_system_sgpr_workgroup_info 0
		.amdhsa_system_vgpr_workitem_id 1
		.amdhsa_next_free_vgpr 168
		.amdhsa_next_free_sgpr 96
		.amdhsa_accum_offset 168
		.amdhsa_reserve_vcc 1
		.amdhsa_float_round_mode_32 0
		.amdhsa_float_round_mode_16_64 0
		.amdhsa_float_denorm_mode_32 3
		.amdhsa_float_denorm_mode_16_64 3
		.amdhsa_dx10_clamp 1
		.amdhsa_ieee_mode 1
		.amdhsa_fp16_overflow 0
		.amdhsa_tg_split 0
		.amdhsa_exception_fp_ieee_invalid_op 0
		.amdhsa_exception_fp_denorm_src 0
		.amdhsa_exception_fp_ieee_div_zero 0
		.amdhsa_exception_fp_ieee_overflow 0
		.amdhsa_exception_fp_ieee_underflow 0
		.amdhsa_exception_fp_ieee_inexact 0
		.amdhsa_exception_int_div_zero 0
	.end_amdhsa_kernel
	.section	.text._ZL8moe_q5_0IfLb0EEvPKvS1_PT_PKiS5_S5_iiiiiii,"axG",@progbits,_ZL8moe_q5_0IfLb0EEvPKvS1_PT_PKiS5_S5_iiiiiii,comdat
.Lfunc_end181:
	.size	_ZL8moe_q5_0IfLb0EEvPKvS1_PT_PKiS5_S5_iiiiiii, .Lfunc_end181-_ZL8moe_q5_0IfLb0EEvPKvS1_PT_PKiS5_S5_iiiiiii
                                        ; -- End function
	.set _ZL8moe_q5_0IfLb0EEvPKvS1_PT_PKiS5_S5_iiiiiii.num_vgpr, 168
	.set _ZL8moe_q5_0IfLb0EEvPKvS1_PT_PKiS5_S5_iiiiiii.num_agpr, 0
	.set _ZL8moe_q5_0IfLb0EEvPKvS1_PT_PKiS5_S5_iiiiiii.numbered_sgpr, 29
	.set _ZL8moe_q5_0IfLb0EEvPKvS1_PT_PKiS5_S5_iiiiiii.num_named_barrier, 0
	.set _ZL8moe_q5_0IfLb0EEvPKvS1_PT_PKiS5_S5_iiiiiii.private_seg_size, 0
	.set _ZL8moe_q5_0IfLb0EEvPKvS1_PT_PKiS5_S5_iiiiiii.uses_vcc, 1
	.set _ZL8moe_q5_0IfLb0EEvPKvS1_PT_PKiS5_S5_iiiiiii.uses_flat_scratch, 0
	.set _ZL8moe_q5_0IfLb0EEvPKvS1_PT_PKiS5_S5_iiiiiii.has_dyn_sized_stack, 0
	.set _ZL8moe_q5_0IfLb0EEvPKvS1_PT_PKiS5_S5_iiiiiii.has_recursion, 0
	.set _ZL8moe_q5_0IfLb0EEvPKvS1_PT_PKiS5_S5_iiiiiii.has_indirect_call, 0
	.section	.AMDGPU.csdata,"",@progbits
; Kernel info:
; codeLenInByte = 12852
; TotalNumSgprs: 35
; NumVgprs: 168
; NumAgprs: 0
; TotalNumVgprs: 168
; ScratchSize: 0
; MemoryBound: 0
; FloatMode: 240
; IeeeMode: 1
; LDSByteSize: 38656 bytes/workgroup (compile time only)
; SGPRBlocks: 12
; VGPRBlocks: 20
; NumSGPRsForWavesPerEU: 102
; NumVGPRsForWavesPerEU: 168
; AccumOffset: 168
; Occupancy: 3
; WaveLimiterHint : 1
; COMPUTE_PGM_RSRC2:SCRATCH_EN: 0
; COMPUTE_PGM_RSRC2:USER_SGPR: 2
; COMPUTE_PGM_RSRC2:TRAP_HANDLER: 0
; COMPUTE_PGM_RSRC2:TGID_X_EN: 1
; COMPUTE_PGM_RSRC2:TGID_Y_EN: 1
; COMPUTE_PGM_RSRC2:TGID_Z_EN: 0
; COMPUTE_PGM_RSRC2:TIDIG_COMP_CNT: 1
; COMPUTE_PGM_RSRC3_GFX90A:ACCUM_OFFSET: 41
; COMPUTE_PGM_RSRC3_GFX90A:TG_SPLIT: 0
	.section	.text._ZL8moe_q5_0IfLb1EEvPKvS1_PT_PKiS5_S5_iiiiiii,"axG",@progbits,_ZL8moe_q5_0IfLb1EEvPKvS1_PT_PKiS5_S5_iiiiiii,comdat
	.globl	_ZL8moe_q5_0IfLb1EEvPKvS1_PT_PKiS5_S5_iiiiiii ; -- Begin function _ZL8moe_q5_0IfLb1EEvPKvS1_PT_PKiS5_S5_iiiiiii
	.p2align	8
	.type	_ZL8moe_q5_0IfLb1EEvPKvS1_PT_PKiS5_S5_iiiiiii,@function
_ZL8moe_q5_0IfLb1EEvPKvS1_PT_PKiS5_S5_iiiiiii: ; @_ZL8moe_q5_0IfLb1EEvPKvS1_PT_PKiS5_S5_iiiiiii
; %bb.0:
	s_load_dwordx4 s[4:7], s[0:1], 0x18
	s_mov_b32 s8, s3
	s_mov_b32 s9, 0
	s_lshl_b64 s[10:11], s[8:9], 2
	s_waitcnt lgkmcnt(0)
	s_add_u32 s6, s6, s10
	s_addc_u32 s7, s7, s11
	s_load_dword s3, s[6:7], 0x0
	s_waitcnt lgkmcnt(0)
	s_cmpk_gt_u32 s3, 0xff
	s_cbranch_scc1 .LBB182_26
; %bb.1:
	s_load_dwordx2 s[6:7], s[0:1], 0x28
	s_waitcnt lgkmcnt(0)
	s_load_dword s7, s[6:7], 0x0
	s_lshl_b32 s6, s8, 3
	s_waitcnt lgkmcnt(0)
	s_cmp_gt_u32 s6, s7
	s_cbranch_scc1 .LBB182_26
; %bb.2:
	v_bfe_u32 v2, v0, 10, 10
	v_mov_b32_e32 v4, s4
	v_mov_b32_e32 v5, s5
	v_add_u32_e32 v102, s6, v2
	v_mov_b32_e32 v103, 0
	v_lshl_add_u64 v[4:5], v[102:103], 2, v[4:5]
	global_load_dword v1, v[4:5], off
	s_load_dwordx8 s[4:11], s[0:1], 0x30
	s_load_dwordx2 s[16:17], s[0:1], 0x10
	s_waitcnt lgkmcnt(0)
	s_lshl_b32 s11, s2, 7
	v_mov_b32_e32 v102, v103
	v_mov_b32_e32 v137, v103
	s_cmp_lt_i32 s5, 32
	v_mov_b32_e32 v136, v103
	s_cbranch_scc1 .LBB182_17
; %bb.3:
	s_load_dwordx4 s[12:15], s[0:1], 0x0
	s_ashr_i32 s0, s5, 31
	s_lshr_b32 s0, s0, 27
	s_add_i32 s0, s5, s0
	s_ashr_i32 s26, s0, 5
	s_ashr_i32 s0, s8, 31
	s_lshr_b32 s0, s0, 27
	s_add_i32 s0, s8, s0
	s_ashr_i32 s8, s0, 5
	s_not_b32 s0, s11
	s_mul_i32 s18, s3, s4
	s_add_i32 s3, s6, s0
	v_and_b32_e32 v22, 0x3ff, v0
	v_min_i32_e32 v5, s3, v2
	v_lshlrev_b32_e32 v4, 3, v22
	s_movk_i32 s4, 0x104
	v_mul_lo_u32 v9, v5, s26
	v_mad_u64_u32 v[26:27], s[0:1], v5, s4, v[4:5]
	v_add_u32_e32 v5, 8, v2
	v_min_i32_e32 v5, s3, v5
	v_mul_lo_u32 v10, v5, s26
	v_mad_u64_u32 v[28:29], s[0:1], v5, s4, v[4:5]
	v_add_u32_e32 v5, 16, v2
	v_min_i32_e32 v5, s3, v5
	;; [unrolled: 4-line block ×15, first 2 shown]
	v_bfe_u32 v27, v0, 3, 7
	v_mad_u64_u32 v[56:57], s[0:1], v5, s4, v[4:5]
	v_lshl_add_u32 v4, v2, 2, v27
	v_mul_lo_u32 v55, v5, s26
	v_min_i32_e32 v5, s3, v4
	v_ashrrev_i32_e32 v6, 31, v5
	v_lshrrev_b32_e32 v6, 30, v6
	v_and_b32_e32 v57, 7, v0
	v_mul_lo_u32 v102, v5, s26
	v_add_u32_e32 v6, v5, v6
	v_lshlrev_b32_e32 v104, 5, v5
	v_add_u32_e32 v5, 32, v4
	v_and_b32_e32 v6, -4, v6
	v_lshlrev_b32_e32 v7, 2, v57
	s_mov_b32 s0, 0x8200
	v_min_i32_e32 v5, s3, v5
	v_add3_u32 v103, v6, v7, s0
	v_ashrrev_i32_e32 v6, 31, v5
	v_lshrrev_b32_e32 v6, 30, v6
	v_mul_lo_u32 v105, v5, s26
	v_add_u32_e32 v6, v5, v6
	v_lshlrev_b32_e32 v109, 5, v5
	v_add_u32_e32 v5, 64, v4
	v_and_b32_e32 v6, -4, v6
	v_min_i32_e32 v5, s3, v5
	v_add3_u32 v108, v6, v7, s0
	v_ashrrev_i32_e32 v6, 31, v5
	v_add_u32_e32 v4, 0x60, v4
	v_lshrrev_b32_e32 v6, 30, v6
	v_min_i32_e32 v4, s3, v4
	v_mul_lo_u32 v106, v5, s26
	v_add_u32_e32 v6, v5, v6
	v_lshlrev_b32_e32 v111, 5, v5
	v_ashrrev_i32_e32 v5, 31, v4
	v_lshrrev_b32_e32 v5, 30, v5
	v_add_u32_e32 v5, v4, v5
	v_and_b32_e32 v6, -4, v6
	v_and_b32_e32 v5, -4, v5
	v_add3_u32 v110, v6, v7, s0
	v_add3_u32 v112, v5, v7, s0
	v_mov_b32_e32 v7, 0x9280
	v_and_b32_e32 v6, 31, v0
	v_lshl_add_u32 v29, v2, 7, v7
	s_abs_i32 s3, s10
	v_lshl_or_b32 v31, v6, 2, v29
	v_mov_b32_e32 v6, 0x9680
	v_cvt_f32_u32_e32 v7, s3
	v_lshlrev_b32_e32 v3, 2, v22
	v_lshl_add_u32 v33, v2, 4, v6
	v_and_b32_e32 v24, 12, v3
	v_mul_lo_u32 v107, v4, s26
	v_lshlrev_b32_e32 v113, 5, v4
	v_and_b32_e32 v4, 28, v3
	v_add_u32_e32 v35, v33, v3
	v_and_b32_e32 v2, 0xfc, v0
	v_lshlrev_b32_e32 v3, 5, v22
	v_add3_u32 v37, v3, v2, s0
	v_add_u32_e32 v2, 32, v22
	v_and_b32_e32 v3, 0x1fc, v2
	v_lshlrev_b32_e32 v6, 5, v2
	v_lshrrev_b32_e32 v45, 3, v2
	v_rcp_iflag_f32_e32 v2, v7
	v_add3_u32 v39, v6, v3, s0
	v_add_u32_e32 v3, 64, v22
	v_and_b32_e32 v6, 0x1fc, v3
	v_mul_f32_e32 v2, 0x4f7ffffe, v2
	v_lshlrev_b32_e32 v3, 5, v3
	v_cvt_u32_f32_e32 v2, v2
	v_add3_u32 v41, v3, v6, s0
	v_add_u32_e32 v3, 0x60, v22
	v_and_b32_e32 v6, 0x1fc, v3
	v_lshlrev_b32_e32 v3, 5, v3
	v_add3_u32 v43, v3, v6, s0
	s_sub_i32 s0, 0, s3
	v_mul_lo_u32 v7, s0, v2
	s_waitcnt vmcnt(0)
	v_sub_u32_e32 v6, 0, v1
	v_mul_hi_u32 v7, v2, v7
	v_max_i32_e32 v6, v1, v6
	v_add_u32_e32 v2, v2, v7
	v_mul_hi_u32 v2, v6, v2
	v_mul_lo_u32 v7, v2, s3
	v_sub_u32_e32 v6, v6, v7
	v_add_u32_e32 v7, 1, v2
	v_cmp_le_u32_e64 s[0:1], s3, v6
	v_xor_b32_e32 v3, s10, v1
	v_ashrrev_i32_e32 v3, 31, v3
	v_cndmask_b32_e64 v2, v2, v7, s[0:1]
	v_subrev_u32_e32 v7, s3, v6
	v_cndmask_b32_e64 v6, v6, v7, s[0:1]
	v_add_u32_e32 v7, 1, v2
	v_cmp_le_u32_e64 s[0:1], s3, v6
	v_mov_b32_e32 v25, 0
	v_mov_b32_e32 v5, v25
	v_cndmask_b32_e64 v2, v2, v7, s[0:1]
	v_xor_b32_e32 v2, v2, v3
	v_sub_u32_e32 v2, v2, v3
	v_cmp_gt_i32_e64 s[0:1], s7, v2
	v_mul_lo_u32 v2, v2, s8
	v_ashrrev_i32_e32 v3, 31, v2
	v_mov_b32_e32 v23, v25
	s_mul_i32 s2, s26, s11
	s_waitcnt lgkmcnt(0)
	v_lshl_add_u64 v[58:59], s[14:15], 0, v[4:5]
	v_lshl_add_u64 v[4:5], v[2:3], 0, v[22:23]
	v_mad_u64_u32 v[6:7], s[22:23], v4, 36, s[14:15]
	s_mul_hi_i32 s3, s2, 22
	s_mul_i32 s6, s2, 22
	v_bfe_u32 v8, v0, 2, 8
	v_add_u32_e32 v47, v45, v2
	v_add_u32_e32 v49, v27, v2
	v_mad_i32_i24 v7, v5, 36, v7
	s_mov_b64 s[22:23], 0x90
	v_add_u32_e32 v23, v22, v2
	v_mov_b32_e32 v2, s6
	v_mov_b32_e32 v3, s3
	v_lshl_add_u64 v[60:61], v[6:7], 0, s[22:23]
	v_mad_u64_u32 v[2:3], s[22:23], v8, 22, v[2:3]
	v_mad_i64_i32 v[4:5], s[22:23], v9, 22, v[2:3]
	v_lshl_add_u64 v[6:7], v[4:5], 0, v[24:25]
	v_lshl_add_u64 v[6:7], s[12:13], 0, v[6:7]
	v_lshl_add_u64 v[64:65], s[12:13], 0, v[4:5]
	v_mad_i64_i32 v[4:5], s[22:23], v10, 22, v[2:3]
	v_lshl_add_u64 v[62:63], v[6:7], 0, 6
	v_lshl_add_u64 v[6:7], v[4:5], 0, v[24:25]
	v_lshl_add_u64 v[4:5], s[12:13], 0, v[4:5]
	v_lshl_add_u64 v[6:7], s[12:13], 0, v[6:7]
	v_lshl_add_u64 v[68:69], v[4:5], 0, 2
	v_mad_i64_i32 v[4:5], s[22:23], v11, 22, v[2:3]
	v_lshl_add_u64 v[66:67], v[6:7], 0, 6
	v_lshl_add_u64 v[6:7], v[4:5], 0, v[24:25]
	;; [unrolled: 6-line block ×9, first 2 shown]
	v_lshl_add_u64 v[4:5], s[12:13], 0, v[4:5]
	v_lshl_add_u64 v[6:7], s[12:13], 0, v[6:7]
	;; [unrolled: 1-line block ×3, first 2 shown]
	v_mad_i64_i32 v[4:5], s[22:23], v19, 22, v[2:3]
	v_lshl_add_u64 v[98:99], v[6:7], 0, 6
	v_mad_i64_i32 v[6:7], s[22:23], v20, 22, v[2:3]
	v_mad_i64_i32 v[10:11], s[22:23], v51, 22, v[2:3]
	;; [unrolled: 1-line block ×3, first 2 shown]
	v_add_u32_e32 v51, v103, v104
	v_lshl_add_u64 v[102:103], v[4:5], 0, v[24:25]
	v_lshl_add_u64 v[4:5], s[12:13], 0, v[4:5]
	v_mad_i64_i32 v[8:9], s[22:23], v21, 22, v[2:3]
	v_mad_i64_i32 v[18:19], s[22:23], v106, 22, 0
	;; [unrolled: 1-line block ×3, first 2 shown]
	v_lshl_add_u64 v[106:107], v[4:5], 0, 2
	v_lshl_add_u64 v[4:5], v[6:7], 0, v[24:25]
	;; [unrolled: 1-line block ×3, first 2 shown]
	v_mad_i64_i32 v[12:13], s[22:23], v53, 22, v[2:3]
	v_add_u32_e32 v53, v108, v109
	v_lshl_add_u64 v[108:109], v[4:5], 0, 6
	v_lshl_add_u64 v[4:5], s[12:13], 0, v[6:7]
	v_mad_i64_i32 v[2:3], s[22:23], v55, 22, v[2:3]
	v_mad_i64_i32 v[16:17], s[22:23], v105, 22, 0
	v_add_u32_e32 v55, v110, v111
	v_lshl_add_u64 v[110:111], v[4:5], 0, 2
	v_lshl_add_u64 v[4:5], v[8:9], 0, v[24:25]
	v_mad_i64_i32 v[14:15], s[22:23], s2, 22, v[14:15]
	v_mad_i64_i32 v[16:17], s[22:23], s2, 22, v[16:17]
	;; [unrolled: 1-line block ×4, first 2 shown]
	v_lshl_add_u64 v[4:5], s[12:13], 0, v[4:5]
	v_mad_u64_u32 v[14:15], s[22:23], v57, 22, v[14:15]
	v_mad_u64_u32 v[16:17], s[22:23], v57, 22, v[16:17]
	v_mad_u64_u32 v[18:19], s[22:23], v57, 22, v[18:19]
	v_mad_u64_u32 v[20:21], s[2:3], v57, 22, v[20:21]
	v_add_u32_e32 v57, v112, v113
	v_lshl_add_u64 v[112:113], v[4:5], 0, 6
	v_lshl_add_u64 v[4:5], s[12:13], 0, v[8:9]
	;; [unrolled: 1-line block ×14, first 2 shown]
	v_cmp_gt_u32_e32 vcc, 4, v22
	v_lshl_add_u64 v[102:103], s[12:13], 0, v[102:103]
	v_lshl_add_u64 v[4:5], s[12:13], 0, v[4:5]
	;; [unrolled: 1-line block ×3, first 2 shown]
	s_ashr_i32 s19, s18, 31
	s_mov_b32 s4, 0
	s_and_b64 s[20:21], vcc, s[0:1]
	v_lshl_add_u64 v[104:105], v[102:103], 0, 6
	v_lshl_add_u64 v[124:125], v[4:5], 0, 6
	;; [unrolled: 1-line block ×7, first 2 shown]
	s_movk_i32 s6, 0x80
	s_movk_i32 s27, 0x1f00
	s_mov_b32 s28, 0xc0c0105
	s_mov_b64 s[12:13], 0x120
	s_mov_b64 s[22:23], 0xb0
	v_mov_b32_e32 v136, v25
	v_mov_b32_e32 v137, v25
	;; [unrolled: 1-line block ×4, first 2 shown]
	v_mul_u32_u24_e32 v25, 0x104, v22
	v_mov_b32_e32 v144, 8
	s_branch .LBB182_6
.LBB182_4:                              ;   in Loop: Header=BB182_6 Depth=1
	s_or_b64 exec, exec, s[24:25]
	s_waitcnt lgkmcnt(0)
	s_barrier
	ds_read_b128 v[14:17], v29
	ds_read_b128 v[18:21], v29 offset:16
	ds_read2_b32 v[138:139], v25 offset0:32 offset1:33
	ds_read_b128 v[2:5], v29 offset:32
	ds_read_b128 v[6:9], v29 offset:48
	ds_read_b128 v[10:13], v33
	ds_read2_b32 v[142:143], v25 offset0:34 offset1:35
	v_mov_b32_e32 v145, 0
	s_waitcnt lgkmcnt(4)
	v_dot4c_i32_i8_e32 v145, v138, v14
	v_dot4c_i32_i8_e32 v145, v139, v18
	ds_read2_b32 v[138:139], v25 offset0:36 offset1:37
	ds_read2_b32 v[146:147], v25 offset0:38 offset1:39
	;; [unrolled: 1-line block ×3, first 2 shown]
	s_waitcnt lgkmcnt(3)
	v_dot4c_i32_i8_e32 v145, v142, v15
	v_dot4c_i32_i8_e32 v145, v143, v19
	s_waitcnt lgkmcnt(2)
	v_dot4c_i32_i8_e32 v145, v138, v16
	v_add_u32_e32 v138, 0x2100, v25
	v_dot4c_i32_i8_e32 v145, v139, v20
	ds_read2_b32 v[148:149], v138 offset1:1
	s_waitcnt lgkmcnt(2)
	v_dot4c_i32_i8_e32 v145, v146, v17
	v_add_u32_e32 v146, 0x2108, v25
	v_dot4c_i32_i8_e32 v145, v147, v21
	ds_read2_b32 v[138:139], v43 offset0:4 offset1:5
	ds_read2_b32 v[142:143], v43 offset0:6 offset1:7
	ds_read2_b32 v[146:147], v146 offset1:1
	v_mov_b32_e32 v156, 0
	s_waitcnt lgkmcnt(3)
	v_dot4c_i32_i8_e32 v156, v148, v14
	v_add_u32_e32 v148, 0x2110, v25
	v_add_u32_e32 v150, 0x2118, v25
	;; [unrolled: 1-line block ×3, first 2 shown]
	v_dot4c_i32_i8_e32 v156, v149, v18
	ds_read2_b32 v[148:149], v148 offset1:1
	ds_read2_b32 v[150:151], v150 offset1:1
	;; [unrolled: 1-line block ×3, first 2 shown]
	s_waitcnt lgkmcnt(3)
	v_dot4c_i32_i8_e32 v156, v146, v15
	v_dot4c_i32_i8_e32 v156, v147, v19
	s_waitcnt lgkmcnt(2)
	v_dot4c_i32_i8_e32 v156, v148, v16
	v_dot4c_i32_i8_e32 v156, v149, v20
	v_mov_b32_e32 v157, 0
	s_waitcnt lgkmcnt(1)
	v_dot4c_i32_i8_e32 v156, v150, v17
	s_waitcnt lgkmcnt(0)
	v_dot4c_i32_i8_e32 v157, v152, v14
	v_add_u32_e32 v148, 0x4188, v25
	v_add_u32_e32 v150, 0x4190, v25
	;; [unrolled: 1-line block ×4, first 2 shown]
	v_dot4c_i32_i8_e32 v156, v151, v21
	ds_read2_b32 v[146:147], v41 offset0:4 offset1:5
	ds_read2_b32 v[148:149], v148 offset1:1
	v_dot4c_i32_i8_e32 v157, v153, v18
	ds_read2_b32 v[150:151], v150 offset1:1
	ds_read2_b32 v[152:153], v152 offset1:1
	;; [unrolled: 1-line block ×3, first 2 shown]
	v_mov_b32_e32 v158, 0
	v_mov_b32_e32 v159, 0
	s_waitcnt lgkmcnt(3)
	v_dot4c_i32_i8_e32 v157, v148, v15
	v_dot4c_i32_i8_e32 v157, v149, v19
	s_waitcnt lgkmcnt(0)
	v_dot4c_i32_i8_e32 v158, v154, v14
	v_add_u32_e32 v14, 0x6208, v25
	ds_read2_b32 v[148:149], v14 offset1:1
	v_dot4c_i32_i8_e32 v157, v150, v16
	v_dot4c_i32_i8_e32 v157, v151, v20
	;; [unrolled: 1-line block ×3, first 2 shown]
	v_add_u32_e32 v14, 0x6210, v25
	v_add_u32_e32 v154, 0x2120, v25
	v_dot4c_i32_i8_e32 v157, v153, v21
	v_dot4c_i32_i8_e32 v158, v155, v18
	v_add_u32_e32 v18, 0x6218, v25
	ds_read2_b32 v[150:151], v14 offset1:1
	ds_read2_b32 v[152:153], v18 offset1:1
	;; [unrolled: 1-line block ×3, first 2 shown]
	s_waitcnt lgkmcnt(3)
	v_dot4c_i32_i8_e32 v158, v148, v15
	v_dot4c_i32_i8_e32 v158, v149, v19
	ds_read2_b32 v[14:15], v25 offset0:42 offset1:43
	s_waitcnt lgkmcnt(3)
	v_dot4c_i32_i8_e32 v158, v150, v16
	v_dot4c_i32_i8_e32 v158, v151, v20
	s_waitcnt lgkmcnt(2)
	v_dot4c_i32_i8_e32 v158, v152, v17
	v_dot4c_i32_i8_e32 v159, v140, v2
	;; [unrolled: 1-line block ×4, first 2 shown]
	ds_read2_b32 v[16:17], v25 offset0:44 offset1:45
	ds_read2_b32 v[18:19], v25 offset0:46 offset1:47
	;; [unrolled: 1-line block ×3, first 2 shown]
	s_waitcnt lgkmcnt(3)
	v_dot4c_i32_i8_e32 v159, v14, v3
	v_add_u32_e32 v14, 0x2128, v25
	v_dot4c_i32_i8_e32 v159, v15, v7
	ds_read2_b32 v[14:15], v14 offset1:1
	s_waitcnt lgkmcnt(3)
	v_dot4c_i32_i8_e32 v159, v16, v4
	v_dot4c_i32_i8_e32 v159, v17, v8
	v_mov_b32_e32 v160, 0
	s_waitcnt lgkmcnt(2)
	v_dot4c_i32_i8_e32 v159, v18, v5
	v_dot4c_i32_i8_e32 v160, v154, v2
	v_add_u32_e32 v16, 0x2130, v25
	v_add_u32_e32 v18, 0x2138, v25
	;; [unrolled: 1-line block ×3, first 2 shown]
	v_dot4c_i32_i8_e32 v159, v19, v9
	v_dot4c_i32_i8_e32 v160, v155, v6
	ds_read2_b32 v[16:17], v16 offset1:1
	ds_read2_b32 v[18:19], v18 offset1:1
	;; [unrolled: 1-line block ×3, first 2 shown]
	s_waitcnt lgkmcnt(3)
	v_dot4c_i32_i8_e32 v160, v14, v3
	v_add_u32_e32 v14, 0x41a8, v25
	v_dot4c_i32_i8_e32 v160, v15, v7
	ds_read2_b32 v[14:15], v14 offset1:1
	s_waitcnt lgkmcnt(3)
	v_dot4c_i32_i8_e32 v160, v16, v4
	v_dot4c_i32_i8_e32 v160, v17, v8
	v_mov_b32_e32 v148, 0
	s_waitcnt lgkmcnt(2)
	v_dot4c_i32_i8_e32 v160, v18, v5
	s_waitcnt lgkmcnt(1)
	v_dot4c_i32_i8_e32 v148, v140, v2
	v_add_u32_e32 v16, 0x41b0, v25
	v_add_u32_e32 v18, 0x41b8, v25
	;; [unrolled: 1-line block ×3, first 2 shown]
	v_dot4c_i32_i8_e32 v160, v19, v9
	v_dot4c_i32_i8_e32 v148, v141, v6
	ds_read2_b32 v[16:17], v16 offset1:1
	ds_read2_b32 v[18:19], v18 offset1:1
	;; [unrolled: 1-line block ×3, first 2 shown]
	s_waitcnt lgkmcnt(3)
	v_dot4c_i32_i8_e32 v148, v14, v3
	v_dot4c_i32_i8_e32 v148, v15, v7
	s_waitcnt lgkmcnt(2)
	v_dot4c_i32_i8_e32 v148, v16, v4
	v_dot4c_i32_i8_e32 v148, v17, v8
	;; [unrolled: 3-line block ×3, first 2 shown]
	v_cvt_f32_i32_e32 v157, v157
	v_mov_b32_e32 v167, 0
	s_nop 0
	v_cvt_f32_i32_e32 v150, v148
	v_mov_b32_e32 v148, 0
	s_waitcnt lgkmcnt(0)
	v_dot4c_i32_i8_e32 v148, v140, v2
	v_add_u32_e32 v2, 0x6228, v25
	ds_read2_b32 v[14:15], v2 offset1:1
	v_add_u32_e32 v2, 0x6230, v25
	v_add_u32_e32 v140, 0x2140, v25
	v_dot4c_i32_i8_e32 v148, v141, v6
	v_add_u32_e32 v6, 0x6238, v25
	ds_read2_b32 v[16:17], v2 offset1:1
	ds_read2_b32 v[18:19], v6 offset1:1
	ds_read2_b32 v[140:141], v140 offset1:1
	s_waitcnt lgkmcnt(3)
	v_dot4c_i32_i8_e32 v148, v14, v3
	v_dot4c_i32_i8_e32 v148, v15, v7
	s_waitcnt lgkmcnt(2)
	v_dot4c_i32_i8_e32 v148, v16, v4
	v_dot4c_i32_i8_e32 v148, v17, v8
	;; [unrolled: 3-line block ×3, first 2 shown]
	v_cvt_f32_i32_e32 v2, v158
	v_mul_f32_e32 v4, v10, v146
	v_mul_f32_e32 v18, v4, v157
	v_cvt_f32_i32_e32 v3, v148
	v_pk_mul_f32 v[4:5], v[10:11], v[138:139]
	ds_read2_b32 v[14:15], v39 offset0:4 offset1:5
	ds_read2_b32 v[16:17], v39 offset0:6 offset1:7
	;; [unrolled: 1-line block ×3, first 2 shown]
	ds_read_b128 v[6:9], v29 offset:80
	v_pk_mul_f32 v[138:139], v[4:5], v[2:3]
	ds_read_b128 v[2:5], v29 offset:64
	v_mul_f32_e32 v19, v11, v147
	v_mul_f32_e32 v146, v19, v150
	ds_read2_b32 v[150:151], v25 offset0:50 offset1:51
	v_mov_b32_e32 v19, 0
	s_waitcnt lgkmcnt(1)
	v_dot4c_i32_i8_e32 v19, v20, v2
	v_dot4c_i32_i8_e32 v19, v21, v6
	ds_read2_b32 v[20:21], v25 offset0:52 offset1:53
	ds_read2_b32 v[152:153], v25 offset0:54 offset1:55
	;; [unrolled: 1-line block ×3, first 2 shown]
	s_waitcnt lgkmcnt(3)
	v_dot4c_i32_i8_e32 v19, v150, v3
	v_dot4c_i32_i8_e32 v19, v151, v7
	s_waitcnt lgkmcnt(2)
	v_dot4c_i32_i8_e32 v19, v20, v4
	v_add_u32_e32 v20, 0x2148, v25
	v_dot4c_i32_i8_e32 v19, v21, v8
	ds_read2_b32 v[20:21], v20 offset1:1
	v_mov_b32_e32 v147, 0
	s_waitcnt lgkmcnt(2)
	v_dot4c_i32_i8_e32 v19, v152, v5
	v_dot4c_i32_i8_e32 v147, v140, v2
	v_add_u32_e32 v140, 0x2150, v25
	v_add_u32_e32 v150, 0x2158, v25
	;; [unrolled: 1-line block ×3, first 2 shown]
	v_dot4c_i32_i8_e32 v19, v153, v9
	v_dot4c_i32_i8_e32 v147, v141, v6
	ds_read2_b32 v[140:141], v140 offset1:1
	ds_read2_b32 v[150:151], v150 offset1:1
	;; [unrolled: 1-line block ×3, first 2 shown]
	s_waitcnt lgkmcnt(3)
	v_dot4c_i32_i8_e32 v147, v20, v3
	v_dot4c_i32_i8_e32 v147, v21, v7
	s_waitcnt lgkmcnt(2)
	v_dot4c_i32_i8_e32 v147, v140, v4
	v_dot4c_i32_i8_e32 v147, v141, v8
	v_mov_b32_e32 v157, 0
	s_waitcnt lgkmcnt(1)
	v_dot4c_i32_i8_e32 v147, v150, v5
	s_waitcnt lgkmcnt(0)
	v_dot4c_i32_i8_e32 v157, v152, v2
	v_add_u32_e32 v20, 0x41c8, v25
	v_add_u32_e32 v140, 0x41d0, v25
	;; [unrolled: 1-line block ×4, first 2 shown]
	v_dot4c_i32_i8_e32 v147, v151, v9
	v_dot4c_i32_i8_e32 v157, v153, v6
	ds_read2_b32 v[20:21], v20 offset1:1
	ds_read2_b32 v[140:141], v140 offset1:1
	;; [unrolled: 1-line block ×4, first 2 shown]
	v_mov_b32_e32 v163, v14
	s_waitcnt lgkmcnt(3)
	v_dot4c_i32_i8_e32 v157, v20, v3
	s_waitcnt lgkmcnt(0)
	v_dot4c_i32_i8_e32 v167, v152, v2
	v_add_u32_e32 v2, 0x6248, v25
	v_dot4c_i32_i8_e32 v157, v21, v7
	ds_read2_b32 v[20:21], v2 offset1:1
	v_dot4c_i32_i8_e32 v157, v140, v4
	v_dot4c_i32_i8_e32 v157, v141, v8
	;; [unrolled: 1-line block ×3, first 2 shown]
	v_add_u32_e32 v2, 0x6250, v25
	v_add_u32_e32 v152, 0x2160, v25
	v_dot4c_i32_i8_e32 v157, v151, v9
	v_dot4c_i32_i8_e32 v167, v153, v6
	v_add_u32_e32 v6, 0x6258, v25
	ds_read2_b32 v[140:141], v2 offset1:1
	ds_read2_b32 v[150:151], v6 offset1:1
	ds_read2_b32 v[152:153], v152 offset1:1
	s_waitcnt lgkmcnt(3)
	v_dot4c_i32_i8_e32 v167, v20, v3
	v_dot4c_i32_i8_e32 v167, v21, v7
	s_waitcnt lgkmcnt(2)
	v_dot4c_i32_i8_e32 v167, v140, v4
	v_dot4c_i32_i8_e32 v167, v141, v8
	;; [unrolled: 3-line block ×3, first 2 shown]
	ds_read_b128 v[2:5], v29 offset:96
	ds_read_b128 v[6:9], v29 offset:112
	ds_read2_b32 v[140:141], v37 offset0:4 offset1:5
	v_cvt_f32_i32_e32 v166, v157
	v_cvt_f32_i32_e32 v21, v156
	v_cvt_f32_i32_e32 v151, v160
	v_cvt_f32_i32_e32 v150, v159
	s_waitcnt lgkmcnt(0)
	v_mov_b32_e32 v162, v140
	v_mov_b32_e32 v14, v141
	v_add_u32_e32 v140, 0x2168, v25
	ds_read2_b32 v[156:157], v25 offset0:58 offset1:59
	ds_read2_b32 v[158:159], v25 offset0:60 offset1:61
	;; [unrolled: 1-line block ×4, first 2 shown]
	ds_read2_b32 v[140:141], v140 offset1:1
	v_pk_mul_f32 v[162:163], v[10:11], v[162:163] op_sel_hi:[0,1]
	v_pk_mul_f32 v[10:11], v[10:11], v[14:15] op_sel:[1,0]
	v_cvt_f32_i32_e32 v14, v19
	v_mov_b32_e32 v19, 0
	v_dot4c_i32_i8_e32 v19, v154, v2
	v_cvt_f32_i32_e32 v20, v145
	v_dot4c_i32_i8_e32 v19, v155, v6
	v_mov_b32_e32 v145, 0
	v_cvt_f32_i32_e32 v15, v147
	s_waitcnt lgkmcnt(4)
	v_dot4c_i32_i8_e32 v19, v156, v3
	v_dot4c_i32_i8_e32 v145, v152, v2
	v_add_u32_e32 v147, 0x2170, v25
	v_add_u32_e32 v154, 0x2178, v25
	;; [unrolled: 1-line block ×3, first 2 shown]
	v_dot4c_i32_i8_e32 v19, v157, v7
	v_dot4c_i32_i8_e32 v145, v153, v6
	ds_read2_b32 v[152:153], v147 offset1:1
	ds_read2_b32 v[154:155], v154 offset1:1
	;; [unrolled: 1-line block ×3, first 2 shown]
	s_waitcnt lgkmcnt(3)
	v_dot4c_i32_i8_e32 v145, v140, v3
	v_dot4c_i32_i8_e32 v145, v141, v7
	;; [unrolled: 1-line block ×3, first 2 shown]
	s_waitcnt lgkmcnt(2)
	v_dot4c_i32_i8_e32 v145, v152, v4
	v_dot4c_i32_i8_e32 v19, v159, v8
	;; [unrolled: 1-line block ×4, first 2 shown]
	s_waitcnt lgkmcnt(1)
	v_dot4c_i32_i8_e32 v145, v154, v5
	v_dot4c_i32_i8_e32 v19, v161, v9
	;; [unrolled: 1-line block ×3, first 2 shown]
	v_add_u32_e32 v158, 0x6260, v25
	v_add_u32_e32 v147, 0x41f8, v25
	v_cvt_f32_i32_e32 v140, v19
	v_cvt_f32_i32_e32 v141, v145
	v_mov_b32_e32 v19, 0
	v_add_u32_e32 v145, 0x41e8, v25
	s_waitcnt lgkmcnt(0)
	v_dot4c_i32_i8_e32 v19, v156, v2
	ds_read2_b32 v[152:153], v145 offset1:1
	v_add_u32_e32 v145, 0x41f0, v25
	v_dot4c_i32_i8_e32 v19, v157, v6
	ds_read2_b32 v[154:155], v145 offset1:1
	ds_read2_b32 v[156:157], v147 offset1:1
	;; [unrolled: 1-line block ×3, first 2 shown]
	v_mov_b32_e32 v145, 0
	s_waitcnt lgkmcnt(3)
	v_dot4c_i32_i8_e32 v19, v152, v3
	v_dot4c_i32_i8_e32 v19, v153, v7
	s_waitcnt lgkmcnt(2)
	v_dot4c_i32_i8_e32 v19, v154, v4
	s_waitcnt lgkmcnt(0)
	v_dot4c_i32_i8_e32 v145, v158, v2
	v_add_u32_e32 v2, 0x6268, v25
	ds_read2_b32 v[152:153], v2 offset1:1
	v_add_u32_e32 v2, 0x6270, v25
	v_dot4c_i32_i8_e32 v19, v155, v8
	ds_read2_b32 v[154:155], v2 offset1:1
	v_dot4c_i32_i8_e32 v19, v156, v5
	v_add_u32_e32 v2, 0x6278, v25
	v_dot4c_i32_i8_e32 v19, v157, v9
	v_dot4c_i32_i8_e32 v145, v159, v6
	ds_read2_b32 v[156:157], v2 offset1:1
	s_waitcnt lgkmcnt(2)
	v_dot4c_i32_i8_e32 v145, v152, v3
	v_dot4c_i32_i8_e32 v145, v153, v7
	s_waitcnt lgkmcnt(1)
	v_dot4c_i32_i8_e32 v145, v154, v4
	v_dot4c_i32_i8_e32 v145, v155, v8
	;; [unrolled: 3-line block ×3, first 2 shown]
	v_cvt_f32_i32_e32 v19, v19
	v_cvt_f32_i32_e32 v4, v167
	v_mov_b32_e32 v2, v164
	v_cvt_f32_i32_e32 v5, v145
	v_mov_b32_e32 v3, v16
	v_pk_mul_f32 v[8:9], v[12:13], v[142:143]
	v_mul_f32_e32 v7, v13, v149
	v_pk_mul_f32 v[2:3], v[12:13], v[2:3] op_sel_hi:[0,1]
	v_mul_f32_e32 v6, v12, v148
	v_pk_mul_f32 v[4:5], v[8:9], v[4:5]
	v_mov_b32_e32 v8, v13
	v_mov_b32_e32 v16, v165
	v_mul_f32_e32 v12, v7, v19
	v_mov_b32_e32 v19, v138
	v_pk_mul_f32 v[8:9], v[8:9], v[16:17] op_sel_hi:[0,1]
	v_mov_b32_e32 v147, v139
	v_mov_b32_e32 v7, v4
	v_mov_b32_e32 v13, v5
	v_pk_fma_f32 v[4:5], v[162:163], v[20:21], v[136:137]
	v_pk_add_f32 v[16:17], v[102:103], v[18:19]
	v_mul_f32_e32 v6, v6, v166
	v_pk_fma_f32 v[4:5], v[10:11], v[150:151], v[4:5]
	v_pk_add_f32 v[10:11], v[16:17], v[146:147]
	v_pk_fma_f32 v[2:3], v[2:3], v[14:15], v[4:5]
	v_pk_add_f32 v[4:5], v[10:11], v[6:7]
	;; [unrolled: 2-line block ×3, first 2 shown]
	s_barrier
.LBB182_5:                              ;   in Loop: Header=BB182_6 Depth=1
	s_add_i32 s4, s4, 8
	s_addk_i32 s6, 0x100
	v_lshl_add_u64 v[60:61], v[60:61], 0, s[12:13]
	v_lshl_add_u64 v[62:63], v[62:63], 0, s[22:23]
	;; [unrolled: 1-line block ×36, first 2 shown]
	s_cmp_ge_i32 s4, s26
	v_lshl_add_u64 v[134:135], v[134:135], 0, s[22:23]
	s_cbranch_scc1 .LBB182_17
.LBB182_6:                              ; =>This Inner Loop Header: Depth=1
	v_lshl_add_u64 v[2:3], v[62:63], 0, s[18:19]
	global_load_dword v10, v[2:3], off
	v_lshl_add_u64 v[2:3], v[64:65], 0, s[18:19]
	global_load_dword v11, v[2:3], off offset:2
	v_lshl_add_u64 v[4:5], v[68:69], 0, s[18:19]
	v_lshl_add_u64 v[2:3], v[66:67], 0, s[18:19]
	global_load_dword v12, v[4:5], off
	global_load_dword v13, v[2:3], off
	v_lshl_add_u64 v[2:3], v[70:71], 0, s[18:19]
	v_lshl_add_u64 v[6:7], v[74:75], 0, s[18:19]
	;; [unrolled: 1-line block ×4, first 2 shown]
	global_load_dword v14, v[2:3], off
	s_nop 0
	global_load_dword v2, v[4:5], off
	s_nop 0
	global_load_dword v6, v[6:7], off
	s_nop 0
	global_load_dword v7, v[8:9], off
	s_add_i32 s2, s6, 0xffffff80
	s_cmp_lt_i32 s2, s5
	s_waitcnt vmcnt(7)
	v_and_b32_e32 v4, 0xf0f0f0f, v10
	v_lshrrev_b32_e32 v5, 4, v10
	s_waitcnt vmcnt(6)
	v_ashrrev_i32_e32 v3, v24, v11
	v_lshlrev_b32_e32 v11, 4, v3
	s_waitcnt vmcnt(5)
	v_ashrrev_i32_e32 v8, v24, v12
	s_waitcnt vmcnt(4)
	v_and_b32_e32 v9, 0xf0f0f0f, v13
	v_lshrrev_b32_e32 v10, 4, v13
	v_lshlrev_b32_e32 v12, 11, v3
	v_lshlrev_b32_e32 v13, 18, v3
	;; [unrolled: 1-line block ×3, first 2 shown]
	v_lshrrev_b32_e32 v16, 12, v3
	v_lshrrev_b32_e32 v17, 5, v3
	v_and_b32_e32 v5, 0xf0f0f0f, v5
	v_lshlrev_b32_e32 v18, 2, v3
	v_lshlrev_b32_e32 v3, 9, v3
	;; [unrolled: 1-line block ×6, first 2 shown]
	v_and_b32_e32 v11, 16, v11
	v_and_b32_e32 v12, 0x1000, v12
	;; [unrolled: 1-line block ×12, first 2 shown]
	v_or3_b32 v11, v11, v4, v12
	v_or3_b32 v4, v4, v13, v15
	;; [unrolled: 1-line block ×6, first 2 shown]
	v_and_b32_e32 v13, 0x1f00, v11
	v_lshlrev_b16_e32 v11, 8, v11
	v_and_b32_sdwa v15, v4, s27 dst_sel:DWORD dst_unused:UNUSED_PAD src0_sel:WORD_1 src1_sel:DWORD
	v_lshlrev_b16_sdwa v4, v144, v4 dst_sel:DWORD dst_unused:UNUSED_PAD src0_sel:DWORD src1_sel:WORD_1
	v_lshlrev_b16_e32 v17, 8, v12
	v_and_b32_e32 v18, 0x1f00, v5
	v_lshlrev_b16_e32 v5, 8, v5
	v_and_b32_sdwa v19, v9, s27 dst_sel:DWORD dst_unused:UNUSED_PAD src0_sel:WORD_1 src1_sel:DWORD
	v_lshlrev_b16_sdwa v9, v144, v9 dst_sel:DWORD dst_unused:UNUSED_PAD src0_sel:DWORD src1_sel:WORD_1
	v_add_u16_e32 v13, 0xf000, v13
	v_add_u16_e32 v11, 0xf000, v11
	;; [unrolled: 1-line block ×5, first 2 shown]
	v_and_b32_sdwa v16, v3, s27 dst_sel:DWORD dst_unused:UNUSED_PAD src0_sel:WORD_1 src1_sel:DWORD
	v_lshlrev_b16_sdwa v3, v144, v3 dst_sel:DWORD dst_unused:UNUSED_PAD src0_sel:DWORD src1_sel:WORD_1
	v_add_u16_e32 v18, 0xf000, v18
	v_add_u16_e32 v5, 0xf000, v5
	;; [unrolled: 1-line block ×4, first 2 shown]
	v_perm_b32 v11, v11, v13, s28
	v_perm_b32 v4, v4, v15, s28
	v_lshrrev_b16_e32 v13, 8, v17
	v_add_u16_e32 v16, 0xf000, v16
	v_add_u16_e32 v3, 0xf000, v3
	v_perm_b32 v5, v5, v18, s28
	v_perm_b32 v9, v9, v19, s28
	v_lshl_or_b32 v4, v4, 16, v11
	v_bitop3_b16 v11, v12, v13, s27 bitop3:0xec
	v_perm_b32 v3, v3, v16, s28
	v_lshl_or_b32 v5, v9, 16, v5
	v_add_u16_e32 v9, 0xf000, v11
	v_lshl_or_b32 v3, v3, 16, v9
	v_lshrrev_b32_e32 v139, 12, v8
	v_lshrrev_b32_e32 v140, 5, v8
	ds_write2_b32 v26, v4, v3 offset1:1
	v_lshlrev_b32_e32 v4, 2, v8
	v_lshlrev_b32_e32 v8, 9, v8
	v_and_b32_e32 v10, 0xf0f0f0f, v10
	v_and_b32_e32 v4, 0x100000, v4
	;; [unrolled: 1-line block ×3, first 2 shown]
	v_or3_b32 v4, v10, v4, v8
	v_and_b32_e32 v139, 16, v139
	v_and_b32_e32 v140, 0x1000, v140
	v_and_b32_sdwa v8, v4, s27 dst_sel:DWORD dst_unused:UNUSED_PAD src0_sel:WORD_1 src1_sel:DWORD
	v_lshlrev_b16_sdwa v4, v144, v4 dst_sel:DWORD dst_unused:UNUSED_PAD src0_sel:DWORD src1_sel:WORD_1
	v_or3_b32 v3, v139, v10, v140
	v_add_u16_e32 v8, 0xf000, v8
	v_add_u16_e32 v4, 0xf000, v4
	v_perm_b32 v4, v4, v8, s28
	v_lshlrev_b16_e32 v8, 8, v3
	v_add_u16_e32 v8, 0xf000, v8
	v_lshrrev_b16_e32 v8, 8, v8
	v_bitop3_b16 v3, v3, v8, s27 bitop3:0xec
	v_add_u16_e32 v3, 0xf000, v3
	v_lshl_or_b32 v3, v4, 16, v3
	s_waitcnt vmcnt(2)
	v_ashrrev_i32_e32 v8, v24, v2
	ds_write2_b32 v28, v5, v3 offset1:1
	v_lshlrev_b32_e32 v3, 4, v8
	v_lshlrev_b32_e32 v4, 11, v8
	v_and_b32_e32 v2, 0xf0f0f0f, v14
	v_and_b32_e32 v3, 16, v3
	;; [unrolled: 1-line block ×3, first 2 shown]
	v_or3_b32 v3, v3, v2, v4
	v_lshlrev_b32_e32 v4, 18, v8
	v_lshlrev_b32_e32 v5, 25, v8
	v_and_b32_e32 v4, 0x100000, v4
	v_and_b32_e32 v5, 0x10000000, v5
	v_or3_b32 v2, v2, v4, v5
	v_and_b32_e32 v4, 0x1f00, v3
	v_lshlrev_b16_e32 v3, 8, v3
	v_add_u16_e32 v4, 0xf000, v4
	v_add_u16_e32 v3, 0xf000, v3
	v_perm_b32 v9, v3, v4, s28
	v_and_b32_sdwa v3, v2, s27 dst_sel:DWORD dst_unused:UNUSED_PAD src0_sel:WORD_1 src1_sel:DWORD
	v_lshl_add_u64 v[4:5], v[80:81], 0, s[18:19]
	v_add_u16_e32 v10, 0xf000, v3
	v_lshlrev_b16_sdwa v11, v144, v2 dst_sel:DWORD dst_unused:UNUSED_PAD src0_sel:DWORD src1_sel:WORD_1
	v_lshl_add_u64 v[2:3], v[78:79], 0, s[18:19]
	global_load_dword v12, v[4:5], off
	global_load_dword v13, v[2:3], off
	v_lshrrev_b32_e32 v3, 4, v14
	v_lshrrev_b32_e32 v4, 12, v8
	;; [unrolled: 1-line block ×3, first 2 shown]
	v_and_b32_e32 v3, 0xf0f0f0f, v3
	v_and_b32_e32 v4, 16, v4
	;; [unrolled: 1-line block ×3, first 2 shown]
	v_or3_b32 v4, v4, v3, v5
	v_lshlrev_b32_e32 v5, 2, v8
	v_lshlrev_b32_e32 v8, 9, v8
	v_and_b32_e32 v5, 0x100000, v5
	v_and_b32_e32 v8, 0x10000000, v8
	v_or3_b32 v3, v3, v5, v8
	v_and_b32_sdwa v5, v3, s27 dst_sel:DWORD dst_unused:UNUSED_PAD src0_sel:WORD_1 src1_sel:DWORD
	v_lshlrev_b16_sdwa v3, v144, v3 dst_sel:DWORD dst_unused:UNUSED_PAD src0_sel:DWORD src1_sel:WORD_1
	v_add_u16_e32 v5, 0xf000, v5
	v_add_u16_e32 v3, 0xf000, v3
	v_perm_b32 v3, v3, v5, s28
	v_lshlrev_b16_e32 v5, 8, v4
	v_add_u16_e32 v5, 0xf000, v5
	v_lshrrev_b16_e32 v5, 8, v5
	v_add_u16_e32 v2, 0xf000, v11
	v_bitop3_b16 v4, v4, v5, s27 bitop3:0xec
	v_perm_b32 v2, v2, v10, s28
	v_add_u16_e32 v4, 0xf000, v4
	v_lshl_or_b32 v2, v2, 16, v9
	v_lshl_or_b32 v3, v3, 16, v4
	s_waitcnt vmcnt(2)
	v_ashrrev_i32_e32 v7, v24, v7
	ds_write2_b32 v30, v2, v3 offset1:1
	v_lshlrev_b32_e32 v3, 4, v7
	v_lshlrev_b32_e32 v4, 11, v7
	v_and_b32_e32 v2, 0xf0f0f0f, v6
	v_and_b32_e32 v3, 16, v3
	v_and_b32_e32 v4, 0x1000, v4
	v_or3_b32 v3, v3, v2, v4
	v_lshlrev_b32_e32 v4, 18, v7
	v_lshlrev_b32_e32 v5, 25, v7
	v_and_b32_e32 v4, 0x100000, v4
	v_and_b32_e32 v5, 0x10000000, v5
	v_or3_b32 v2, v2, v4, v5
	v_and_b32_e32 v4, 0x1f00, v3
	v_lshlrev_b16_e32 v3, 8, v3
	v_add_u16_e32 v4, 0xf000, v4
	v_add_u16_e32 v3, 0xf000, v3
	v_perm_b32 v8, v3, v4, s28
	v_and_b32_sdwa v3, v2, s27 dst_sel:DWORD dst_unused:UNUSED_PAD src0_sel:WORD_1 src1_sel:DWORD
	v_lshl_add_u64 v[4:5], v[84:85], 0, s[18:19]
	v_add_u16_e32 v9, 0xf000, v3
	v_lshlrev_b16_sdwa v10, v144, v2 dst_sel:DWORD dst_unused:UNUSED_PAD src0_sel:DWORD src1_sel:WORD_1
	v_lshl_add_u64 v[2:3], v[82:83], 0, s[18:19]
	global_load_dword v11, v[4:5], off
	global_load_dword v14, v[2:3], off
	v_lshrrev_b32_e32 v3, 4, v6
	v_lshrrev_b32_e32 v4, 12, v7
	v_lshrrev_b32_e32 v5, 5, v7
	v_and_b32_e32 v3, 0xf0f0f0f, v3
	v_and_b32_e32 v4, 16, v4
	v_and_b32_e32 v5, 0x1000, v5
	v_or3_b32 v4, v4, v3, v5
	v_lshlrev_b32_e32 v5, 2, v7
	v_lshlrev_b32_e32 v6, 9, v7
	v_and_b32_e32 v5, 0x100000, v5
	v_and_b32_e32 v6, 0x10000000, v6
	v_or3_b32 v3, v3, v5, v6
	v_and_b32_sdwa v5, v3, s27 dst_sel:DWORD dst_unused:UNUSED_PAD src0_sel:WORD_1 src1_sel:DWORD
	v_lshlrev_b16_sdwa v3, v144, v3 dst_sel:DWORD dst_unused:UNUSED_PAD src0_sel:DWORD src1_sel:WORD_1
	v_add_u16_e32 v5, 0xf000, v5
	v_add_u16_e32 v3, 0xf000, v3
	v_perm_b32 v3, v3, v5, s28
	v_lshlrev_b16_e32 v5, 8, v4
	v_add_u16_e32 v5, 0xf000, v5
	v_lshrrev_b16_e32 v5, 8, v5
	v_add_u16_e32 v2, 0xf000, v10
	v_bitop3_b16 v4, v4, v5, s27 bitop3:0xec
	v_perm_b32 v2, v2, v9, s28
	v_add_u16_e32 v4, 0xf000, v4
	v_lshl_or_b32 v2, v2, 16, v8
	v_lshl_or_b32 v3, v3, 16, v4
	ds_write2_b32 v32, v2, v3 offset1:1
	s_waitcnt vmcnt(3)
	v_ashrrev_i32_e32 v6, v24, v12
	v_lshlrev_b32_e32 v3, 4, v6
	v_lshlrev_b32_e32 v4, 11, v6
	s_waitcnt vmcnt(2)
	v_and_b32_e32 v2, 0xf0f0f0f, v13
	v_and_b32_e32 v3, 16, v3
	v_and_b32_e32 v4, 0x1000, v4
	v_or3_b32 v3, v3, v2, v4
	v_lshlrev_b32_e32 v4, 18, v6
	v_lshlrev_b32_e32 v5, 25, v6
	v_and_b32_e32 v4, 0x100000, v4
	v_and_b32_e32 v5, 0x10000000, v5
	v_or3_b32 v2, v2, v4, v5
	v_and_b32_e32 v4, 0x1f00, v3
	v_lshlrev_b16_e32 v3, 8, v3
	v_add_u16_e32 v4, 0xf000, v4
	v_add_u16_e32 v3, 0xf000, v3
	v_perm_b32 v7, v3, v4, s28
	v_and_b32_sdwa v3, v2, s27 dst_sel:DWORD dst_unused:UNUSED_PAD src0_sel:WORD_1 src1_sel:DWORD
	v_lshl_add_u64 v[4:5], v[88:89], 0, s[18:19]
	v_add_u16_e32 v8, 0xf000, v3
	v_lshlrev_b16_sdwa v9, v144, v2 dst_sel:DWORD dst_unused:UNUSED_PAD src0_sel:DWORD src1_sel:WORD_1
	v_lshl_add_u64 v[2:3], v[86:87], 0, s[18:19]
	global_load_dword v10, v[4:5], off
	global_load_dword v12, v[2:3], off
	v_lshrrev_b32_e32 v3, 4, v13
	v_lshrrev_b32_e32 v4, 12, v6
	v_lshrrev_b32_e32 v5, 5, v6
	v_and_b32_e32 v3, 0xf0f0f0f, v3
	v_and_b32_e32 v4, 16, v4
	v_and_b32_e32 v5, 0x1000, v5
	v_or3_b32 v4, v4, v3, v5
	v_lshlrev_b32_e32 v5, 2, v6
	v_lshlrev_b32_e32 v6, 9, v6
	v_and_b32_e32 v5, 0x100000, v5
	v_and_b32_e32 v6, 0x10000000, v6
	v_or3_b32 v3, v3, v5, v6
	v_and_b32_sdwa v5, v3, s27 dst_sel:DWORD dst_unused:UNUSED_PAD src0_sel:WORD_1 src1_sel:DWORD
	v_lshlrev_b16_sdwa v3, v144, v3 dst_sel:DWORD dst_unused:UNUSED_PAD src0_sel:DWORD src1_sel:WORD_1
	v_add_u16_e32 v5, 0xf000, v5
	v_add_u16_e32 v3, 0xf000, v3
	v_perm_b32 v3, v3, v5, s28
	v_lshlrev_b16_e32 v5, 8, v4
	v_add_u16_e32 v5, 0xf000, v5
	v_lshrrev_b16_e32 v5, 8, v5
	v_add_u16_e32 v2, 0xf000, v9
	v_bitop3_b16 v4, v4, v5, s27 bitop3:0xec
	v_perm_b32 v2, v2, v8, s28
	v_add_u16_e32 v4, 0xf000, v4
	v_lshl_or_b32 v2, v2, 16, v7
	v_lshl_or_b32 v3, v3, 16, v4
	ds_write2_b32 v34, v2, v3 offset1:1
	s_waitcnt vmcnt(3)
	v_ashrrev_i32_e32 v6, v24, v11
	v_lshlrev_b32_e32 v3, 4, v6
	v_lshlrev_b32_e32 v4, 11, v6
	s_waitcnt vmcnt(2)
	;; [unrolled: 53-line block ×10, first 2 shown]
	v_and_b32_e32 v2, 0xf0f0f0f, v13
	v_and_b32_e32 v3, 16, v3
	;; [unrolled: 1-line block ×3, first 2 shown]
	v_or3_b32 v3, v3, v2, v4
	v_lshlrev_b32_e32 v4, 18, v6
	v_lshlrev_b32_e32 v5, 25, v6
	v_and_b32_e32 v4, 0x100000, v4
	v_and_b32_e32 v5, 0x10000000, v5
	v_or3_b32 v2, v2, v4, v5
	v_and_b32_e32 v4, 0x1f00, v3
	v_lshlrev_b16_e32 v3, 8, v3
	v_add_u16_e32 v4, 0xf000, v4
	v_add_u16_e32 v3, 0xf000, v3
	v_perm_b32 v3, v3, v4, s28
	v_and_b32_sdwa v4, v2, s27 dst_sel:DWORD dst_unused:UNUSED_PAD src0_sel:WORD_1 src1_sel:DWORD
	v_lshlrev_b16_sdwa v2, v144, v2 dst_sel:DWORD dst_unused:UNUSED_PAD src0_sel:DWORD src1_sel:WORD_1
	v_add_u16_e32 v4, 0xf000, v4
	v_add_u16_e32 v2, 0xf000, v2
	v_perm_b32 v2, v2, v4, s28
	v_lshl_or_b32 v7, v2, 16, v3
	v_lshrrev_b32_e32 v8, 4, v13
	v_lshl_add_u64 v[2:3], v[124:125], 0, s[18:19]
	v_lshl_add_u64 v[4:5], v[126:127], 0, s[18:19]
	global_load_dword v4, v[4:5], off
	s_nop 0
	global_load_dword v5, v[2:3], off
	v_and_b32_e32 v2, 0xf0f0f0f, v8
	v_lshrrev_b32_e32 v3, 12, v6
	v_lshrrev_b32_e32 v8, 5, v6
	v_and_b32_e32 v3, 16, v3
	v_and_b32_e32 v8, 0x1000, v8
	v_or3_b32 v3, v3, v2, v8
	v_lshlrev_b32_e32 v8, 2, v6
	v_lshlrev_b32_e32 v6, 9, v6
	v_and_b32_e32 v8, 0x100000, v8
	v_and_b32_e32 v6, 0x10000000, v6
	v_or3_b32 v2, v2, v8, v6
	v_and_b32_sdwa v6, v2, s27 dst_sel:DWORD dst_unused:UNUSED_PAD src0_sel:WORD_1 src1_sel:DWORD
	v_lshlrev_b16_sdwa v2, v144, v2 dst_sel:DWORD dst_unused:UNUSED_PAD src0_sel:DWORD src1_sel:WORD_1
	v_add_u16_e32 v6, 0xf000, v6
	v_add_u16_e32 v2, 0xf000, v2
	v_perm_b32 v2, v2, v6, s28
	v_lshlrev_b16_e32 v6, 8, v3
	v_add_u16_e32 v6, 0xf000, v6
	v_lshrrev_b16_e32 v6, 8, v6
	v_bitop3_b16 v3, v3, v6, s27 bitop3:0xec
	v_add_u16_e32 v3, 0xf000, v3
	v_lshl_or_b32 v2, v2, 16, v3
	ds_write2_b32 v52, v7, v2 offset1:1
	s_waitcnt vmcnt(3)
	v_ashrrev_i32_e32 v6, v24, v10
	v_lshlrev_b32_e32 v3, 4, v6
	v_lshlrev_b32_e32 v7, 11, v6
	s_waitcnt vmcnt(2)
	v_and_b32_e32 v2, 0xf0f0f0f, v14
	v_and_b32_e32 v3, 16, v3
	;; [unrolled: 1-line block ×3, first 2 shown]
	v_or3_b32 v3, v3, v2, v7
	v_lshlrev_b32_e32 v7, 18, v6
	v_lshlrev_b32_e32 v8, 25, v6
	v_and_b32_e32 v7, 0x100000, v7
	v_and_b32_e32 v8, 0x10000000, v8
	v_or3_b32 v7, v2, v7, v8
	v_and_b32_e32 v2, 0x1f00, v3
	v_lshlrev_b16_e32 v3, 8, v3
	v_add_u16_e32 v2, 0xf000, v2
	v_add_u16_e32 v3, 0xf000, v3
	v_perm_b32 v8, v3, v2, s28
	v_and_b32_sdwa v2, v7, s27 dst_sel:DWORD dst_unused:UNUSED_PAD src0_sel:WORD_1 src1_sel:DWORD
	v_add_u16_e32 v9, 0xf000, v2
	v_lshl_add_u64 v[2:3], v[128:129], 0, s[18:19]
	global_load_ushort v10, v[2:3], off
	v_lshl_add_u64 v[2:3], v[130:131], 0, s[18:19]
	global_load_ushort v11, v[2:3], off
	;; [unrolled: 2-line block ×4, first 2 shown]
	v_lshlrev_b16_sdwa v7, v144, v7 dst_sel:DWORD dst_unused:UNUSED_PAD src0_sel:DWORD src1_sel:WORD_1
	v_add_u16_e32 v3, 0xf000, v7
	v_perm_b32 v3, v3, v9, s28
	v_lshl_or_b32 v3, v3, 16, v8
	v_lshrrev_b32_e32 v7, 4, v14
	v_lshrrev_b32_e32 v8, 12, v6
	;; [unrolled: 1-line block ×3, first 2 shown]
	v_and_b32_e32 v7, 0xf0f0f0f, v7
	v_and_b32_e32 v8, 16, v8
	;; [unrolled: 1-line block ×3, first 2 shown]
	v_or3_b32 v8, v8, v7, v9
	v_lshlrev_b32_e32 v9, 2, v6
	v_lshlrev_b32_e32 v6, 9, v6
	v_and_b32_e32 v9, 0x100000, v9
	v_and_b32_e32 v6, 0x10000000, v6
	v_or3_b32 v6, v7, v9, v6
	v_and_b32_sdwa v7, v6, s27 dst_sel:DWORD dst_unused:UNUSED_PAD src0_sel:WORD_1 src1_sel:DWORD
	v_lshlrev_b16_sdwa v6, v144, v6 dst_sel:DWORD dst_unused:UNUSED_PAD src0_sel:DWORD src1_sel:WORD_1
	v_add_u16_e32 v7, 0xf000, v7
	v_add_u16_e32 v6, 0xf000, v6
	v_perm_b32 v6, v6, v7, s28
	v_lshlrev_b16_e32 v7, 8, v8
	v_add_u16_e32 v7, 0xf000, v7
	v_lshrrev_b16_e32 v7, 8, v7
	v_bitop3_b16 v7, v8, v7, s27 bitop3:0xec
	v_add_u16_e32 v7, 0xf000, v7
	v_lshl_or_b32 v6, v6, 16, v7
	ds_write2_b32 v54, v3, v6 offset1:1
	s_waitcnt vmcnt(5)
	v_ashrrev_i32_e32 v3, v24, v4
	v_lshlrev_b32_e32 v6, 4, v3
	v_lshlrev_b32_e32 v7, 11, v3
	s_waitcnt vmcnt(4)
	v_and_b32_e32 v4, 0xf0f0f0f, v5
	v_and_b32_e32 v6, 16, v6
	;; [unrolled: 1-line block ×3, first 2 shown]
	v_or3_b32 v6, v6, v4, v7
	v_lshlrev_b32_e32 v7, 18, v3
	v_lshlrev_b32_e32 v8, 25, v3
	v_and_b32_e32 v7, 0x100000, v7
	v_and_b32_e32 v8, 0x10000000, v8
	v_or3_b32 v4, v4, v7, v8
	v_and_b32_e32 v7, 0x1f00, v6
	v_lshlrev_b16_e32 v6, 8, v6
	v_add_u16_e32 v7, 0xf000, v7
	v_add_u16_e32 v6, 0xf000, v6
	v_perm_b32 v6, v6, v7, s28
	v_and_b32_sdwa v7, v4, s27 dst_sel:DWORD dst_unused:UNUSED_PAD src0_sel:WORD_1 src1_sel:DWORD
	v_lshlrev_b16_sdwa v4, v144, v4 dst_sel:DWORD dst_unused:UNUSED_PAD src0_sel:DWORD src1_sel:WORD_1
	v_add_u16_e32 v7, 0xf000, v7
	v_add_u16_e32 v4, 0xf000, v4
	v_perm_b32 v4, v4, v7, s28
	v_lshl_or_b32 v4, v4, 16, v6
	v_lshrrev_b32_e32 v5, 4, v5
	v_lshrrev_b32_e32 v6, 12, v3
	;; [unrolled: 1-line block ×3, first 2 shown]
	v_and_b32_e32 v5, 0xf0f0f0f, v5
	v_and_b32_e32 v6, 16, v6
	;; [unrolled: 1-line block ×3, first 2 shown]
	v_or3_b32 v6, v6, v5, v7
	v_lshlrev_b32_e32 v7, 2, v3
	v_lshlrev_b32_e32 v3, 9, v3
	v_and_b32_e32 v7, 0x100000, v7
	v_and_b32_e32 v3, 0x10000000, v3
	v_or3_b32 v3, v5, v7, v3
	v_and_b32_sdwa v5, v3, s27 dst_sel:DWORD dst_unused:UNUSED_PAD src0_sel:WORD_1 src1_sel:DWORD
	v_lshlrev_b16_sdwa v3, v144, v3 dst_sel:DWORD dst_unused:UNUSED_PAD src0_sel:DWORD src1_sel:WORD_1
	v_add_u16_e32 v5, 0xf000, v5
	v_add_u16_e32 v3, 0xf000, v3
	v_perm_b32 v3, v3, v5, s28
	v_lshlrev_b16_e32 v5, 8, v6
	v_add_u16_e32 v5, 0xf000, v5
	v_lshrrev_b16_e32 v5, 8, v5
	v_bitop3_b16 v5, v6, v5, s27 bitop3:0xec
	v_add_u16_e32 v5, 0xf000, v5
	v_lshl_or_b32 v3, v3, 16, v5
	s_waitcnt vmcnt(3)
	v_cvt_f32_f16_e32 v5, v10
	ds_write2_b32 v56, v4, v3 offset1:1
	s_waitcnt vmcnt(2)
	v_cvt_f32_f16_e32 v6, v11
	s_waitcnt vmcnt(1)
	v_cvt_f32_f16_e32 v3, v12
	ds_write_b32 v51, v5
	ds_write_b32 v53, v6
	s_waitcnt vmcnt(0)
	v_cvt_f32_f16_e32 v2, v2
	ds_write_b32 v55, v3
	ds_write_b32 v57, v2
	s_cbranch_scc0 .LBB182_5
; %bb.7:                                ;   in Loop: Header=BB182_6 Depth=1
	v_add_u32_e32 v2, s4, v27
	v_cmp_gt_i32_e64 s[2:3], s8, v2
	s_and_b64 s[24:25], s[0:1], s[2:3]
	s_and_saveexec_b64 s[2:3], s[24:25]
	s_cbranch_execz .LBB182_9
; %bb.8:                                ;   in Loop: Header=BB182_6 Depth=1
	v_add_u32_e32 v2, s4, v49
	v_mad_i64_i32 v[2:3], s[24:25], v2, 36, v[58:59]
	global_load_dword v2, v[2:3], off offset:4
	s_waitcnt vmcnt(0)
	ds_write_b32 v31, v2
.LBB182_9:                              ;   in Loop: Header=BB182_6 Depth=1
	s_or_b64 exec, exec, s[2:3]
	v_add_u32_e32 v145, s4, v22
	v_cmp_gt_i32_e64 s[2:3], s8, v145
	s_and_b64 s[24:25], s[20:21], s[2:3]
	s_and_saveexec_b64 s[2:3], s[24:25]
	s_cbranch_execz .LBB182_11
; %bb.10:                               ;   in Loop: Header=BB182_6 Depth=1
	v_add_u32_e32 v2, s4, v23
	v_mad_i64_i32 v[2:3], s[24:25], v2, 36, s[14:15]
	global_load_dword v2, v[2:3], off
	s_waitcnt vmcnt(0)
	v_cvt_f32_f16_e32 v2, v2
	ds_write_b32 v35, v2
.LBB182_11:                             ;   in Loop: Header=BB182_6 Depth=1
	s_or_b64 exec, exec, s[2:3]
	s_waitcnt lgkmcnt(0)
	s_barrier
	ds_read_b128 v[14:17], v29
	ds_read_b128 v[18:21], v29 offset:16
	ds_read2_b32 v[138:139], v25 offset1:1
	ds_read_b128 v[2:5], v29 offset:32
	ds_read_b128 v[6:9], v29 offset:48
	ds_read_b128 v[10:13], v33
	ds_read2_b32 v[142:143], v25 offset0:2 offset1:3
	v_mov_b32_e32 v146, 0
	s_waitcnt lgkmcnt(4)
	v_dot4c_i32_i8_e32 v146, v138, v14
	v_dot4c_i32_i8_e32 v146, v139, v18
	ds_read2_b32 v[138:139], v25 offset0:4 offset1:5
	ds_read2_b32 v[148:149], v25 offset0:6 offset1:7
	;; [unrolled: 1-line block ×3, first 2 shown]
	s_waitcnt lgkmcnt(3)
	v_dot4c_i32_i8_e32 v146, v142, v15
	v_dot4c_i32_i8_e32 v146, v143, v19
	s_waitcnt lgkmcnt(2)
	v_dot4c_i32_i8_e32 v146, v138, v16
	v_add_u32_e32 v138, 0x2080, v25
	v_dot4c_i32_i8_e32 v146, v139, v20
	ds_read2_b32 v[150:151], v138 offset1:1
	s_waitcnt lgkmcnt(2)
	v_dot4c_i32_i8_e32 v146, v148, v17
	v_add_u32_e32 v148, 0x2088, v25
	v_dot4c_i32_i8_e32 v146, v149, v21
	ds_read2_b32 v[138:139], v43 offset1:1
	ds_read2_b32 v[142:143], v43 offset0:2 offset1:3
	ds_read2_b32 v[148:149], v148 offset1:1
	v_mov_b32_e32 v147, 0
	s_waitcnt lgkmcnt(3)
	v_dot4c_i32_i8_e32 v147, v150, v14
	v_add_u32_e32 v150, 0x2090, v25
	v_add_u32_e32 v152, 0x2098, v25
	;; [unrolled: 1-line block ×3, first 2 shown]
	v_dot4c_i32_i8_e32 v147, v151, v18
	ds_read2_b32 v[150:151], v150 offset1:1
	ds_read2_b32 v[152:153], v152 offset1:1
	;; [unrolled: 1-line block ×3, first 2 shown]
	s_waitcnt lgkmcnt(3)
	v_dot4c_i32_i8_e32 v147, v148, v15
	v_dot4c_i32_i8_e32 v147, v149, v19
	s_waitcnt lgkmcnt(2)
	v_dot4c_i32_i8_e32 v147, v150, v16
	v_dot4c_i32_i8_e32 v147, v151, v20
	v_mov_b32_e32 v158, 0
	s_waitcnt lgkmcnt(1)
	v_dot4c_i32_i8_e32 v147, v152, v17
	s_waitcnt lgkmcnt(0)
	v_dot4c_i32_i8_e32 v158, v154, v14
	v_add_u32_e32 v150, 0x4108, v25
	v_add_u32_e32 v152, 0x4110, v25
	;; [unrolled: 1-line block ×4, first 2 shown]
	v_dot4c_i32_i8_e32 v147, v153, v21
	ds_read2_b32 v[148:149], v41 offset1:1
	ds_read2_b32 v[150:151], v150 offset1:1
	v_dot4c_i32_i8_e32 v158, v155, v18
	ds_read2_b32 v[152:153], v152 offset1:1
	ds_read2_b32 v[154:155], v154 offset1:1
	ds_read2_b32 v[156:157], v156 offset1:1
	v_mov_b32_e32 v159, 0
	v_mov_b32_e32 v160, 0
	s_waitcnt lgkmcnt(3)
	v_dot4c_i32_i8_e32 v158, v150, v15
	v_dot4c_i32_i8_e32 v158, v151, v19
	s_waitcnt lgkmcnt(0)
	v_dot4c_i32_i8_e32 v159, v156, v14
	v_add_u32_e32 v14, 0x6188, v25
	ds_read2_b32 v[150:151], v14 offset1:1
	v_dot4c_i32_i8_e32 v158, v152, v16
	v_dot4c_i32_i8_e32 v158, v153, v20
	v_dot4c_i32_i8_e32 v158, v154, v17
	v_add_u32_e32 v14, 0x6190, v25
	v_add_u32_e32 v156, 0x20a0, v25
	v_dot4c_i32_i8_e32 v158, v155, v21
	v_dot4c_i32_i8_e32 v159, v157, v18
	v_add_u32_e32 v18, 0x6198, v25
	ds_read2_b32 v[152:153], v14 offset1:1
	ds_read2_b32 v[154:155], v18 offset1:1
	;; [unrolled: 1-line block ×3, first 2 shown]
	s_waitcnt lgkmcnt(3)
	v_dot4c_i32_i8_e32 v159, v150, v15
	v_dot4c_i32_i8_e32 v159, v151, v19
	ds_read2_b32 v[14:15], v25 offset0:10 offset1:11
	s_waitcnt lgkmcnt(3)
	v_dot4c_i32_i8_e32 v159, v152, v16
	v_dot4c_i32_i8_e32 v159, v153, v20
	s_waitcnt lgkmcnt(2)
	v_dot4c_i32_i8_e32 v159, v154, v17
	v_dot4c_i32_i8_e32 v160, v140, v2
	;; [unrolled: 1-line block ×4, first 2 shown]
	ds_read2_b32 v[16:17], v25 offset0:12 offset1:13
	ds_read2_b32 v[18:19], v25 offset0:14 offset1:15
	;; [unrolled: 1-line block ×3, first 2 shown]
	s_waitcnt lgkmcnt(3)
	v_dot4c_i32_i8_e32 v160, v14, v3
	v_add_u32_e32 v14, 0x20a8, v25
	v_dot4c_i32_i8_e32 v160, v15, v7
	ds_read2_b32 v[14:15], v14 offset1:1
	s_waitcnt lgkmcnt(3)
	v_dot4c_i32_i8_e32 v160, v16, v4
	v_dot4c_i32_i8_e32 v160, v17, v8
	v_mov_b32_e32 v161, 0
	s_waitcnt lgkmcnt(2)
	v_dot4c_i32_i8_e32 v160, v18, v5
	v_dot4c_i32_i8_e32 v161, v156, v2
	v_add_u32_e32 v16, 0x20b0, v25
	v_add_u32_e32 v18, 0x20b8, v25
	;; [unrolled: 1-line block ×3, first 2 shown]
	v_dot4c_i32_i8_e32 v160, v19, v9
	v_dot4c_i32_i8_e32 v161, v157, v6
	ds_read2_b32 v[16:17], v16 offset1:1
	ds_read2_b32 v[18:19], v18 offset1:1
	;; [unrolled: 1-line block ×3, first 2 shown]
	s_waitcnt lgkmcnt(3)
	v_dot4c_i32_i8_e32 v161, v14, v3
	v_add_u32_e32 v14, 0x4128, v25
	v_dot4c_i32_i8_e32 v161, v15, v7
	ds_read2_b32 v[14:15], v14 offset1:1
	s_waitcnt lgkmcnt(3)
	v_dot4c_i32_i8_e32 v161, v16, v4
	v_dot4c_i32_i8_e32 v161, v17, v8
	v_mov_b32_e32 v150, 0
	s_waitcnt lgkmcnt(2)
	v_dot4c_i32_i8_e32 v161, v18, v5
	s_waitcnt lgkmcnt(1)
	v_dot4c_i32_i8_e32 v150, v140, v2
	v_add_u32_e32 v16, 0x4130, v25
	v_add_u32_e32 v18, 0x4138, v25
	;; [unrolled: 1-line block ×3, first 2 shown]
	v_dot4c_i32_i8_e32 v161, v19, v9
	v_dot4c_i32_i8_e32 v150, v141, v6
	ds_read2_b32 v[16:17], v16 offset1:1
	ds_read2_b32 v[18:19], v18 offset1:1
	;; [unrolled: 1-line block ×3, first 2 shown]
	s_waitcnt lgkmcnt(3)
	v_dot4c_i32_i8_e32 v150, v14, v3
	v_dot4c_i32_i8_e32 v150, v15, v7
	s_waitcnt lgkmcnt(2)
	v_dot4c_i32_i8_e32 v150, v16, v4
	v_dot4c_i32_i8_e32 v150, v17, v8
	;; [unrolled: 3-line block ×3, first 2 shown]
	v_cvt_f32_i32_e32 v158, v158
	v_mov_b32_e32 v167, 0
	s_cmp_ge_i32 s6, s5
	v_cvt_f32_i32_e32 v152, v150
	v_mov_b32_e32 v150, 0
	s_waitcnt lgkmcnt(0)
	v_dot4c_i32_i8_e32 v150, v140, v2
	v_add_u32_e32 v2, 0x61a8, v25
	ds_read2_b32 v[14:15], v2 offset1:1
	v_add_u32_e32 v2, 0x61b0, v25
	v_add_u32_e32 v140, 0x20c0, v25
	v_dot4c_i32_i8_e32 v150, v141, v6
	v_add_u32_e32 v6, 0x61b8, v25
	ds_read2_b32 v[16:17], v2 offset1:1
	ds_read2_b32 v[18:19], v6 offset1:1
	;; [unrolled: 1-line block ×3, first 2 shown]
	s_waitcnt lgkmcnt(3)
	v_dot4c_i32_i8_e32 v150, v14, v3
	v_dot4c_i32_i8_e32 v150, v15, v7
	s_waitcnt lgkmcnt(2)
	v_dot4c_i32_i8_e32 v150, v16, v4
	v_dot4c_i32_i8_e32 v150, v17, v8
	;; [unrolled: 3-line block ×3, first 2 shown]
	v_cvt_f32_i32_e32 v2, v159
	v_mul_f32_e32 v4, v10, v148
	v_mul_f32_e32 v18, v4, v158
	v_cvt_f32_i32_e32 v3, v150
	v_pk_mul_f32 v[4:5], v[10:11], v[138:139]
	ds_read2_b32 v[14:15], v39 offset1:1
	ds_read2_b32 v[16:17], v39 offset0:2 offset1:3
	ds_read2_b32 v[150:151], v41 offset0:2 offset1:3
	ds_read_b128 v[6:9], v29 offset:80
	v_pk_mul_f32 v[138:139], v[4:5], v[2:3]
	ds_read_b128 v[2:5], v29 offset:64
	v_mul_f32_e32 v19, v11, v149
	v_mul_f32_e32 v148, v19, v152
	ds_read2_b32 v[152:153], v25 offset0:18 offset1:19
	v_mov_b32_e32 v19, 0
	s_waitcnt lgkmcnt(1)
	v_dot4c_i32_i8_e32 v19, v20, v2
	v_dot4c_i32_i8_e32 v19, v21, v6
	ds_read2_b32 v[20:21], v25 offset0:20 offset1:21
	ds_read2_b32 v[154:155], v25 offset0:22 offset1:23
	;; [unrolled: 1-line block ×3, first 2 shown]
	s_waitcnt lgkmcnt(3)
	v_dot4c_i32_i8_e32 v19, v152, v3
	v_dot4c_i32_i8_e32 v19, v153, v7
	s_waitcnt lgkmcnt(2)
	v_dot4c_i32_i8_e32 v19, v20, v4
	v_add_u32_e32 v20, 0x20c8, v25
	v_dot4c_i32_i8_e32 v19, v21, v8
	ds_read2_b32 v[20:21], v20 offset1:1
	v_mov_b32_e32 v149, 0
	s_waitcnt lgkmcnt(2)
	v_dot4c_i32_i8_e32 v19, v154, v5
	v_dot4c_i32_i8_e32 v149, v140, v2
	v_add_u32_e32 v140, 0x20d0, v25
	v_add_u32_e32 v152, 0x20d8, v25
	v_add_u32_e32 v154, 0x4140, v25
	v_dot4c_i32_i8_e32 v19, v155, v9
	v_dot4c_i32_i8_e32 v149, v141, v6
	ds_read2_b32 v[140:141], v140 offset1:1
	ds_read2_b32 v[152:153], v152 offset1:1
	;; [unrolled: 1-line block ×3, first 2 shown]
	s_waitcnt lgkmcnt(3)
	v_dot4c_i32_i8_e32 v149, v20, v3
	v_dot4c_i32_i8_e32 v149, v21, v7
	s_waitcnt lgkmcnt(2)
	v_dot4c_i32_i8_e32 v149, v140, v4
	v_dot4c_i32_i8_e32 v149, v141, v8
	v_mov_b32_e32 v158, 0
	s_waitcnt lgkmcnt(1)
	v_dot4c_i32_i8_e32 v149, v152, v5
	s_waitcnt lgkmcnt(0)
	v_dot4c_i32_i8_e32 v158, v154, v2
	v_add_u32_e32 v20, 0x4148, v25
	v_add_u32_e32 v140, 0x4150, v25
	;; [unrolled: 1-line block ×4, first 2 shown]
	v_dot4c_i32_i8_e32 v149, v153, v9
	v_dot4c_i32_i8_e32 v158, v155, v6
	ds_read2_b32 v[20:21], v20 offset1:1
	ds_read2_b32 v[140:141], v140 offset1:1
	;; [unrolled: 1-line block ×4, first 2 shown]
	v_mov_b32_e32 v163, v14
	s_waitcnt lgkmcnt(3)
	v_dot4c_i32_i8_e32 v158, v20, v3
	s_waitcnt lgkmcnt(0)
	v_dot4c_i32_i8_e32 v167, v154, v2
	v_add_u32_e32 v2, 0x61c8, v25
	v_dot4c_i32_i8_e32 v158, v21, v7
	ds_read2_b32 v[20:21], v2 offset1:1
	v_dot4c_i32_i8_e32 v158, v140, v4
	v_dot4c_i32_i8_e32 v158, v141, v8
	;; [unrolled: 1-line block ×3, first 2 shown]
	v_add_u32_e32 v2, 0x61d0, v25
	v_add_u32_e32 v154, 0x20e0, v25
	v_dot4c_i32_i8_e32 v158, v153, v9
	v_dot4c_i32_i8_e32 v167, v155, v6
	v_add_u32_e32 v6, 0x61d8, v25
	ds_read2_b32 v[140:141], v2 offset1:1
	ds_read2_b32 v[152:153], v6 offset1:1
	;; [unrolled: 1-line block ×3, first 2 shown]
	s_waitcnt lgkmcnt(3)
	v_dot4c_i32_i8_e32 v167, v20, v3
	v_dot4c_i32_i8_e32 v167, v21, v7
	s_waitcnt lgkmcnt(2)
	v_dot4c_i32_i8_e32 v167, v140, v4
	v_dot4c_i32_i8_e32 v167, v141, v8
	;; [unrolled: 3-line block ×3, first 2 shown]
	ds_read_b128 v[2:5], v29 offset:96
	ds_read_b128 v[6:9], v29 offset:112
	ds_read2_b32 v[140:141], v37 offset1:1
	v_cvt_f32_i32_e32 v21, v147
	v_cvt_f32_i32_e32 v20, v146
	;; [unrolled: 1-line block ×4, first 2 shown]
	s_waitcnt lgkmcnt(0)
	v_mov_b32_e32 v162, v140
	v_pk_mul_f32 v[162:163], v[10:11], v[162:163] op_sel_hi:[0,1]
	v_mov_b32_e32 v14, v141
	v_pk_fma_f32 v[20:21], v[162:163], v[20:21], v[136:137]
	v_pk_mul_f32 v[10:11], v[10:11], v[14:15] op_sel:[1,0]
	v_cvt_f32_i32_e32 v166, v158
	v_pk_fma_f32 v[10:11], v[10:11], v[146:147], v[20:21]
	v_add_u32_e32 v20, 0x20e8, v25
	ds_read2_b32 v[152:153], v25 offset0:26 offset1:27
	ds_read2_b32 v[158:159], v25 offset0:28 offset1:29
	;; [unrolled: 1-line block ×4, first 2 shown]
	ds_read2_b32 v[20:21], v20 offset1:1
	v_cvt_f32_i32_e32 v14, v19
	v_mov_b32_e32 v19, 0
	v_dot4c_i32_i8_e32 v19, v156, v2
	v_cvt_f32_i32_e32 v15, v149
	v_dot4c_i32_i8_e32 v19, v157, v6
	v_mov_b32_e32 v149, 0
	s_waitcnt lgkmcnt(4)
	v_dot4c_i32_i8_e32 v19, v152, v3
	v_dot4c_i32_i8_e32 v149, v154, v2
	v_add_u32_e32 v136, 0x20f0, v25
	v_add_u32_e32 v140, 0x20f8, v25
	;; [unrolled: 1-line block ×3, first 2 shown]
	v_dot4c_i32_i8_e32 v19, v153, v7
	v_dot4c_i32_i8_e32 v149, v155, v6
	ds_read2_b32 v[136:137], v136 offset1:1
	ds_read2_b32 v[140:141], v140 offset1:1
	;; [unrolled: 1-line block ×3, first 2 shown]
	s_waitcnt lgkmcnt(6)
	v_dot4c_i32_i8_e32 v19, v158, v4
	s_waitcnt lgkmcnt(3)
	v_dot4c_i32_i8_e32 v149, v20, v3
	v_dot4c_i32_i8_e32 v19, v159, v8
	;; [unrolled: 1-line block ×4, first 2 shown]
	s_waitcnt lgkmcnt(2)
	v_dot4c_i32_i8_e32 v149, v136, v4
	v_dot4c_i32_i8_e32 v19, v161, v9
	;; [unrolled: 1-line block ×3, first 2 shown]
	s_waitcnt lgkmcnt(1)
	v_dot4c_i32_i8_e32 v149, v140, v5
	v_dot4c_i32_i8_e32 v149, v141, v9
	v_cvt_f32_i32_e32 v20, v19
	v_mov_b32_e32 v19, 0
	s_waitcnt lgkmcnt(0)
	v_dot4c_i32_i8_e32 v19, v146, v2
	v_add_u32_e32 v136, 0x4168, v25
	v_add_u32_e32 v140, 0x4170, v25
	;; [unrolled: 1-line block ×3, first 2 shown]
	v_cvt_f32_i32_e32 v21, v149
	v_dot4c_i32_i8_e32 v19, v147, v6
	ds_read2_b32 v[136:137], v136 offset1:1
	v_add_u32_e32 v149, 0x61e0, v25
	ds_read2_b32 v[140:141], v140 offset1:1
	ds_read2_b32 v[146:147], v146 offset1:1
	;; [unrolled: 1-line block ×3, first 2 shown]
	v_mov_b32_e32 v149, 0
	s_waitcnt lgkmcnt(3)
	v_dot4c_i32_i8_e32 v19, v136, v3
	v_dot4c_i32_i8_e32 v19, v137, v7
	s_waitcnt lgkmcnt(0)
	v_dot4c_i32_i8_e32 v149, v152, v2
	v_add_u32_e32 v2, 0x61e8, v25
	ds_read2_b32 v[136:137], v2 offset1:1
	v_dot4c_i32_i8_e32 v19, v140, v4
	v_add_u32_e32 v2, 0x61f0, v25
	v_dot4c_i32_i8_e32 v19, v141, v8
	ds_read2_b32 v[140:141], v2 offset1:1
	v_dot4c_i32_i8_e32 v19, v146, v5
	v_add_u32_e32 v2, 0x61f8, v25
	v_dot4c_i32_i8_e32 v19, v147, v9
	v_dot4c_i32_i8_e32 v149, v153, v6
	ds_read2_b32 v[146:147], v2 offset1:1
	s_waitcnt lgkmcnt(2)
	v_dot4c_i32_i8_e32 v149, v136, v3
	v_dot4c_i32_i8_e32 v149, v137, v7
	s_waitcnt lgkmcnt(1)
	v_dot4c_i32_i8_e32 v149, v140, v4
	v_dot4c_i32_i8_e32 v149, v141, v8
	;; [unrolled: 3-line block ×3, first 2 shown]
	v_cvt_f32_i32_e32 v4, v167
	v_cvt_f32_i32_e32 v19, v19
	v_mov_b32_e32 v2, v164
	v_cvt_f32_i32_e32 v5, v149
	v_mov_b32_e32 v3, v16
	v_pk_mul_f32 v[8:9], v[12:13], v[142:143]
	v_pk_mul_f32 v[2:3], v[12:13], v[2:3] op_sel_hi:[0,1]
	v_pk_mul_f32 v[4:5], v[8:9], v[4:5]
	v_mov_b32_e32 v8, v13
	v_mov_b32_e32 v16, v165
	v_pk_fma_f32 v[2:3], v[2:3], v[14:15], v[10:11]
	v_pk_mul_f32 v[8:9], v[8:9], v[16:17] op_sel_hi:[0,1]
	v_pk_fma_f32 v[136:137], v[8:9], v[20:21], v[2:3]
	v_mul_f32_e32 v2, v13, v151
	v_mul_f32_e32 v2, v2, v19
	v_mov_b32_e32 v19, v138
	v_mul_f32_e32 v6, v12, v150
	v_pk_add_f32 v[8:9], v[102:103], v[18:19]
	v_mov_b32_e32 v149, v139
	v_mul_f32_e32 v6, v6, v166
	v_pk_add_f32 v[8:9], v[8:9], v[148:149]
	v_mov_b32_e32 v7, v4
	v_pk_add_f32 v[6:7], v[8:9], v[6:7]
	v_mov_b32_e32 v3, v5
	v_pk_add_f32 v[102:103], v[6:7], v[2:3]
	s_barrier
	s_cbranch_scc1 .LBB182_5
; %bb.12:                               ;   in Loop: Header=BB182_6 Depth=1
	v_add_u32_e32 v2, s4, v45
	v_cmp_gt_i32_e64 s[2:3], s8, v2
	s_and_b64 s[24:25], s[0:1], s[2:3]
	s_and_saveexec_b64 s[2:3], s[24:25]
	s_cbranch_execz .LBB182_14
; %bb.13:                               ;   in Loop: Header=BB182_6 Depth=1
	v_add_u32_e32 v2, s4, v47
	v_mad_i64_i32 v[2:3], s[24:25], v2, 36, v[58:59]
	global_load_dword v2, v[2:3], off offset:4
	s_waitcnt vmcnt(0)
	ds_write_b32 v31, v2
.LBB182_14:                             ;   in Loop: Header=BB182_6 Depth=1
	s_or_b64 exec, exec, s[2:3]
	s_and_saveexec_b64 s[24:25], vcc
	s_cbranch_execz .LBB182_4
; %bb.15:                               ;   in Loop: Header=BB182_6 Depth=1
	v_add_u32_e32 v2, 4, v145
	v_cmp_gt_i32_e64 s[2:3], s8, v2
	s_and_b64 s[2:3], s[0:1], s[2:3]
	s_and_b64 exec, exec, s[2:3]
	s_cbranch_execz .LBB182_4
; %bb.16:                               ;   in Loop: Header=BB182_6 Depth=1
	global_load_dword v2, v[60:61], off
	s_waitcnt vmcnt(0)
	v_cvt_f32_f16_e32 v2, v2
	ds_write_b32 v35, v2
	s_branch .LBB182_4
.LBB182_17:
	s_mul_i32 s0, s10, s7
	s_waitcnt vmcnt(0)
	v_cmp_gt_i32_e32 vcc, s0, v1
	s_and_saveexec_b64 s[0:1], vcc
	s_cbranch_execz .LBB182_26
; %bb.18:
	v_and_b32_e32 v0, 0x3ff, v0
	v_add_u32_e32 v2, s11, v0
	v_mul_lo_u32 v0, v1, s9
	v_cmp_gt_u32_e32 vcc, s9, v2
	s_and_saveexec_b64 s[0:1], vcc
	s_cbranch_execz .LBB182_20
; %bb.19:
	v_add_u32_e32 v4, v0, v2
	v_mov_b32_e32 v5, 0
	v_lshl_add_u64 v[4:5], v[4:5], 2, s[16:17]
	global_store_dword v[4:5], v136, off
.LBB182_20:
	s_or_b64 exec, exec, s[0:1]
	v_add_u32_e32 v1, 32, v2
	v_cmp_gt_u32_e32 vcc, s9, v1
	s_and_saveexec_b64 s[0:1], vcc
	s_cbranch_execz .LBB182_22
; %bb.21:
	v_add_u32_e32 v4, v0, v1
	v_mov_b32_e32 v5, 0
	v_lshl_add_u64 v[4:5], v[4:5], 2, s[16:17]
	global_store_dword v[4:5], v137, off
.LBB182_22:
	s_or_b64 exec, exec, s[0:1]
	v_add_u32_e32 v1, 64, v2
	;; [unrolled: 11-line block ×3, first 2 shown]
	v_cmp_gt_u32_e32 vcc, s9, v1
	s_and_b64 exec, exec, vcc
	s_cbranch_execz .LBB182_26
; %bb.25:
	v_add_u32_e32 v0, v0, v1
	v_mov_b32_e32 v1, 0
	v_lshl_add_u64 v[0:1], v[0:1], 2, s[16:17]
	global_store_dword v[0:1], v103, off
.LBB182_26:
	s_endpgm
	.section	.rodata,"a",@progbits
	.p2align	6, 0x0
	.amdhsa_kernel _ZL8moe_q5_0IfLb1EEvPKvS1_PT_PKiS5_S5_iiiiiii
		.amdhsa_group_segment_fixed_size 38656
		.amdhsa_private_segment_fixed_size 0
		.amdhsa_kernarg_size 76
		.amdhsa_user_sgpr_count 2
		.amdhsa_user_sgpr_dispatch_ptr 0
		.amdhsa_user_sgpr_queue_ptr 0
		.amdhsa_user_sgpr_kernarg_segment_ptr 1
		.amdhsa_user_sgpr_dispatch_id 0
		.amdhsa_user_sgpr_kernarg_preload_length 0
		.amdhsa_user_sgpr_kernarg_preload_offset 0
		.amdhsa_user_sgpr_private_segment_size 0
		.amdhsa_uses_dynamic_stack 0
		.amdhsa_enable_private_segment 0
		.amdhsa_system_sgpr_workgroup_id_x 1
		.amdhsa_system_sgpr_workgroup_id_y 1
		.amdhsa_system_sgpr_workgroup_id_z 0
		.amdhsa_system_sgpr_workgroup_info 0
		.amdhsa_system_vgpr_workitem_id 1
		.amdhsa_next_free_vgpr 168
		.amdhsa_next_free_sgpr 96
		.amdhsa_accum_offset 168
		.amdhsa_reserve_vcc 1
		.amdhsa_float_round_mode_32 0
		.amdhsa_float_round_mode_16_64 0
		.amdhsa_float_denorm_mode_32 3
		.amdhsa_float_denorm_mode_16_64 3
		.amdhsa_dx10_clamp 1
		.amdhsa_ieee_mode 1
		.amdhsa_fp16_overflow 0
		.amdhsa_tg_split 0
		.amdhsa_exception_fp_ieee_invalid_op 0
		.amdhsa_exception_fp_denorm_src 0
		.amdhsa_exception_fp_ieee_div_zero 0
		.amdhsa_exception_fp_ieee_overflow 0
		.amdhsa_exception_fp_ieee_underflow 0
		.amdhsa_exception_fp_ieee_inexact 0
		.amdhsa_exception_int_div_zero 0
	.end_amdhsa_kernel
	.section	.text._ZL8moe_q5_0IfLb1EEvPKvS1_PT_PKiS5_S5_iiiiiii,"axG",@progbits,_ZL8moe_q5_0IfLb1EEvPKvS1_PT_PKiS5_S5_iiiiiii,comdat
.Lfunc_end182:
	.size	_ZL8moe_q5_0IfLb1EEvPKvS1_PT_PKiS5_S5_iiiiiii, .Lfunc_end182-_ZL8moe_q5_0IfLb1EEvPKvS1_PT_PKiS5_S5_iiiiiii
                                        ; -- End function
	.set _ZL8moe_q5_0IfLb1EEvPKvS1_PT_PKiS5_S5_iiiiiii.num_vgpr, 168
	.set _ZL8moe_q5_0IfLb1EEvPKvS1_PT_PKiS5_S5_iiiiiii.num_agpr, 0
	.set _ZL8moe_q5_0IfLb1EEvPKvS1_PT_PKiS5_S5_iiiiiii.numbered_sgpr, 29
	.set _ZL8moe_q5_0IfLb1EEvPKvS1_PT_PKiS5_S5_iiiiiii.num_named_barrier, 0
	.set _ZL8moe_q5_0IfLb1EEvPKvS1_PT_PKiS5_S5_iiiiiii.private_seg_size, 0
	.set _ZL8moe_q5_0IfLb1EEvPKvS1_PT_PKiS5_S5_iiiiiii.uses_vcc, 1
	.set _ZL8moe_q5_0IfLb1EEvPKvS1_PT_PKiS5_S5_iiiiiii.uses_flat_scratch, 0
	.set _ZL8moe_q5_0IfLb1EEvPKvS1_PT_PKiS5_S5_iiiiiii.has_dyn_sized_stack, 0
	.set _ZL8moe_q5_0IfLb1EEvPKvS1_PT_PKiS5_S5_iiiiiii.has_recursion, 0
	.set _ZL8moe_q5_0IfLb1EEvPKvS1_PT_PKiS5_S5_iiiiiii.has_indirect_call, 0
	.section	.AMDGPU.csdata,"",@progbits
; Kernel info:
; codeLenInByte = 13116
; TotalNumSgprs: 35
; NumVgprs: 168
; NumAgprs: 0
; TotalNumVgprs: 168
; ScratchSize: 0
; MemoryBound: 0
; FloatMode: 240
; IeeeMode: 1
; LDSByteSize: 38656 bytes/workgroup (compile time only)
; SGPRBlocks: 12
; VGPRBlocks: 20
; NumSGPRsForWavesPerEU: 102
; NumVGPRsForWavesPerEU: 168
; AccumOffset: 168
; Occupancy: 3
; WaveLimiterHint : 1
; COMPUTE_PGM_RSRC2:SCRATCH_EN: 0
; COMPUTE_PGM_RSRC2:USER_SGPR: 2
; COMPUTE_PGM_RSRC2:TRAP_HANDLER: 0
; COMPUTE_PGM_RSRC2:TGID_X_EN: 1
; COMPUTE_PGM_RSRC2:TGID_Y_EN: 1
; COMPUTE_PGM_RSRC2:TGID_Z_EN: 0
; COMPUTE_PGM_RSRC2:TIDIG_COMP_CNT: 1
; COMPUTE_PGM_RSRC3_GFX90A:ACCUM_OFFSET: 41
; COMPUTE_PGM_RSRC3_GFX90A:TG_SPLIT: 0
	.section	.text._ZL8moe_q5_1IfLb0EEvPKvS1_PT_PKiS5_S5_iiiiiii,"axG",@progbits,_ZL8moe_q5_1IfLb0EEvPKvS1_PT_PKiS5_S5_iiiiiii,comdat
	.globl	_ZL8moe_q5_1IfLb0EEvPKvS1_PT_PKiS5_S5_iiiiiii ; -- Begin function _ZL8moe_q5_1IfLb0EEvPKvS1_PT_PKiS5_S5_iiiiiii
	.p2align	8
	.type	_ZL8moe_q5_1IfLb0EEvPKvS1_PT_PKiS5_S5_iiiiiii,@function
_ZL8moe_q5_1IfLb0EEvPKvS1_PT_PKiS5_S5_iiiiiii: ; @_ZL8moe_q5_1IfLb0EEvPKvS1_PT_PKiS5_S5_iiiiiii
; %bb.0:
	s_load_dwordx4 s[4:7], s[0:1], 0x18
	s_mov_b32 s8, s3
	s_mov_b32 s9, 0
	s_lshl_b64 s[10:11], s[8:9], 2
	s_waitcnt lgkmcnt(0)
	s_add_u32 s6, s6, s10
	s_addc_u32 s7, s7, s11
	s_load_dword s3, s[6:7], 0x0
	s_waitcnt lgkmcnt(0)
	s_cmpk_gt_u32 s3, 0xff
	s_cbranch_scc1 .LBB183_31
; %bb.1:
	s_load_dwordx2 s[6:7], s[0:1], 0x28
	s_waitcnt lgkmcnt(0)
	s_load_dword s7, s[6:7], 0x0
	s_lshl_b32 s6, s8, 3
	s_waitcnt lgkmcnt(0)
	s_cmp_gt_u32 s6, s7
	s_cbranch_scc1 .LBB183_31
; %bb.2:
	v_bfe_u32 v4, v0, 10, 10
	v_mov_b32_e32 v6, s4
	v_mov_b32_e32 v7, s5
	v_add_u32_e32 v2, s6, v4
	v_mov_b32_e32 v3, 0
	v_lshl_add_u64 v[6:7], v[2:3], 2, v[6:7]
	global_load_dword v1, v[6:7], off
	s_load_dwordx2 s[14:15], s[0:1], 0x30
	s_load_dwordx2 s[12:13], s[0:1], 0x10
	s_load_dwordx4 s[4:7], s[0:1], 0x3c
	s_lshl_b32 s18, s2, 7
	s_mov_b32 s19, 0
	s_waitcnt lgkmcnt(0)
	s_cmp_lt_i32 s15, 32
	s_cbranch_scc1 .LBB183_21
; %bb.3:
	s_load_dwordx4 s[8:11], s[0:1], 0x0
	s_ashr_i32 s0, s15, 31
	s_ashr_i32 s1, s5, 31
	s_lshr_b32 s0, s0, 27
	s_lshr_b32 s1, s1, 27
	s_add_i32 s0, s15, s0
	s_add_i32 s1, s5, s1
	s_mul_i32 s3, s3, s14
	s_ashr_i32 s20, s0, 5
	s_ashr_i32 s5, s1, 5
	;; [unrolled: 1-line block ×3, first 2 shown]
	s_waitcnt lgkmcnt(0)
	s_add_u32 s2, s8, s3
	s_mul_i32 s3, s20, s18
	s_addc_u32 s1, s9, s1
	s_mul_hi_i32 s8, s3, 24
	s_mul_i32 s3, s3, 24
	s_add_u32 s14, s2, s3
	s_addc_u32 s21, s1, s8
	v_mul_lo_u32 v10, s20, v4
	s_lshl_b32 s1, s20, 3
	v_add_u32_e32 v12, s1, v10
	v_add_u32_e32 v14, s1, v12
	;; [unrolled: 1-line block ×11, first 2 shown]
	v_and_b32_e32 v9, 0x3ff, v0
	v_add_u32_e32 v34, s1, v32
	v_lshlrev_b32_e32 v6, 3, v9
	s_movk_i32 s2, 0x104
	v_add_u32_e32 v36, s1, v34
	v_bfe_u32 v43, v0, 3, 7
	v_mad_u32_u24 v11, v4, s2, v6
	v_add_u32_e32 v38, s1, v36
	v_and_b32_e32 v42, 7, v0
	v_lshl_add_u32 v6, v4, 2, v43
	v_add_u32_e32 v40, s1, v38
	v_and_b32_e32 v7, 0x1ffc, v6
	v_lshlrev_b32_e32 v45, 2, v42
	s_mov_b32 s1, 0x8200
	v_add3_u32 v56, v7, v45, s1
	v_add_u32_e32 v7, 32, v6
	v_mov_b32_e32 v49, 0x9680
	v_lshlrev_b32_e32 v5, 2, v9
	v_mul_lo_u32 v44, s20, v6
	v_lshlrev_b32_e32 v57, 5, v6
	v_and_b32_e32 v47, 0x3ffc, v7
	v_lshlrev_b32_e32 v71, 5, v7
	v_add_u32_e32 v7, 64, v6
	v_add_u32_e32 v6, 0x60, v6
	v_lshl_add_u32 v49, v4, 4, v49
	s_abs_i32 s3, s7
	v_and_b32_e32 v2, 12, v5
	v_add3_u32 v70, v47, v45, s1
	v_and_b32_e32 v47, 0x3ffc, v7
	v_lshlrev_b32_e32 v73, 5, v7
	v_and_b32_e32 v7, 0x3ffc, v6
	v_lshlrev_b32_e32 v75, 5, v6
	v_and_b32_e32 v6, 28, v5
	v_add_u32_e32 v51, v49, v5
	v_cvt_f32_u32_e32 v5, s3
	s_andn2_b32 s0, s0, 31
	v_add_u32_e32 v46, s0, v44
	v_add_u32_e32 v48, s0, v46
	v_rcp_iflag_f32_e32 v5, v5
	v_add_u32_e32 v50, s0, v48
	s_sub_i32 s0, 0, s3
	s_waitcnt vmcnt(0)
	v_sub_u32_e32 v53, 0, v1
	v_mul_f32_e32 v5, 0x4f7ffffe, v5
	v_cvt_u32_f32_e32 v5, v5
	v_max_i32_e32 v53, v1, v53
	v_add3_u32 v72, v47, v45, s1
	v_add3_u32 v74, v7, v45, s1
	v_mul_lo_u32 v54, s0, v5
	v_mul_hi_u32 v54, v5, v54
	v_add_u32_e32 v5, v5, v54
	v_mul_hi_u32 v5, v53, v5
	v_mul_lo_u32 v54, v5, s3
	v_sub_u32_e32 v53, v53, v54
	v_add_u32_e32 v54, 1, v5
	v_cmp_le_u32_e64 s[0:1], s3, v53
	v_xor_b32_e32 v52, s7, v1
	v_ashrrev_i32_e32 v52, 31, v52
	v_cndmask_b32_e64 v5, v5, v54, s[0:1]
	v_subrev_u32_e32 v54, s3, v53
	v_cndmask_b32_e64 v53, v53, v54, s[0:1]
	v_add_u32_e32 v54, 1, v5
	v_cmp_le_u32_e64 s[0:1], s3, v53
	v_mov_b32_e32 v45, 0x9280
	v_lshl_add_u32 v45, v4, 7, v45
	v_cndmask_b32_e64 v5, v5, v54, s[0:1]
	v_xor_b32_e32 v5, v5, v52
	v_add_u32_e32 v4, 32, v9
	v_sub_u32_e32 v5, v5, v52
	v_mov_b32_e32 v7, v3
	v_add_u32_e32 v61, 64, v9
	v_add_u32_e32 v60, 0x60, v9
	v_lshrrev_b32_e32 v59, 3, v4
	v_cmp_gt_i32_e64 s[0:1], s4, v5
	v_mul_lo_u32 v52, v5, s5
	v_lshlrev_b32_e32 v5, 5, v9
	v_and_b32_e32 v4, 0x1fc, v4
	v_lshl_add_u64 v[54:55], s[10:11], 0, v[6:7]
	v_and_b32_e32 v6, 0x1fc, v60
	v_and_b32_e32 v7, 0x1fc, v61
	v_add_u32_e32 v4, v5, v4
	v_and_b32_e32 v63, 0xfc, v0
	v_and_b32_e32 v47, 31, v0
	v_cmp_gt_u32_e32 vcc, 4, v9
	v_add_u32_e32 v6, v5, v6
	v_add_u32_e32 v7, v5, v7
	;; [unrolled: 1-line block ×5, first 2 shown]
	v_mov_b32_e32 v4, 0x80
	v_bfe_u32 v8, v0, 2, 8
	v_add_u32_e32 v13, 0x820, v11
	v_add_u32_e32 v15, 0x1040, v11
	;; [unrolled: 1-line block ×15, first 2 shown]
	v_lshl_or_b32 v47, v47, 2, v45
	v_mul_u32_u24_e32 v58, 0x104, v9
	s_and_b64 s[8:9], vcc, s[0:1]
	v_ashrrev_i32_e32 v53, 31, v52
	v_add_u32_e32 v60, 0x8e00, v6
	v_add_u32_e32 v61, 0x8a00, v7
	;; [unrolled: 1-line block ×6, first 2 shown]
	v_mad_u32_u24 v68, v9, s2, v4
	v_mov_b32_e32 v4, v3
	v_mov_b32_e32 v5, v3
	;; [unrolled: 1-line block ×4, first 2 shown]
	v_add_u32_e32 v69, v56, v57
	v_add_u32_e32 v70, v70, v71
	;; [unrolled: 1-line block ×4, first 2 shown]
	s_branch .LBB183_5
.LBB183_4:                              ;   in Loop: Header=BB183_5 Depth=1
	s_add_i32 s19, s19, 8
	s_cmp_ge_i32 s19, s20
	s_cbranch_scc1 .LBB183_22
.LBB183_5:                              ; =>This Loop Header: Depth=1
                                        ;     Child Loop BB183_11 Depth 2
                                        ;     Child Loop BB183_19 Depth 2
	s_mul_i32 s2, s19, 24
	s_mul_hi_u32 s3, s19, 24
	s_add_u32 s2, s14, s2
	s_addc_u32 s3, s21, s3
	v_mad_u64_u32 v[56:57], s[16:17], v8, 24, s[2:3]
	v_mad_u64_u32 v[74:75], s[16:17], v10, 24, v[56:57]
	;; [unrolled: 1-line block ×3, first 2 shown]
	v_lshl_add_u64 v[76:77], v[74:75], 0, v[2:3]
	v_mad_u64_u32 v[78:79], s[16:17], v12, 24, v[56:57]
	v_mad_u64_u32 v[80:81], s[16:17], v14, 24, v[56:57]
	global_load_dword v73, v[82:83], off offset:4
	global_load_dword v90, v[80:81], off offset:4
	;; [unrolled: 1-line block ×5, first 2 shown]
	v_lshl_add_u64 v[74:75], v[78:79], 0, v[2:3]
	global_load_dword v94, v[74:75], off offset:8
	v_lshl_add_u64 v[74:75], v[80:81], 0, v[2:3]
	v_lshl_add_u64 v[76:77], v[82:83], 0, v[2:3]
	global_load_dword v95, v[74:75], off offset:8
	global_load_dword v96, v[76:77], off offset:8
	v_mad_u64_u32 v[74:75], s[16:17], v18, 24, v[56:57]
	v_mad_u64_u32 v[76:77], s[16:17], v20, 24, v[56:57]
	;; [unrolled: 1-line block ×4, first 2 shown]
	v_lshl_add_u64 v[82:83], v[74:75], 0, v[2:3]
	v_lshl_add_u64 v[84:85], v[76:77], 0, v[2:3]
	;; [unrolled: 1-line block ×4, first 2 shown]
	global_load_dword v97, v[82:83], off offset:8
	global_load_dword v98, v[84:85], off offset:8
	;; [unrolled: 1-line block ×8, first 2 shown]
	s_waitcnt vmcnt(15)
	v_ashrrev_i32_e32 v73, v2, v73
	s_waitcnt vmcnt(13)
	v_ashrrev_i32_e32 v77, v2, v91
	;; [unrolled: 2-line block ×3, first 2 shown]
	s_waitcnt vmcnt(11)
	v_lshrrev_b32_e32 v75, 4, v93
	v_lshlrev_b32_e32 v80, 4, v74
	v_lshrrev_b32_e32 v82, 12, v74
	v_and_b32_e32 v76, 0xf0f0f0f, v93
	v_lshlrev_b32_e32 v81, 11, v74
	v_lshrrev_b32_e32 v83, 5, v74
	v_and_b32_e32 v75, 0xf0f0f0f, v75
	v_and_b32_e32 v82, 16, v82
	;; [unrolled: 1-line block ×3, first 2 shown]
	v_lshlrev_b32_e32 v84, 2, v74
	v_lshlrev_b32_e32 v85, 18, v74
	v_and_b32_e32 v83, 0x1000, v83
	v_and_b32_e32 v81, 0x1000, v81
	v_or_b32_e32 v75, v82, v75
	v_or_b32_e32 v76, v80, v76
	s_waitcnt vmcnt(10)
	v_lshrrev_b32_e32 v78, 4, v94
	v_lshlrev_b32_e32 v86, 9, v74
	v_lshlrev_b32_e32 v74, 25, v74
	;; [unrolled: 1-line block ×3, first 2 shown]
	v_lshrrev_b32_e32 v89, 12, v77
	v_and_b32_e32 v84, 0x100000, v84
	v_and_b32_e32 v85, 0x100000, v85
	v_or_b32_e32 v75, v75, v83
	v_or_b32_e32 v76, v76, v81
	v_and_b32_e32 v79, 0xf0f0f0f, v94
	v_lshlrev_b32_e32 v88, 11, v77
	v_lshrrev_b32_e32 v91, 5, v77
	v_and_b32_e32 v78, 0xf0f0f0f, v78
	v_and_b32_e32 v86, 0x10000000, v86
	;; [unrolled: 1-line block ×5, first 2 shown]
	v_or_b32_e32 v75, v75, v84
	v_or_b32_e32 v76, v76, v85
	v_lshlrev_b32_e32 v92, 2, v77
	v_lshlrev_b32_e32 v93, 18, v77
	v_and_b32_e32 v91, 0x1000, v91
	v_and_b32_e32 v88, 0x1000, v88
	v_or_b32_e32 v78, v89, v78
	v_or_b32_e32 v79, v87, v79
	;; [unrolled: 1-line block ×4, first 2 shown]
	v_and_b32_e32 v92, 0x100000, v92
	v_or_b32_e32 v78, v78, v91
	v_or_b32_e32 v79, v79, v88
	ds_write2_b32 v11, v74, v75 offset1:1
	v_and_b32_e32 v74, 0x100000, v93
	v_lshlrev_b32_e32 v76, 9, v77
	v_lshlrev_b32_e32 v77, 25, v77
	v_or_b32_e32 v75, v78, v92
	v_or_b32_e32 v74, v79, v74
	v_and_b32_e32 v76, 0x10000000, v76
	v_and_b32_e32 v77, 0x10000000, v77
	v_or_b32_e32 v75, v75, v76
	v_or_b32_e32 v74, v74, v77
	ds_write2_b32 v13, v74, v75 offset1:1
	v_ashrrev_i32_e32 v74, v2, v90
	v_lshlrev_b32_e32 v75, 4, v74
	v_lshlrev_b32_e32 v76, 11, v74
	s_waitcnt vmcnt(9)
	v_lshrrev_b32_e32 v77, 4, v95
	v_lshrrev_b32_e32 v78, 12, v74
	v_and_b32_e32 v80, 0xf0f0f0f, v95
	v_and_b32_e32 v75, 16, v75
	v_lshrrev_b32_e32 v79, 5, v74
	v_and_b32_e32 v77, 0xf0f0f0f, v77
	v_and_b32_e32 v78, 16, v78
	v_or_b32_e32 v75, v75, v80
	v_and_b32_e32 v76, 0x1000, v76
	v_or_b32_e32 v77, v78, v77
	;; [unrolled: 2-line block ×3, first 2 shown]
	v_lshlrev_b32_e32 v76, 2, v74
	v_or_b32_e32 v77, v77, v78
	v_lshlrev_b32_e32 v78, 18, v74
	v_and_b32_e32 v76, 0x100000, v76
	v_and_b32_e32 v78, 0x100000, v78
	v_or_b32_e32 v76, v77, v76
	v_lshlrev_b32_e32 v77, 9, v74
	v_lshlrev_b32_e32 v74, 25, v74
	v_or_b32_e32 v75, v75, v78
	v_and_b32_e32 v77, 0x10000000, v77
	v_and_b32_e32 v74, 0x10000000, v74
	v_or_b32_e32 v76, v76, v77
	v_or_b32_e32 v74, v75, v74
	ds_write2_b32 v15, v74, v76 offset1:1
	v_lshlrev_b32_e32 v74, 4, v73
	v_lshlrev_b32_e32 v75, 11, v73
	s_waitcnt vmcnt(8)
	v_lshrrev_b32_e32 v76, 4, v96
	v_lshrrev_b32_e32 v77, 12, v73
	v_and_b32_e32 v79, 0xf0f0f0f, v96
	v_and_b32_e32 v74, 16, v74
	v_lshrrev_b32_e32 v78, 5, v73
	v_and_b32_e32 v76, 0xf0f0f0f, v76
	v_and_b32_e32 v77, 16, v77
	v_or_b32_e32 v74, v74, v79
	v_and_b32_e32 v75, 0x1000, v75
	v_or_b32_e32 v76, v77, v76
	;; [unrolled: 2-line block ×3, first 2 shown]
	v_lshlrev_b32_e32 v75, 2, v73
	v_or_b32_e32 v76, v76, v77
	v_lshlrev_b32_e32 v77, 18, v73
	v_and_b32_e32 v75, 0x100000, v75
	v_and_b32_e32 v77, 0x100000, v77
	v_or_b32_e32 v75, v76, v75
	v_lshlrev_b32_e32 v76, 9, v73
	v_lshlrev_b32_e32 v73, 25, v73
	v_or_b32_e32 v74, v74, v77
	v_and_b32_e32 v76, 0x10000000, v76
	v_and_b32_e32 v73, 0x10000000, v73
	v_or_b32_e32 v75, v75, v76
	v_or_b32_e32 v73, v74, v73
	ds_write2_b32 v17, v73, v75 offset1:1
	s_waitcnt vmcnt(0)
	v_ashrrev_i32_e32 v73, v2, v104
	v_lshlrev_b32_e32 v74, 4, v73
	v_lshlrev_b32_e32 v75, 11, v73
	v_lshrrev_b32_e32 v76, 4, v97
	v_lshrrev_b32_e32 v77, 12, v73
	v_and_b32_e32 v79, 0xf0f0f0f, v97
	v_and_b32_e32 v74, 16, v74
	v_lshrrev_b32_e32 v78, 5, v73
	v_and_b32_e32 v76, 0xf0f0f0f, v76
	v_and_b32_e32 v77, 16, v77
	v_or_b32_e32 v74, v74, v79
	v_and_b32_e32 v75, 0x1000, v75
	v_or_b32_e32 v76, v77, v76
	;; [unrolled: 2-line block ×3, first 2 shown]
	v_lshlrev_b32_e32 v75, 2, v73
	v_or_b32_e32 v76, v76, v77
	v_lshlrev_b32_e32 v77, 18, v73
	v_and_b32_e32 v75, 0x100000, v75
	v_and_b32_e32 v77, 0x100000, v77
	v_or_b32_e32 v75, v76, v75
	v_lshlrev_b32_e32 v76, 9, v73
	v_lshlrev_b32_e32 v73, 25, v73
	v_or_b32_e32 v74, v74, v77
	v_and_b32_e32 v76, 0x10000000, v76
	v_and_b32_e32 v73, 0x10000000, v73
	v_or_b32_e32 v75, v75, v76
	v_or_b32_e32 v73, v74, v73
	v_lshrrev_b32_e32 v74, 4, v98
	ds_write2_b32 v19, v73, v75 offset1:1
	v_and_b32_e32 v94, 0xf0f0f0f, v74
	v_mad_u64_u32 v[74:75], s[16:17], v26, 24, v[56:57]
	v_lshl_add_u64 v[76:77], v[74:75], 0, v[2:3]
	v_mad_u64_u32 v[78:79], s[16:17], v28, 24, v[56:57]
	v_mad_u64_u32 v[82:83], s[16:17], v30, 24, v[56:57]
	;; [unrolled: 1-line block ×3, first 2 shown]
	v_ashrrev_i32_e32 v73, v2, v103
	v_and_b32_e32 v95, 0xf0f0f0f, v98
	v_lshl_add_u64 v[80:81], v[78:79], 0, v[2:3]
	v_lshl_add_u64 v[84:85], v[82:83], 0, v[2:3]
	;; [unrolled: 1-line block ×3, first 2 shown]
	global_load_dword v96, v[76:77], off offset:8
	global_load_dword v97, v[80:81], off offset:8
	;; [unrolled: 1-line block ×8, first 2 shown]
	v_lshrrev_b32_e32 v92, 12, v73
	v_lshlrev_b32_e32 v90, 4, v73
	v_lshrrev_b32_e32 v93, 5, v73
	v_and_b32_e32 v74, 16, v92
	v_lshlrev_b32_e32 v91, 11, v73
	v_and_b32_e32 v75, 16, v90
	v_or_b32_e32 v74, v74, v94
	v_and_b32_e32 v76, 0x1000, v93
	v_or_b32_e32 v75, v75, v95
	;; [unrolled: 2-line block ×3, first 2 shown]
	v_lshlrev_b32_e32 v76, 2, v73
	v_or_b32_e32 v75, v75, v77
	v_lshlrev_b32_e32 v77, 18, v73
	v_and_b32_e32 v76, 0x100000, v76
	v_and_b32_e32 v77, 0x100000, v77
	v_or_b32_e32 v74, v74, v76
	v_lshlrev_b32_e32 v76, 9, v73
	v_lshlrev_b32_e32 v73, 25, v73
	v_or_b32_e32 v75, v75, v77
	v_and_b32_e32 v76, 0x10000000, v76
	v_and_b32_e32 v73, 0x10000000, v73
	v_or_b32_e32 v74, v74, v76
	v_or_b32_e32 v73, v75, v73
	ds_write2_b32 v21, v73, v74 offset1:1
	v_ashrrev_i32_e32 v73, v2, v102
	v_lshlrev_b32_e32 v74, 4, v73
	v_lshlrev_b32_e32 v75, 11, v73
	v_lshrrev_b32_e32 v76, 4, v99
	v_lshrrev_b32_e32 v77, 12, v73
	v_and_b32_e32 v79, 0xf0f0f0f, v99
	v_and_b32_e32 v74, 16, v74
	v_lshrrev_b32_e32 v78, 5, v73
	v_and_b32_e32 v76, 0xf0f0f0f, v76
	v_and_b32_e32 v77, 16, v77
	v_or_b32_e32 v74, v74, v79
	v_and_b32_e32 v75, 0x1000, v75
	v_or_b32_e32 v76, v77, v76
	;; [unrolled: 2-line block ×3, first 2 shown]
	v_lshlrev_b32_e32 v75, 2, v73
	v_or_b32_e32 v76, v76, v77
	v_lshlrev_b32_e32 v77, 18, v73
	v_and_b32_e32 v75, 0x100000, v75
	v_and_b32_e32 v77, 0x100000, v77
	v_or_b32_e32 v75, v76, v75
	v_lshlrev_b32_e32 v76, 9, v73
	v_lshlrev_b32_e32 v73, 25, v73
	v_or_b32_e32 v74, v74, v77
	v_and_b32_e32 v76, 0x10000000, v76
	v_and_b32_e32 v73, 0x10000000, v73
	v_or_b32_e32 v75, v75, v76
	v_or_b32_e32 v73, v74, v73
	ds_write2_b32 v23, v73, v75 offset1:1
	v_ashrrev_i32_e32 v73, v2, v101
	v_lshlrev_b32_e32 v74, 4, v73
	v_lshlrev_b32_e32 v75, 11, v73
	v_lshrrev_b32_e32 v76, 4, v100
	v_lshrrev_b32_e32 v77, 12, v73
	v_and_b32_e32 v79, 0xf0f0f0f, v100
	v_and_b32_e32 v74, 16, v74
	v_lshrrev_b32_e32 v78, 5, v73
	v_and_b32_e32 v76, 0xf0f0f0f, v76
	v_and_b32_e32 v77, 16, v77
	v_or_b32_e32 v74, v74, v79
	v_and_b32_e32 v75, 0x1000, v75
	v_or_b32_e32 v76, v77, v76
	v_and_b32_e32 v77, 0x1000, v78
	v_or_b32_e32 v74, v74, v75
	v_lshlrev_b32_e32 v75, 2, v73
	v_or_b32_e32 v76, v76, v77
	v_lshlrev_b32_e32 v77, 18, v73
	v_and_b32_e32 v75, 0x100000, v75
	v_and_b32_e32 v77, 0x100000, v77
	v_or_b32_e32 v75, v76, v75
	v_lshlrev_b32_e32 v76, 9, v73
	v_lshlrev_b32_e32 v73, 25, v73
	v_or_b32_e32 v74, v74, v77
	v_and_b32_e32 v76, 0x10000000, v76
	v_and_b32_e32 v73, 0x10000000, v73
	v_or_b32_e32 v75, v75, v76
	v_or_b32_e32 v73, v74, v73
	ds_write2_b32 v25, v73, v75 offset1:1
	s_waitcnt vmcnt(0)
	v_ashrrev_i32_e32 v73, v2, v107
	v_lshlrev_b32_e32 v74, 4, v73
	v_lshlrev_b32_e32 v75, 11, v73
	v_lshrrev_b32_e32 v76, 4, v96
	v_lshrrev_b32_e32 v77, 12, v73
	v_and_b32_e32 v79, 0xf0f0f0f, v96
	v_and_b32_e32 v74, 16, v74
	v_lshrrev_b32_e32 v78, 5, v73
	v_and_b32_e32 v76, 0xf0f0f0f, v76
	v_and_b32_e32 v77, 16, v77
	v_or_b32_e32 v74, v74, v79
	v_and_b32_e32 v75, 0x1000, v75
	v_or_b32_e32 v76, v77, v76
	;; [unrolled: 2-line block ×3, first 2 shown]
	v_lshlrev_b32_e32 v75, 2, v73
	v_or_b32_e32 v76, v76, v77
	v_lshlrev_b32_e32 v77, 18, v73
	v_and_b32_e32 v75, 0x100000, v75
	v_and_b32_e32 v77, 0x100000, v77
	v_or_b32_e32 v75, v76, v75
	v_lshlrev_b32_e32 v76, 9, v73
	v_lshlrev_b32_e32 v73, 25, v73
	v_or_b32_e32 v74, v74, v77
	v_and_b32_e32 v76, 0x10000000, v76
	v_and_b32_e32 v73, 0x10000000, v73
	v_or_b32_e32 v75, v75, v76
	v_or_b32_e32 v73, v74, v73
	v_lshrrev_b32_e32 v74, 4, v97
	ds_write2_b32 v27, v73, v75 offset1:1
	v_and_b32_e32 v92, 0xf0f0f0f, v74
	v_mad_u64_u32 v[74:75], s[16:17], v34, 24, v[56:57]
	v_lshl_add_u64 v[76:77], v[74:75], 0, v[2:3]
	v_mad_u64_u32 v[78:79], s[16:17], v36, 24, v[56:57]
	v_mad_u64_u32 v[82:83], s[16:17], v38, 24, v[56:57]
	;; [unrolled: 1-line block ×3, first 2 shown]
	v_and_b32_e32 v93, 0xf0f0f0f, v97
	v_lshl_add_u64 v[80:81], v[78:79], 0, v[2:3]
	v_lshl_add_u64 v[84:85], v[82:83], 0, v[2:3]
	v_lshl_add_u64 v[86:87], v[56:57], 0, v[2:3]
	global_load_dword v94, v[76:77], off offset:8
	global_load_dword v95, v[80:81], off offset:8
	;; [unrolled: 1-line block ×8, first 2 shown]
	v_ashrrev_i32_e32 v73, v2, v106
	v_lshrrev_b32_e32 v90, 12, v73
	v_lshlrev_b32_e32 v88, 4, v73
	v_lshrrev_b32_e32 v91, 5, v73
	v_and_b32_e32 v56, 16, v90
	v_lshlrev_b32_e32 v89, 11, v73
	v_and_b32_e32 v57, 16, v88
	v_or_b32_e32 v56, v56, v92
	v_and_b32_e32 v74, 0x1000, v91
	v_or_b32_e32 v57, v57, v93
	;; [unrolled: 2-line block ×3, first 2 shown]
	v_lshlrev_b32_e32 v74, 2, v73
	v_or_b32_e32 v57, v57, v75
	v_lshlrev_b32_e32 v75, 18, v73
	v_and_b32_e32 v74, 0x100000, v74
	v_and_b32_e32 v75, 0x100000, v75
	v_or_b32_e32 v56, v56, v74
	v_lshlrev_b32_e32 v74, 9, v73
	v_lshlrev_b32_e32 v73, 25, v73
	v_or_b32_e32 v57, v57, v75
	v_and_b32_e32 v74, 0x10000000, v74
	v_and_b32_e32 v73, 0x10000000, v73
	v_or_b32_e32 v56, v56, v74
	v_or_b32_e32 v57, v57, v73
	ds_write2_b32 v29, v57, v56 offset1:1
	v_ashrrev_i32_e32 v56, v2, v105
	v_lshlrev_b32_e32 v57, 4, v56
	v_lshlrev_b32_e32 v73, 11, v56
	v_lshrrev_b32_e32 v74, 4, v98
	v_lshrrev_b32_e32 v75, 12, v56
	v_and_b32_e32 v77, 0xf0f0f0f, v98
	v_and_b32_e32 v57, 16, v57
	v_lshrrev_b32_e32 v76, 5, v56
	v_and_b32_e32 v74, 0xf0f0f0f, v74
	v_and_b32_e32 v75, 16, v75
	v_or_b32_e32 v57, v57, v77
	v_and_b32_e32 v73, 0x1000, v73
	v_or_b32_e32 v74, v75, v74
	;; [unrolled: 2-line block ×3, first 2 shown]
	v_lshlrev_b32_e32 v73, 2, v56
	v_or_b32_e32 v74, v74, v75
	v_lshlrev_b32_e32 v75, 18, v56
	v_and_b32_e32 v73, 0x100000, v73
	v_and_b32_e32 v75, 0x100000, v75
	v_or_b32_e32 v73, v74, v73
	v_lshlrev_b32_e32 v74, 9, v56
	v_lshlrev_b32_e32 v56, 25, v56
	v_or_b32_e32 v57, v57, v75
	v_and_b32_e32 v74, 0x10000000, v74
	v_and_b32_e32 v56, 0x10000000, v56
	v_or_b32_e32 v73, v73, v74
	v_or_b32_e32 v56, v57, v56
	ds_write2_b32 v31, v56, v73 offset1:1
	v_ashrrev_i32_e32 v56, v2, v104
	v_lshlrev_b32_e32 v57, 4, v56
	v_lshlrev_b32_e32 v73, 11, v56
	v_lshrrev_b32_e32 v74, 4, v103
	v_lshrrev_b32_e32 v75, 12, v56
	v_and_b32_e32 v77, 0xf0f0f0f, v103
	v_and_b32_e32 v57, 16, v57
	v_lshrrev_b32_e32 v76, 5, v56
	v_and_b32_e32 v74, 0xf0f0f0f, v74
	v_and_b32_e32 v75, 16, v75
	v_or_b32_e32 v57, v57, v77
	v_and_b32_e32 v73, 0x1000, v73
	v_or_b32_e32 v74, v75, v74
	;; [unrolled: 2-line block ×3, first 2 shown]
	v_lshlrev_b32_e32 v73, 2, v56
	v_or_b32_e32 v74, v74, v75
	v_lshlrev_b32_e32 v75, 18, v56
	v_and_b32_e32 v73, 0x100000, v73
	v_and_b32_e32 v75, 0x100000, v75
	v_or_b32_e32 v73, v74, v73
	v_lshlrev_b32_e32 v74, 9, v56
	v_lshlrev_b32_e32 v56, 25, v56
	v_or_b32_e32 v57, v57, v75
	v_and_b32_e32 v74, 0x10000000, v74
	v_and_b32_e32 v56, 0x10000000, v56
	v_or_b32_e32 v73, v73, v74
	v_or_b32_e32 v56, v57, v56
	ds_write2_b32 v33, v56, v73 offset1:1
	s_waitcnt vmcnt(0)
	v_ashrrev_i32_e32 v56, v2, v102
	v_lshlrev_b32_e32 v57, 4, v56
	v_lshlrev_b32_e32 v73, 11, v56
	v_lshrrev_b32_e32 v74, 4, v94
	v_lshrrev_b32_e32 v75, 12, v56
	v_and_b32_e32 v77, 0xf0f0f0f, v94
	v_and_b32_e32 v57, 16, v57
	v_lshrrev_b32_e32 v76, 5, v56
	v_and_b32_e32 v74, 0xf0f0f0f, v74
	v_and_b32_e32 v75, 16, v75
	v_or_b32_e32 v57, v57, v77
	v_and_b32_e32 v73, 0x1000, v73
	v_or_b32_e32 v74, v75, v74
	;; [unrolled: 2-line block ×3, first 2 shown]
	v_lshlrev_b32_e32 v73, 2, v56
	v_or_b32_e32 v74, v74, v75
	v_lshlrev_b32_e32 v75, 18, v56
	v_and_b32_e32 v73, 0x100000, v73
	v_and_b32_e32 v75, 0x100000, v75
	v_or_b32_e32 v73, v74, v73
	v_lshlrev_b32_e32 v74, 9, v56
	v_lshlrev_b32_e32 v56, 25, v56
	v_or_b32_e32 v57, v57, v75
	v_and_b32_e32 v74, 0x10000000, v74
	v_and_b32_e32 v56, 0x10000000, v56
	v_or_b32_e32 v73, v73, v74
	v_or_b32_e32 v56, v57, v56
	ds_write2_b32 v35, v56, v73 offset1:1
	v_ashrrev_i32_e32 v73, v2, v101
	v_lshlrev_b32_e32 v56, 4, v73
	v_lshrrev_b32_e32 v57, 4, v95
	v_lshrrev_b32_e32 v74, 12, v73
	v_and_b32_e32 v57, 0xf0f0f0f, v57
	v_and_b32_e32 v76, 0xf0f0f0f, v95
	;; [unrolled: 1-line block ×4, first 2 shown]
	v_lshrrev_b32_e32 v75, 5, v73
	v_or_b32_e32 v81, v74, v57
	v_or_b32_e32 v82, v56, v76
	v_mad_u64_u32 v[56:57], s[2:3], v42, 24, s[2:3]
	v_and_b32_e32 v83, 0x1000, v75
	v_mad_u64_u32 v[74:75], s[2:3], v44, 24, v[56:57]
	v_mad_u64_u32 v[76:77], s[2:3], v46, 24, v[56:57]
	;; [unrolled: 1-line block ×4, first 2 shown]
	global_load_dword v84, v[74:75], off
	global_load_dword v85, v[76:77], off
	;; [unrolled: 1-line block ×3, first 2 shown]
	v_lshlrev_b32_e32 v80, 11, v73
	global_load_dword v56, v[56:57], off
	v_lshlrev_b32_e32 v75, 2, v73
	v_and_b32_e32 v57, 0x1000, v80
	v_or_b32_e32 v74, v81, v83
	v_lshlrev_b32_e32 v76, 18, v73
	v_and_b32_e32 v75, 0x100000, v75
	v_or_b32_e32 v57, v82, v57
	v_and_b32_e32 v76, 0x100000, v76
	v_or_b32_e32 v74, v74, v75
	v_lshlrev_b32_e32 v75, 9, v73
	v_lshlrev_b32_e32 v73, 25, v73
	v_or_b32_e32 v57, v57, v76
	v_and_b32_e32 v75, 0x10000000, v75
	v_and_b32_e32 v73, 0x10000000, v73
	v_or_b32_e32 v74, v74, v75
	v_or_b32_e32 v57, v57, v73
	ds_write2_b32 v37, v57, v74 offset1:1
	v_ashrrev_i32_e32 v57, v2, v100
	v_lshlrev_b32_e32 v73, 4, v57
	v_lshlrev_b32_e32 v74, 11, v57
	v_lshrrev_b32_e32 v75, 4, v96
	v_lshrrev_b32_e32 v76, 12, v57
	v_and_b32_e32 v78, 0xf0f0f0f, v96
	v_and_b32_e32 v73, 16, v73
	v_lshrrev_b32_e32 v77, 5, v57
	v_and_b32_e32 v75, 0xf0f0f0f, v75
	v_and_b32_e32 v76, 16, v76
	v_or_b32_e32 v73, v73, v78
	v_and_b32_e32 v74, 0x1000, v74
	v_or_b32_e32 v75, v76, v75
	;; [unrolled: 2-line block ×3, first 2 shown]
	v_lshlrev_b32_e32 v74, 2, v57
	v_or_b32_e32 v75, v75, v76
	v_lshlrev_b32_e32 v76, 18, v57
	v_and_b32_e32 v74, 0x100000, v74
	v_and_b32_e32 v76, 0x100000, v76
	v_or_b32_e32 v74, v75, v74
	v_lshlrev_b32_e32 v75, 9, v57
	v_lshlrev_b32_e32 v57, 25, v57
	v_or_b32_e32 v73, v73, v76
	v_and_b32_e32 v75, 0x10000000, v75
	v_and_b32_e32 v57, 0x10000000, v57
	v_or_b32_e32 v74, v74, v75
	v_or_b32_e32 v57, v73, v57
	ds_write2_b32 v39, v57, v74 offset1:1
	v_ashrrev_i32_e32 v57, v2, v99
	v_lshlrev_b32_e32 v73, 4, v57
	v_lshlrev_b32_e32 v74, 11, v57
	v_lshrrev_b32_e32 v75, 4, v97
	v_lshrrev_b32_e32 v76, 12, v57
	v_and_b32_e32 v78, 0xf0f0f0f, v97
	v_and_b32_e32 v73, 16, v73
	v_lshrrev_b32_e32 v77, 5, v57
	v_and_b32_e32 v75, 0xf0f0f0f, v75
	v_and_b32_e32 v76, 16, v76
	v_or_b32_e32 v73, v73, v78
	v_and_b32_e32 v74, 0x1000, v74
	v_or_b32_e32 v75, v76, v75
	;; [unrolled: 2-line block ×3, first 2 shown]
	v_lshlrev_b32_e32 v74, 2, v57
	v_or_b32_e32 v75, v75, v76
	v_lshlrev_b32_e32 v76, 18, v57
	v_and_b32_e32 v74, 0x100000, v74
	v_and_b32_e32 v76, 0x100000, v76
	v_or_b32_e32 v74, v75, v74
	v_lshlrev_b32_e32 v75, 9, v57
	v_lshlrev_b32_e32 v57, 25, v57
	v_or_b32_e32 v73, v73, v76
	v_and_b32_e32 v75, 0x10000000, v75
	v_and_b32_e32 v57, 0x10000000, v57
	s_lshl_b32 s16, s19, 5
	v_or_b32_e32 v74, v74, v75
	v_or_b32_e32 v57, v73, v57
	s_cmp_lt_i32 s16, s15
	ds_write2_b32 v41, v57, v74 offset1:1
	s_waitcnt vmcnt(3)
	ds_write_b32 v69, v84
	s_waitcnt vmcnt(2)
	ds_write_b32 v70, v85
	;; [unrolled: 2-line block ×4, first 2 shown]
	s_cbranch_scc0 .LBB183_4
; %bb.6:                                ;   in Loop: Header=BB183_5 Depth=1
	v_add_u32_e32 v56, s19, v43
	v_cmp_gt_i32_e64 s[2:3], s5, v56
	s_and_b64 s[22:23], s[0:1], s[2:3]
	s_and_saveexec_b64 s[2:3], s[22:23]
	s_cbranch_execz .LBB183_8
; %bb.7:                                ;   in Loop: Header=BB183_5 Depth=1
	v_add_u32_e32 v56, v52, v56
	v_mad_i64_i32 v[56:57], s[22:23], v56, 36, v[54:55]
	global_load_dword v56, v[56:57], off offset:4
	s_waitcnt vmcnt(0)
	ds_write_b32 v47, v56
.LBB183_8:                              ;   in Loop: Header=BB183_5 Depth=1
	s_or_b64 exec, exec, s[2:3]
	v_add_u32_e32 v56, s19, v9
	v_cmp_gt_i32_e64 s[2:3], s5, v56
	s_and_b64 s[22:23], s[8:9], s[2:3]
	s_and_saveexec_b64 s[2:3], s[22:23]
	s_cbranch_execz .LBB183_10
; %bb.9:                                ;   in Loop: Header=BB183_5 Depth=1
	v_add_u32_e32 v57, v52, v56
	v_mad_i64_i32 v[74:75], s[22:23], v57, 36, s[10:11]
	global_load_dword v57, v[74:75], off
	s_waitcnt vmcnt(0)
	ds_write_b32 v51, v57
.LBB183_10:                             ;   in Loop: Header=BB183_5 Depth=1
	s_or_b64 exec, exec, s[2:3]
	s_mov_b32 s2, -4
	v_mov_b32_e32 v57, v45
	v_mov_b32_e32 v73, v58
	;; [unrolled: 1-line block ×7, first 2 shown]
	s_waitcnt lgkmcnt(0)
	s_barrier
.LBB183_11:                             ;   Parent Loop BB183_5 Depth=1
                                        ; =>  This Inner Loop Header: Depth=2
	ds_read_b128 v[80:83], v57
	ds_read_b128 v[84:87], v57 offset:16
	ds_read_b32 v79, v74
	ds_read_b32 v90, v75
	ds_read2_b32 v[88:89], v73 offset1:1
	v_mov_b32_e32 v94, 0
	v_mov_b32_e32 v95, 0
	v_add_u32_e32 v92, 0x4100, v73
	v_mov_b32_e32 v97, 0
	s_waitcnt lgkmcnt(0)
	v_dot4c_i32_i8_e32 v94, v88, v80
	v_dot4c_i32_i8_e32 v94, v89, v84
	ds_read2_b32 v[88:89], v73 offset0:2 offset1:3
	v_mov_b32_e32 v99, 0
	v_pk_mul_f16 v90, v79, v90
	s_add_i32 s2, s2, 4
	v_add_u32_e32 v75, 4, v75
	s_waitcnt lgkmcnt(0)
	v_dot4c_i32_i8_e32 v94, v88, v81
	v_dot4c_i32_i8_e32 v94, v89, v85
	ds_read2_b32 v[88:89], v73 offset0:4 offset1:5
	v_add_u32_e32 v74, 4, v74
	v_add_u32_e32 v57, 32, v57
	s_cmp_lt_u32 s2, 12
	s_waitcnt lgkmcnt(0)
	v_dot4c_i32_i8_e32 v94, v88, v82
	v_dot4c_i32_i8_e32 v94, v89, v86
	ds_read2_b32 v[88:89], v73 offset0:6 offset1:7
	s_waitcnt lgkmcnt(0)
	v_dot4c_i32_i8_e32 v94, v88, v83
	v_add_u32_e32 v88, 0x2080, v73
	v_dot4c_i32_i8_e32 v94, v89, v87
	ds_read_b32 v91, v76
	ds_read2_b32 v[88:89], v88 offset1:1
	v_add_u32_e32 v76, 4, v76
	s_waitcnt lgkmcnt(1)
	v_pk_mul_f16 v91, v79, v91
	s_waitcnt lgkmcnt(0)
	v_dot4c_i32_i8_e32 v95, v88, v80
	v_add_u32_e32 v88, 0x2088, v73
	v_dot4c_i32_i8_e32 v95, v89, v84
	ds_read2_b32 v[88:89], v88 offset1:1
	s_waitcnt lgkmcnt(0)
	v_dot4c_i32_i8_e32 v95, v88, v81
	v_add_u32_e32 v88, 0x2090, v73
	v_dot4c_i32_i8_e32 v95, v89, v85
	ds_read2_b32 v[88:89], v88 offset1:1
	;; [unrolled: 5-line block ×3, first 2 shown]
	ds_read_b32 v96, v77
	ds_read2_b32 v[92:93], v92 offset1:1
	v_add_u32_e32 v77, 4, v77
	s_waitcnt lgkmcnt(2)
	v_dot4c_i32_i8_e32 v95, v88, v83
	s_waitcnt lgkmcnt(0)
	v_dot4c_i32_i8_e32 v97, v92, v80
	v_add_u32_e32 v92, 0x4108, v73
	v_dot4c_i32_i8_e32 v97, v93, v84
	ds_read2_b32 v[92:93], v92 offset1:1
	v_dot4c_i32_i8_e32 v95, v89, v87
	v_pk_mul_f16 v96, v79, v96
	v_cvt_f32_f16_e32 v89, v91
	v_cvt_f32_f16_e32 v88, v90
	s_waitcnt lgkmcnt(0)
	v_dot4c_i32_i8_e32 v97, v92, v81
	v_add_u32_e32 v92, 0x4110, v73
	v_dot4c_i32_i8_e32 v97, v93, v85
	ds_read2_b32 v[92:93], v92 offset1:1
	v_cvt_f32_f16_sdwa v91, v91 dst_sel:DWORD dst_unused:UNUSED_PAD src0_sel:WORD_1
	v_cvt_f32_f16_sdwa v90, v90 dst_sel:DWORD dst_unused:UNUSED_PAD src0_sel:WORD_1
	s_waitcnt lgkmcnt(0)
	v_dot4c_i32_i8_e32 v97, v92, v82
	v_add_u32_e32 v92, 0x4118, v73
	v_dot4c_i32_i8_e32 v97, v93, v86
	ds_read2_b32 v[92:93], v92 offset1:1
	s_waitcnt lgkmcnt(0)
	v_dot4c_i32_i8_e32 v97, v92, v83
	v_add_u32_e32 v92, 0x6180, v73
	v_dot4c_i32_i8_e32 v97, v93, v87
	ds_read_b32 v98, v78
	ds_read2_b32 v[92:93], v92 offset1:1
	v_add_u32_e32 v78, 4, v78
	s_waitcnt lgkmcnt(1)
	v_pk_mul_f16 v79, v79, v98
	s_waitcnt lgkmcnt(0)
	v_dot4c_i32_i8_e32 v99, v92, v80
	v_add_u32_e32 v80, 0x6188, v73
	v_dot4c_i32_i8_e32 v99, v93, v84
	ds_read2_b32 v[92:93], v80 offset1:1
	v_add_u32_e32 v80, 0x6190, v73
	v_cvt_f32_i32_e32 v84, v97
	s_waitcnt lgkmcnt(0)
	v_dot4c_i32_i8_e32 v99, v92, v81
	ds_read2_b32 v[80:81], v80 offset1:1
	v_dot4c_i32_i8_e32 v99, v93, v85
	s_waitcnt lgkmcnt(0)
	v_dot4c_i32_i8_e32 v99, v80, v82
	v_add_u32_e32 v80, 0x6198, v73
	v_dot4c_i32_i8_e32 v99, v81, v86
	ds_read2_b32 v[80:81], v80 offset1:1
	v_cvt_f32_f16_sdwa v82, v96 dst_sel:DWORD dst_unused:UNUSED_PAD src0_sel:WORD_1
	v_cvt_f32_i32_e32 v86, v94
	v_add_u32_e32 v73, 32, v73
	s_waitcnt lgkmcnt(0)
	v_dot4c_i32_i8_e32 v99, v80, v83
	v_dot4c_i32_i8_e32 v99, v81, v87
	v_cvt_f32_f16_e32 v81, v79
	v_cvt_f32_f16_e32 v80, v96
	v_cvt_f32_f16_sdwa v83, v79 dst_sel:DWORD dst_unused:UNUSED_PAD src0_sel:WORD_1
	v_cvt_f32_i32_e32 v85, v99
	v_cvt_f32_i32_e32 v87, v95
	v_pk_fma_f32 v[80:81], v[80:81], v[84:85], v[82:83]
	v_pk_fma_f32 v[86:87], v[88:89], v[86:87], v[90:91]
	v_pk_add_f32 v[6:7], v[6:7], v[80:81]
	v_pk_add_f32 v[4:5], v[4:5], v[86:87]
	s_cbranch_scc1 .LBB183_11
; %bb.12:                               ;   in Loop: Header=BB183_5 Depth=1
	s_bitset1_b32 s16, 7
	s_cmp_ge_i32 s16, s15
	s_barrier
	s_cbranch_scc1 .LBB183_4
; %bb.13:                               ;   in Loop: Header=BB183_5 Depth=1
	v_add_u32_e32 v57, s19, v59
	v_cmp_gt_i32_e64 s[2:3], s5, v57
	s_and_b64 s[16:17], s[0:1], s[2:3]
	s_and_saveexec_b64 s[2:3], s[16:17]
	s_cbranch_execz .LBB183_15
; %bb.14:                               ;   in Loop: Header=BB183_5 Depth=1
	v_add_u32_e32 v57, v52, v57
	v_mad_i64_i32 v[74:75], s[16:17], v57, 36, v[54:55]
	global_load_dword v57, v[74:75], off offset:4
	s_waitcnt vmcnt(0)
	ds_write_b32 v47, v57
.LBB183_15:                             ;   in Loop: Header=BB183_5 Depth=1
	s_or_b64 exec, exec, s[2:3]
	s_and_saveexec_b64 s[16:17], vcc
	s_cbranch_execz .LBB183_18
; %bb.16:                               ;   in Loop: Header=BB183_5 Depth=1
	v_or_b32_e32 v57, 4, v56
	v_cmp_gt_i32_e64 s[2:3], s5, v57
	s_and_b64 s[2:3], s[0:1], s[2:3]
	s_and_b64 exec, exec, s[2:3]
	s_cbranch_execz .LBB183_18
; %bb.17:                               ;   in Loop: Header=BB183_5 Depth=1
	v_ashrrev_i32_e32 v57, 31, v56
	v_lshl_add_u64 v[56:57], v[52:53], 0, v[56:57]
	v_mad_u64_u32 v[74:75], s[2:3], v56, 36, s[10:11]
	v_mad_i32_i24 v75, v57, 36, v75
	global_load_dword v56, v[74:75], off offset:144
	s_waitcnt vmcnt(0)
	ds_write_b32 v51, v56
.LBB183_18:                             ;   in Loop: Header=BB183_5 Depth=1
	s_or_b64 exec, exec, s[16:17]
	s_mov_b32 s2, 12
	v_mov_b32_e32 v56, v49
	v_mov_b32_e32 v57, v45
	;; [unrolled: 1-line block ×7, first 2 shown]
	s_waitcnt lgkmcnt(0)
	s_barrier
.LBB183_19:                             ;   Parent Loop BB183_5 Depth=1
                                        ; =>  This Inner Loop Header: Depth=2
	ds_read_b128 v[78:81], v57
	ds_read_b32 v118, v56
	ds_read_b128 v[82:85], v57 offset:16
	ds_read2_b32 v[86:87], v73 offset1:1
	v_add_u32_e32 v94, 0x2080, v73
	v_add_u32_e32 v96, 0x2088, v73
	;; [unrolled: 1-line block ×12, first 2 shown]
	ds_read_b32 v119, v74
	ds_read2_b32 v[88:89], v73 offset0:2 offset1:3
	ds_read2_b32 v[90:91], v73 offset0:4 offset1:5
	;; [unrolled: 1-line block ×3, first 2 shown]
	ds_read_b32 v120, v75
	ds_read_b32 v121, v76
	;; [unrolled: 1-line block ×3, first 2 shown]
	ds_read2_b32 v[94:95], v94 offset1:1
	ds_read2_b32 v[96:97], v96 offset1:1
	;; [unrolled: 1-line block ×12, first 2 shown]
	v_mov_b32_e32 v124, 0
	v_mov_b32_e32 v125, 0
	;; [unrolled: 1-line block ×4, first 2 shown]
	s_waitcnt lgkmcnt(14)
	v_dot4c_i32_i8_e32 v124, v86, v78
	s_waitcnt lgkmcnt(11)
	v_dot4c_i32_i8_e32 v125, v94, v78
	;; [unrolled: 2-line block ×4, first 2 shown]
	v_dot4c_i32_i8_e32 v124, v87, v82
	v_dot4c_i32_i8_e32 v125, v95, v82
	v_dot4c_i32_i8_e32 v126, v103, v82
	v_dot4c_i32_i8_e32 v127, v111, v82
	v_dot4c_i32_i8_e32 v124, v88, v79
	v_dot4c_i32_i8_e32 v125, v96, v79
	v_dot4c_i32_i8_e32 v126, v104, v79
	s_waitcnt lgkmcnt(2)
	v_dot4c_i32_i8_e32 v127, v112, v79
	v_dot4c_i32_i8_e32 v124, v89, v83
	v_dot4c_i32_i8_e32 v125, v97, v83
	v_dot4c_i32_i8_e32 v126, v105, v83
	v_dot4c_i32_i8_e32 v127, v113, v83
	v_dot4c_i32_i8_e32 v124, v90, v80
	v_dot4c_i32_i8_e32 v125, v98, v80
	v_dot4c_i32_i8_e32 v126, v106, v80
	s_waitcnt lgkmcnt(1)
	v_dot4c_i32_i8_e32 v127, v114, v80
	;; [unrolled: 9-line block ×3, first 2 shown]
	v_pk_mul_f16 v123, v118, v119
	v_pk_mul_f16 v119, v118, v120
	;; [unrolled: 1-line block ×4, first 2 shown]
	v_dot4c_i32_i8_e32 v124, v93, v85
	v_dot4c_i32_i8_e32 v125, v101, v85
	v_dot4c_i32_i8_e32 v126, v109, v85
	v_dot4c_i32_i8_e32 v127, v117, v85
	v_cvt_f32_f16_e32 v87, v119
	v_cvt_f32_f16_e32 v86, v123
	v_cvt_f32_f16_sdwa v119, v119 dst_sel:DWORD dst_unused:UNUSED_PAD src0_sel:WORD_1
	v_cvt_f32_f16_sdwa v118, v123 dst_sel:DWORD dst_unused:UNUSED_PAD src0_sel:WORD_1
	v_cvt_f32_f16_e32 v121, v122
	v_cvt_f32_f16_e32 v120, v128
	v_cvt_f32_f16_sdwa v123, v122 dst_sel:DWORD dst_unused:UNUSED_PAD src0_sel:WORD_1
	v_cvt_f32_f16_sdwa v122, v128 dst_sel:DWORD dst_unused:UNUSED_PAD src0_sel:WORD_1
	v_cvt_f32_i32_e32 v78, v124
	v_cvt_f32_i32_e32 v81, v127
	;; [unrolled: 1-line block ×4, first 2 shown]
	s_add_i32 s2, s2, 4
	v_add_u32_e32 v77, 4, v77
	v_pk_fma_f32 v[78:79], v[86:87], v[78:79], v[118:119]
	v_pk_fma_f32 v[80:81], v[120:121], v[80:81], v[122:123]
	v_add_u32_e32 v76, 4, v76
	v_add_u32_e32 v75, 4, v75
	;; [unrolled: 1-line block ×6, first 2 shown]
	s_cmp_lt_u32 s2, 28
	v_pk_add_f32 v[6:7], v[6:7], v[80:81]
	v_pk_add_f32 v[4:5], v[4:5], v[78:79]
	s_cbranch_scc1 .LBB183_19
; %bb.20:                               ;   in Loop: Header=BB183_5 Depth=1
	s_barrier
	s_branch .LBB183_4
.LBB183_21:
	v_mov_b32_e32 v4, v3
	v_mov_b32_e32 v5, v3
	;; [unrolled: 1-line block ×3, first 2 shown]
	v_mov_b64_e32 v[6:7], v[4:5]
	v_mov_b64_e32 v[4:5], v[2:3]
.LBB183_22:
	s_mul_i32 s0, s7, s4
	s_waitcnt vmcnt(0)
	v_cmp_gt_i32_e32 vcc, s0, v1
	s_and_saveexec_b64 s[0:1], vcc
	s_cbranch_execz .LBB183_31
; %bb.23:
	v_and_b32_e32 v0, 0x3ff, v0
	v_add_u32_e32 v2, s18, v0
	v_mul_lo_u32 v0, v1, s6
	v_cmp_gt_u32_e32 vcc, s6, v2
	s_and_saveexec_b64 s[0:1], vcc
	s_cbranch_execz .LBB183_25
; %bb.24:
	v_add_u32_e32 v8, v0, v2
	v_mov_b32_e32 v9, 0
	v_lshl_add_u64 v[8:9], v[8:9], 2, s[12:13]
	global_store_dword v[8:9], v4, off
.LBB183_25:
	s_or_b64 exec, exec, s[0:1]
	v_add_u32_e32 v1, 32, v2
	v_cmp_gt_u32_e32 vcc, s6, v1
	s_and_saveexec_b64 s[0:1], vcc
	s_cbranch_execz .LBB183_27
; %bb.26:
	v_add_u32_e32 v8, v0, v1
	v_mov_b32_e32 v9, 0
	v_lshl_add_u64 v[8:9], v[8:9], 2, s[12:13]
	global_store_dword v[8:9], v5, off
.LBB183_27:
	s_or_b64 exec, exec, s[0:1]
	v_add_u32_e32 v1, 64, v2
	;; [unrolled: 11-line block ×3, first 2 shown]
	v_cmp_gt_u32_e32 vcc, s6, v1
	s_and_b64 exec, exec, vcc
	s_cbranch_execz .LBB183_31
; %bb.30:
	v_add_u32_e32 v0, v0, v1
	v_mov_b32_e32 v1, 0
	v_lshl_add_u64 v[0:1], v[0:1], 2, s[12:13]
	global_store_dword v[0:1], v7, off
.LBB183_31:
	s_endpgm
	.section	.rodata,"a",@progbits
	.p2align	6, 0x0
	.amdhsa_kernel _ZL8moe_q5_1IfLb0EEvPKvS1_PT_PKiS5_S5_iiiiiii
		.amdhsa_group_segment_fixed_size 38656
		.amdhsa_private_segment_fixed_size 0
		.amdhsa_kernarg_size 76
		.amdhsa_user_sgpr_count 2
		.amdhsa_user_sgpr_dispatch_ptr 0
		.amdhsa_user_sgpr_queue_ptr 0
		.amdhsa_user_sgpr_kernarg_segment_ptr 1
		.amdhsa_user_sgpr_dispatch_id 0
		.amdhsa_user_sgpr_kernarg_preload_length 0
		.amdhsa_user_sgpr_kernarg_preload_offset 0
		.amdhsa_user_sgpr_private_segment_size 0
		.amdhsa_uses_dynamic_stack 0
		.amdhsa_enable_private_segment 0
		.amdhsa_system_sgpr_workgroup_id_x 1
		.amdhsa_system_sgpr_workgroup_id_y 1
		.amdhsa_system_sgpr_workgroup_id_z 0
		.amdhsa_system_sgpr_workgroup_info 0
		.amdhsa_system_vgpr_workitem_id 1
		.amdhsa_next_free_vgpr 129
		.amdhsa_next_free_sgpr 96
		.amdhsa_accum_offset 132
		.amdhsa_reserve_vcc 1
		.amdhsa_float_round_mode_32 0
		.amdhsa_float_round_mode_16_64 0
		.amdhsa_float_denorm_mode_32 3
		.amdhsa_float_denorm_mode_16_64 3
		.amdhsa_dx10_clamp 1
		.amdhsa_ieee_mode 1
		.amdhsa_fp16_overflow 0
		.amdhsa_tg_split 0
		.amdhsa_exception_fp_ieee_invalid_op 0
		.amdhsa_exception_fp_denorm_src 0
		.amdhsa_exception_fp_ieee_div_zero 0
		.amdhsa_exception_fp_ieee_overflow 0
		.amdhsa_exception_fp_ieee_underflow 0
		.amdhsa_exception_fp_ieee_inexact 0
		.amdhsa_exception_int_div_zero 0
	.end_amdhsa_kernel
	.section	.text._ZL8moe_q5_1IfLb0EEvPKvS1_PT_PKiS5_S5_iiiiiii,"axG",@progbits,_ZL8moe_q5_1IfLb0EEvPKvS1_PT_PKiS5_S5_iiiiiii,comdat
.Lfunc_end183:
	.size	_ZL8moe_q5_1IfLb0EEvPKvS1_PT_PKiS5_S5_iiiiiii, .Lfunc_end183-_ZL8moe_q5_1IfLb0EEvPKvS1_PT_PKiS5_S5_iiiiiii
                                        ; -- End function
	.set _ZL8moe_q5_1IfLb0EEvPKvS1_PT_PKiS5_S5_iiiiiii.num_vgpr, 129
	.set _ZL8moe_q5_1IfLb0EEvPKvS1_PT_PKiS5_S5_iiiiiii.num_agpr, 0
	.set _ZL8moe_q5_1IfLb0EEvPKvS1_PT_PKiS5_S5_iiiiiii.numbered_sgpr, 24
	.set _ZL8moe_q5_1IfLb0EEvPKvS1_PT_PKiS5_S5_iiiiiii.num_named_barrier, 0
	.set _ZL8moe_q5_1IfLb0EEvPKvS1_PT_PKiS5_S5_iiiiiii.private_seg_size, 0
	.set _ZL8moe_q5_1IfLb0EEvPKvS1_PT_PKiS5_S5_iiiiiii.uses_vcc, 1
	.set _ZL8moe_q5_1IfLb0EEvPKvS1_PT_PKiS5_S5_iiiiiii.uses_flat_scratch, 0
	.set _ZL8moe_q5_1IfLb0EEvPKvS1_PT_PKiS5_S5_iiiiiii.has_dyn_sized_stack, 0
	.set _ZL8moe_q5_1IfLb0EEvPKvS1_PT_PKiS5_S5_iiiiiii.has_recursion, 0
	.set _ZL8moe_q5_1IfLb0EEvPKvS1_PT_PKiS5_S5_iiiiiii.has_indirect_call, 0
	.section	.AMDGPU.csdata,"",@progbits
; Kernel info:
; codeLenInByte = 6112
; TotalNumSgprs: 30
; NumVgprs: 129
; NumAgprs: 0
; TotalNumVgprs: 129
; ScratchSize: 0
; MemoryBound: 0
; FloatMode: 240
; IeeeMode: 1
; LDSByteSize: 38656 bytes/workgroup (compile time only)
; SGPRBlocks: 12
; VGPRBlocks: 16
; NumSGPRsForWavesPerEU: 102
; NumVGPRsForWavesPerEU: 129
; AccumOffset: 132
; Occupancy: 3
; WaveLimiterHint : 1
; COMPUTE_PGM_RSRC2:SCRATCH_EN: 0
; COMPUTE_PGM_RSRC2:USER_SGPR: 2
; COMPUTE_PGM_RSRC2:TRAP_HANDLER: 0
; COMPUTE_PGM_RSRC2:TGID_X_EN: 1
; COMPUTE_PGM_RSRC2:TGID_Y_EN: 1
; COMPUTE_PGM_RSRC2:TGID_Z_EN: 0
; COMPUTE_PGM_RSRC2:TIDIG_COMP_CNT: 1
; COMPUTE_PGM_RSRC3_GFX90A:ACCUM_OFFSET: 32
; COMPUTE_PGM_RSRC3_GFX90A:TG_SPLIT: 0
	.section	.text._ZL8moe_q5_1IfLb1EEvPKvS1_PT_PKiS5_S5_iiiiiii,"axG",@progbits,_ZL8moe_q5_1IfLb1EEvPKvS1_PT_PKiS5_S5_iiiiiii,comdat
	.globl	_ZL8moe_q5_1IfLb1EEvPKvS1_PT_PKiS5_S5_iiiiiii ; -- Begin function _ZL8moe_q5_1IfLb1EEvPKvS1_PT_PKiS5_S5_iiiiiii
	.p2align	8
	.type	_ZL8moe_q5_1IfLb1EEvPKvS1_PT_PKiS5_S5_iiiiiii,@function
_ZL8moe_q5_1IfLb1EEvPKvS1_PT_PKiS5_S5_iiiiiii: ; @_ZL8moe_q5_1IfLb1EEvPKvS1_PT_PKiS5_S5_iiiiiii
; %bb.0:
	s_load_dwordx4 s[4:7], s[0:1], 0x18
	s_mov_b32 s8, s3
	s_mov_b32 s9, 0
	s_lshl_b64 s[10:11], s[8:9], 2
	s_waitcnt lgkmcnt(0)
	s_add_u32 s6, s6, s10
	s_addc_u32 s7, s7, s11
	s_load_dword s3, s[6:7], 0x0
	s_waitcnt lgkmcnt(0)
	s_cmpk_gt_u32 s3, 0xff
	s_cbranch_scc1 .LBB184_31
; %bb.1:
	s_load_dwordx2 s[6:7], s[0:1], 0x28
	s_waitcnt lgkmcnt(0)
	s_load_dword s7, s[6:7], 0x0
	s_lshl_b32 s6, s8, 3
	s_waitcnt lgkmcnt(0)
	s_cmp_gt_u32 s6, s7
	s_cbranch_scc1 .LBB184_31
; %bb.2:
	v_bfe_u32 v4, v0, 10, 10
	v_mov_b32_e32 v6, s4
	v_mov_b32_e32 v7, s5
	v_add_u32_e32 v2, s6, v4
	v_mov_b32_e32 v3, 0
	v_lshl_add_u64 v[6:7], v[2:3], 2, v[6:7]
	global_load_dword v1, v[6:7], off
	s_load_dwordx8 s[4:11], s[0:1], 0x30
	s_load_dwordx2 s[16:17], s[0:1], 0x10
	s_waitcnt lgkmcnt(0)
	s_lshl_b32 s11, s2, 7
	s_mov_b32 s20, 0
	s_cmp_lt_i32 s5, 32
	s_cbranch_scc1 .LBB184_21
; %bb.3:
	s_load_dwordx4 s[12:15], s[0:1], 0x0
	s_ashr_i32 s0, s5, 31
	s_lshr_b32 s0, s0, 27
	s_add_i32 s0, s5, s0
	s_ashr_i32 s21, s0, 5
	s_ashr_i32 s0, s8, 31
	s_lshr_b32 s0, s0, 27
	s_add_i32 s0, s8, s0
	s_mul_i32 s3, s3, s4
	s_ashr_i32 s8, s0, 5
	s_ashr_i32 s0, s3, 31
	s_waitcnt lgkmcnt(0)
	s_add_u32 s1, s12, s3
	s_mul_i32 s2, s21, s11
	s_addc_u32 s0, s13, s0
	s_mul_hi_i32 s3, s2, 24
	s_mul_i32 s2, s2, 24
	s_add_u32 s4, s1, s2
	s_addc_u32 s22, s0, s3
	s_not_b32 s0, s11
	s_add_i32 s2, s6, s0
	v_and_b32_e32 v9, 0x3ff, v0
	v_min_i32_e32 v7, s2, v4
	v_lshlrev_b32_e32 v6, 3, v9
	s_movk_i32 s3, 0x104
	v_mul_lo_u32 v10, v7, s21
	v_mad_u64_u32 v[12:13], s[0:1], v7, s3, v[6:7]
	v_add_u32_e32 v7, 8, v4
	v_min_i32_e32 v7, s2, v7
	v_mul_lo_u32 v14, v7, s21
	v_mad_u64_u32 v[16:17], s[0:1], v7, s3, v[6:7]
	v_add_u32_e32 v7, 16, v4
	v_min_i32_e32 v7, s2, v7
	;; [unrolled: 4-line block ×15, first 2 shown]
	v_bfe_u32 v11, v0, 3, 7
	v_mad_u64_u32 v[72:73], s[0:1], v7, s3, v[6:7]
	v_lshl_add_u32 v6, v4, 2, v11
	v_mul_lo_u32 v70, v7, s21
	v_min_i32_e32 v7, s2, v6
	v_ashrrev_i32_e32 v13, 31, v7
	v_lshrrev_b32_e32 v13, 30, v13
	v_and_b32_e32 v74, 7, v0
	v_mul_lo_u32 v76, v7, s21
	v_add_u32_e32 v13, v7, v13
	v_lshlrev_b32_e32 v45, 5, v7
	v_add_u32_e32 v7, 32, v6
	v_and_b32_e32 v13, -4, v13
	v_lshlrev_b32_e32 v15, 2, v74
	s_mov_b32 s0, 0x8200
	v_min_i32_e32 v7, s2, v7
	v_add3_u32 v43, v13, v15, s0
	v_ashrrev_i32_e32 v13, 31, v7
	v_lshrrev_b32_e32 v13, 30, v13
	v_mul_lo_u32 v78, v7, s21
	v_add_u32_e32 v13, v7, v13
	v_lshlrev_b32_e32 v49, 5, v7
	v_add_u32_e32 v7, 64, v6
	v_and_b32_e32 v13, -4, v13
	v_min_i32_e32 v7, s2, v7
	v_add3_u32 v47, v13, v15, s0
	v_ashrrev_i32_e32 v13, 31, v7
	v_add_u32_e32 v6, 0x60, v6
	v_lshrrev_b32_e32 v13, 30, v13
	v_min_i32_e32 v6, s2, v6
	v_mul_lo_u32 v80, v7, s21
	v_add_u32_e32 v13, v7, v13
	v_lshlrev_b32_e32 v53, 5, v7
	v_ashrrev_i32_e32 v7, 31, v6
	v_mov_b32_e32 v17, 0x9680
	v_lshlrev_b32_e32 v5, 2, v9
	v_lshrrev_b32_e32 v7, 30, v7
	v_lshl_add_u32 v17, v4, 4, v17
	s_abs_i32 s2, s10
	v_and_b32_e32 v2, 12, v5
	v_mul_lo_u32 v82, v6, s21
	v_add_u32_e32 v7, v6, v7
	v_lshlrev_b32_e32 v57, 5, v6
	v_and_b32_e32 v6, 28, v5
	v_add_u32_e32 v19, v17, v5
	v_cvt_f32_u32_e32 v5, s2
	v_and_b32_e32 v13, -4, v13
	v_and_b32_e32 v7, -4, v7
	v_add3_u32 v51, v13, v15, s0
	v_rcp_iflag_f32_e32 v5, v5
	v_add3_u32 v55, v7, v15, s0
	s_sub_i32 s0, 0, s2
	s_waitcnt vmcnt(0)
	v_sub_u32_e32 v31, 0, v1
	v_mul_f32_e32 v5, 0x4f7ffffe, v5
	v_cvt_u32_f32_e32 v5, v5
	v_max_i32_e32 v31, v1, v31
	v_xor_b32_e32 v29, s10, v1
	v_ashrrev_i32_e32 v29, 31, v29
	v_mul_lo_u32 v33, s0, v5
	v_mul_hi_u32 v33, v5, v33
	v_add_u32_e32 v5, v5, v33
	v_mul_hi_u32 v5, v31, v5
	v_mul_lo_u32 v33, v5, s2
	v_sub_u32_e32 v31, v31, v33
	v_add_u32_e32 v33, 1, v5
	v_cmp_le_u32_e64 s[0:1], s2, v31
	v_mov_b32_e32 v13, 0x9280
	v_lshl_add_u32 v13, v4, 7, v13
	v_cndmask_b32_e64 v5, v5, v33, s[0:1]
	v_subrev_u32_e32 v33, s2, v31
	v_cndmask_b32_e64 v31, v31, v33, s[0:1]
	v_add_u32_e32 v33, 1, v5
	v_cmp_le_u32_e64 s[0:1], s2, v31
	v_add_u32_e32 v4, 32, v9
	v_mov_b32_e32 v7, v3
	v_cndmask_b32_e64 v5, v5, v33, s[0:1]
	v_xor_b32_e32 v5, v5, v29
	v_sub_u32_e32 v5, v5, v29
	v_add_u32_e32 v27, 64, v9
	v_add_u32_e32 v25, 0x60, v9
	v_lshrrev_b32_e32 v23, 3, v4
	v_cmp_gt_i32_e64 s[0:1], s7, v5
	v_mul_lo_u32 v84, v5, s8
	v_lshlrev_b32_e32 v5, 5, v9
	v_and_b32_e32 v4, 0x1fc, v4
	v_lshl_add_u64 v[86:87], s[14:15], 0, v[6:7]
	v_and_b32_e32 v6, 0x1fc, v25
	v_and_b32_e32 v7, 0x1fc, v27
	v_add_u32_e32 v4, v5, v4
	v_and_b32_e32 v31, 0xfc, v0
	v_and_b32_e32 v15, 31, v0
	v_cmp_gt_u32_e32 vcc, 4, v9
	v_add_u32_e32 v6, v5, v6
	v_add_u32_e32 v7, v5, v7
	;; [unrolled: 1-line block ×5, first 2 shown]
	v_mov_b32_e32 v4, 0x80
	v_bfe_u32 v8, v0, 2, 8
	v_lshl_or_b32 v15, v15, 2, v13
	v_mul_u32_u24_e32 v21, 0x104, v9
	s_and_b64 s[12:13], vcc, s[0:1]
	v_ashrrev_i32_e32 v85, 31, v84
	v_add_u32_e32 v25, 0x8e00, v6
	v_add_u32_e32 v27, 0x8a00, v7
	;; [unrolled: 1-line block ×6, first 2 shown]
	v_mad_u32_u24 v41, v9, s3, v4
	v_mov_b32_e32 v4, v3
	v_mov_b32_e32 v5, v3
	;; [unrolled: 1-line block ×4, first 2 shown]
	v_add_u32_e32 v43, v43, v45
	v_add_u32_e32 v45, v47, v49
	;; [unrolled: 1-line block ×4, first 2 shown]
	s_branch .LBB184_5
.LBB184_4:                              ;   in Loop: Header=BB184_5 Depth=1
	s_add_i32 s20, s20, 8
	s_cmp_ge_i32 s20, s21
	s_cbranch_scc1 .LBB184_22
.LBB184_5:                              ; =>This Loop Header: Depth=1
                                        ;     Child Loop BB184_11 Depth 2
                                        ;     Child Loop BB184_19 Depth 2
	s_mul_i32 s2, s20, 24
	s_mul_hi_u32 s3, s20, 24
	s_add_u32 s2, s4, s2
	s_addc_u32 s3, s22, s3
	v_mad_u64_u32 v[88:89], s[18:19], v8, 24, s[2:3]
	v_mad_i64_i32 v[90:91], s[18:19], v10, 24, v[88:89]
	v_mad_i64_i32 v[98:99], s[18:19], v22, 24, v[88:89]
	v_lshl_add_u64 v[92:93], v[90:91], 0, v[2:3]
	v_mad_i64_i32 v[94:95], s[18:19], v14, 24, v[88:89]
	v_mad_i64_i32 v[96:97], s[18:19], v18, 24, v[88:89]
	global_load_dword v51, v[98:99], off offset:4
	global_load_dword v53, v[96:97], off offset:4
	;; [unrolled: 1-line block ×5, first 2 shown]
	v_lshl_add_u64 v[90:91], v[94:95], 0, v[2:3]
	global_load_dword v61, v[90:91], off offset:8
	v_lshl_add_u64 v[90:91], v[96:97], 0, v[2:3]
	v_lshl_add_u64 v[92:93], v[98:99], 0, v[2:3]
	global_load_dword v63, v[90:91], off offset:8
	global_load_dword v65, v[92:93], off offset:8
	v_mad_i64_i32 v[90:91], s[18:19], v26, 24, v[88:89]
	v_mad_i64_i32 v[92:93], s[18:19], v30, 24, v[88:89]
	;; [unrolled: 1-line block ×4, first 2 shown]
	v_lshl_add_u64 v[98:99], v[90:91], 0, v[2:3]
	v_lshl_add_u64 v[100:101], v[92:93], 0, v[2:3]
	;; [unrolled: 1-line block ×4, first 2 shown]
	global_load_dword v67, v[98:99], off offset:8
	global_load_dword v69, v[100:101], off offset:8
	global_load_dword v71, v[102:103], off offset:8
	global_load_dword v73, v[104:105], off offset:8
	global_load_dword v75, v[96:97], off offset:4
	global_load_dword v77, v[94:95], off offset:4
	global_load_dword v79, v[92:93], off offset:4
	global_load_dword v81, v[90:91], off offset:4
	s_lshl_b32 s6, s20, 5
	s_cmp_lt_i32 s6, s5
	s_waitcnt vmcnt(15)
	v_ashrrev_i32_e32 v51, v2, v51
	s_waitcnt vmcnt(14)
	v_ashrrev_i32_e32 v53, v2, v53
	;; [unrolled: 2-line block ×4, first 2 shown]
	s_waitcnt vmcnt(11)
	v_lshrrev_b32_e32 v83, 4, v59
	v_lshlrev_b32_e32 v91, 4, v57
	v_lshrrev_b32_e32 v93, 12, v57
	v_and_b32_e32 v59, 0xf0f0f0f, v59
	v_lshlrev_b32_e32 v92, 11, v57
	v_lshrrev_b32_e32 v94, 5, v57
	v_and_b32_e32 v83, 0xf0f0f0f, v83
	v_and_b32_e32 v93, 16, v93
	;; [unrolled: 1-line block ×3, first 2 shown]
	v_lshlrev_b32_e32 v95, 2, v57
	v_lshlrev_b32_e32 v96, 18, v57
	v_and_b32_e32 v94, 0x1000, v94
	v_and_b32_e32 v92, 0x1000, v92
	v_or_b32_e32 v83, v93, v83
	v_or_b32_e32 v59, v91, v59
	v_lshlrev_b32_e32 v97, 9, v57
	v_lshlrev_b32_e32 v57, 25, v57
	;; [unrolled: 1-line block ×3, first 2 shown]
	v_and_b32_e32 v95, 0x100000, v95
	v_and_b32_e32 v96, 0x100000, v96
	v_or_b32_e32 v83, v83, v94
	v_or_b32_e32 v59, v59, v92
	s_waitcnt vmcnt(10)
	v_lshrrev_b32_e32 v90, 4, v61
	v_and_b32_e32 v61, 0xf0f0f0f, v61
	v_lshlrev_b32_e32 v99, 11, v55
	v_lshrrev_b32_e32 v100, 12, v55
	v_and_b32_e32 v97, 0x10000000, v97
	v_and_b32_e32 v57, 0x10000000, v57
	;; [unrolled: 1-line block ×3, first 2 shown]
	v_or_b32_e32 v83, v83, v95
	v_or_b32_e32 v59, v59, v96
	v_lshrrev_b32_e32 v101, 5, v55
	v_and_b32_e32 v90, 0xf0f0f0f, v90
	v_lshlrev_b32_e32 v103, 18, v55
	v_and_b32_e32 v100, 16, v100
	v_and_b32_e32 v99, 0x1000, v99
	v_or_b32_e32 v61, v98, v61
	v_or_b32_e32 v83, v83, v97
	;; [unrolled: 1-line block ×3, first 2 shown]
	v_lshlrev_b32_e32 v102, 2, v55
	v_and_b32_e32 v101, 0x1000, v101
	v_or_b32_e32 v90, v100, v90
	v_or_b32_e32 v61, v61, v99
	ds_write2_b32 v12, v57, v83 offset1:1
	v_and_b32_e32 v57, 0x100000, v103
	v_and_b32_e32 v102, 0x100000, v102
	v_or_b32_e32 v90, v90, v101
	v_or_b32_e32 v57, v61, v57
	v_lshlrev_b32_e32 v61, 9, v55
	v_lshlrev_b32_e32 v55, 25, v55
	v_or_b32_e32 v59, v90, v102
	v_and_b32_e32 v61, 0x10000000, v61
	v_and_b32_e32 v55, 0x10000000, v55
	v_or_b32_e32 v59, v59, v61
	v_or_b32_e32 v55, v57, v55
	ds_write2_b32 v16, v55, v59 offset1:1
	v_lshlrev_b32_e32 v55, 4, v53
	v_lshlrev_b32_e32 v57, 11, v53
	s_waitcnt vmcnt(9)
	v_lshrrev_b32_e32 v59, 4, v63
	v_lshrrev_b32_e32 v61, 12, v53
	v_and_b32_e32 v63, 0xf0f0f0f, v63
	v_and_b32_e32 v55, 16, v55
	v_lshrrev_b32_e32 v83, 5, v53
	v_and_b32_e32 v59, 0xf0f0f0f, v59
	v_and_b32_e32 v61, 16, v61
	v_or_b32_e32 v55, v55, v63
	v_and_b32_e32 v57, 0x1000, v57
	v_or_b32_e32 v59, v61, v59
	v_and_b32_e32 v61, 0x1000, v83
	v_or_b32_e32 v55, v55, v57
	v_lshlrev_b32_e32 v57, 2, v53
	v_or_b32_e32 v59, v59, v61
	v_lshlrev_b32_e32 v61, 18, v53
	v_and_b32_e32 v57, 0x100000, v57
	v_and_b32_e32 v61, 0x100000, v61
	v_or_b32_e32 v57, v59, v57
	v_lshlrev_b32_e32 v59, 9, v53
	v_lshlrev_b32_e32 v53, 25, v53
	v_or_b32_e32 v55, v55, v61
	v_and_b32_e32 v59, 0x10000000, v59
	v_and_b32_e32 v53, 0x10000000, v53
	v_or_b32_e32 v57, v57, v59
	v_or_b32_e32 v53, v55, v53
	ds_write2_b32 v20, v53, v57 offset1:1
	v_lshlrev_b32_e32 v53, 4, v51
	v_lshlrev_b32_e32 v55, 11, v51
	s_waitcnt vmcnt(8)
	v_lshrrev_b32_e32 v57, 4, v65
	v_lshrrev_b32_e32 v59, 12, v51
	v_and_b32_e32 v63, 0xf0f0f0f, v65
	v_and_b32_e32 v53, 16, v53
	v_lshrrev_b32_e32 v61, 5, v51
	v_and_b32_e32 v57, 0xf0f0f0f, v57
	v_and_b32_e32 v59, 16, v59
	v_or_b32_e32 v53, v53, v63
	v_and_b32_e32 v55, 0x1000, v55
	v_or_b32_e32 v57, v59, v57
	;; [unrolled: 2-line block ×3, first 2 shown]
	v_lshlrev_b32_e32 v55, 2, v51
	v_or_b32_e32 v57, v57, v59
	v_lshlrev_b32_e32 v59, 18, v51
	v_and_b32_e32 v55, 0x100000, v55
	v_and_b32_e32 v59, 0x100000, v59
	v_or_b32_e32 v55, v57, v55
	v_lshlrev_b32_e32 v57, 9, v51
	v_lshlrev_b32_e32 v51, 25, v51
	v_or_b32_e32 v53, v53, v59
	v_and_b32_e32 v57, 0x10000000, v57
	v_and_b32_e32 v51, 0x10000000, v51
	v_or_b32_e32 v55, v55, v57
	v_or_b32_e32 v51, v53, v51
	ds_write2_b32 v24, v51, v55 offset1:1
	s_waitcnt vmcnt(0)
	v_ashrrev_i32_e32 v51, v2, v81
	v_lshlrev_b32_e32 v53, 4, v51
	v_lshlrev_b32_e32 v55, 11, v51
	v_lshrrev_b32_e32 v57, 4, v67
	v_lshrrev_b32_e32 v59, 12, v51
	v_and_b32_e32 v63, 0xf0f0f0f, v67
	v_and_b32_e32 v53, 16, v53
	v_lshrrev_b32_e32 v61, 5, v51
	v_and_b32_e32 v57, 0xf0f0f0f, v57
	v_and_b32_e32 v59, 16, v59
	v_or_b32_e32 v53, v53, v63
	v_and_b32_e32 v55, 0x1000, v55
	v_or_b32_e32 v57, v59, v57
	;; [unrolled: 2-line block ×3, first 2 shown]
	v_lshlrev_b32_e32 v55, 2, v51
	v_or_b32_e32 v57, v57, v59
	v_lshlrev_b32_e32 v59, 18, v51
	v_and_b32_e32 v55, 0x100000, v55
	v_and_b32_e32 v59, 0x100000, v59
	v_or_b32_e32 v55, v57, v55
	v_lshlrev_b32_e32 v57, 9, v51
	v_lshlrev_b32_e32 v51, 25, v51
	v_or_b32_e32 v53, v53, v59
	v_and_b32_e32 v57, 0x10000000, v57
	v_and_b32_e32 v51, 0x10000000, v51
	v_or_b32_e32 v55, v55, v57
	v_or_b32_e32 v51, v53, v51
	v_mad_i64_i32 v[90:91], s[18:19], v42, 24, v[88:89]
	ds_write2_b32 v28, v51, v55 offset1:1
	v_lshl_add_u64 v[92:93], v[90:91], 0, v[2:3]
	v_mad_i64_i32 v[94:95], s[18:19], v46, 24, v[88:89]
	v_mad_i64_i32 v[98:99], s[18:19], v50, 24, v[88:89]
	v_mad_i64_i32 v[102:103], s[18:19], v54, 24, v[88:89]
	v_ashrrev_i32_e32 v51, v2, v79
	v_lshrrev_b32_e32 v57, 4, v69
	v_and_b32_e32 v63, 0xf0f0f0f, v69
	v_lshl_add_u64 v[96:97], v[94:95], 0, v[2:3]
	v_lshl_add_u64 v[100:101], v[98:99], 0, v[2:3]
	;; [unrolled: 1-line block ×3, first 2 shown]
	global_load_dword v65, v[92:93], off offset:8
	global_load_dword v67, v[96:97], off offset:8
	global_load_dword v69, v[100:101], off offset:8
	global_load_dword v79, v[104:105], off offset:8
	global_load_dword v81, v[102:103], off offset:4
	global_load_dword v83, v[98:99], off offset:4
	global_load_dword v106, v[94:95], off offset:4
	global_load_dword v107, v[90:91], off offset:4
	v_lshlrev_b32_e32 v53, 4, v51
	v_lshlrev_b32_e32 v55, 11, v51
	v_lshrrev_b32_e32 v59, 12, v51
	v_and_b32_e32 v53, 16, v53
	v_lshrrev_b32_e32 v61, 5, v51
	v_and_b32_e32 v57, 0xf0f0f0f, v57
	v_and_b32_e32 v59, 16, v59
	v_or_b32_e32 v53, v53, v63
	v_and_b32_e32 v55, 0x1000, v55
	v_or_b32_e32 v57, v59, v57
	;; [unrolled: 2-line block ×3, first 2 shown]
	v_lshlrev_b32_e32 v55, 2, v51
	v_or_b32_e32 v57, v57, v59
	v_lshlrev_b32_e32 v59, 18, v51
	v_and_b32_e32 v55, 0x100000, v55
	v_and_b32_e32 v59, 0x100000, v59
	v_or_b32_e32 v55, v57, v55
	v_lshlrev_b32_e32 v57, 9, v51
	v_lshlrev_b32_e32 v51, 25, v51
	v_or_b32_e32 v53, v53, v59
	v_and_b32_e32 v57, 0x10000000, v57
	v_and_b32_e32 v51, 0x10000000, v51
	v_or_b32_e32 v55, v55, v57
	v_or_b32_e32 v51, v53, v51
	ds_write2_b32 v32, v51, v55 offset1:1
	v_ashrrev_i32_e32 v51, v2, v77
	v_lshlrev_b32_e32 v53, 4, v51
	v_lshlrev_b32_e32 v55, 11, v51
	v_lshrrev_b32_e32 v57, 4, v71
	v_lshrrev_b32_e32 v59, 12, v51
	v_and_b32_e32 v63, 0xf0f0f0f, v71
	v_and_b32_e32 v53, 16, v53
	v_lshrrev_b32_e32 v61, 5, v51
	v_and_b32_e32 v57, 0xf0f0f0f, v57
	v_and_b32_e32 v59, 16, v59
	v_or_b32_e32 v53, v53, v63
	v_and_b32_e32 v55, 0x1000, v55
	v_or_b32_e32 v57, v59, v57
	;; [unrolled: 2-line block ×3, first 2 shown]
	v_lshlrev_b32_e32 v55, 2, v51
	v_or_b32_e32 v57, v57, v59
	v_lshlrev_b32_e32 v59, 18, v51
	v_and_b32_e32 v55, 0x100000, v55
	v_and_b32_e32 v59, 0x100000, v59
	v_or_b32_e32 v55, v57, v55
	v_lshlrev_b32_e32 v57, 9, v51
	v_lshlrev_b32_e32 v51, 25, v51
	v_or_b32_e32 v53, v53, v59
	v_and_b32_e32 v57, 0x10000000, v57
	v_and_b32_e32 v51, 0x10000000, v51
	v_or_b32_e32 v55, v55, v57
	v_or_b32_e32 v51, v53, v51
	ds_write2_b32 v36, v51, v55 offset1:1
	v_ashrrev_i32_e32 v51, v2, v75
	v_lshlrev_b32_e32 v53, 4, v51
	v_lshlrev_b32_e32 v55, 11, v51
	v_lshrrev_b32_e32 v57, 4, v73
	v_lshrrev_b32_e32 v59, 12, v51
	v_and_b32_e32 v63, 0xf0f0f0f, v73
	v_and_b32_e32 v53, 16, v53
	v_lshrrev_b32_e32 v61, 5, v51
	v_and_b32_e32 v57, 0xf0f0f0f, v57
	v_and_b32_e32 v59, 16, v59
	v_or_b32_e32 v53, v53, v63
	v_and_b32_e32 v55, 0x1000, v55
	v_or_b32_e32 v57, v59, v57
	;; [unrolled: 2-line block ×3, first 2 shown]
	v_lshlrev_b32_e32 v55, 2, v51
	v_or_b32_e32 v57, v57, v59
	v_lshlrev_b32_e32 v59, 18, v51
	v_and_b32_e32 v55, 0x100000, v55
	v_and_b32_e32 v59, 0x100000, v59
	v_or_b32_e32 v55, v57, v55
	v_lshlrev_b32_e32 v57, 9, v51
	v_lshlrev_b32_e32 v51, 25, v51
	v_or_b32_e32 v53, v53, v59
	v_and_b32_e32 v57, 0x10000000, v57
	v_and_b32_e32 v51, 0x10000000, v51
	v_or_b32_e32 v55, v55, v57
	v_or_b32_e32 v51, v53, v51
	ds_write2_b32 v40, v51, v55 offset1:1
	s_waitcnt vmcnt(0)
	v_ashrrev_i32_e32 v51, v2, v107
	v_lshlrev_b32_e32 v53, 4, v51
	v_lshlrev_b32_e32 v55, 11, v51
	v_lshrrev_b32_e32 v57, 4, v65
	v_lshrrev_b32_e32 v59, 12, v51
	v_and_b32_e32 v63, 0xf0f0f0f, v65
	v_and_b32_e32 v53, 16, v53
	v_lshrrev_b32_e32 v61, 5, v51
	v_and_b32_e32 v57, 0xf0f0f0f, v57
	v_and_b32_e32 v59, 16, v59
	v_or_b32_e32 v53, v53, v63
	v_and_b32_e32 v55, 0x1000, v55
	v_or_b32_e32 v57, v59, v57
	v_and_b32_e32 v59, 0x1000, v61
	v_or_b32_e32 v53, v53, v55
	v_lshlrev_b32_e32 v55, 2, v51
	v_or_b32_e32 v57, v57, v59
	v_lshlrev_b32_e32 v59, 18, v51
	v_and_b32_e32 v55, 0x100000, v55
	v_and_b32_e32 v59, 0x100000, v59
	v_or_b32_e32 v55, v57, v55
	v_lshlrev_b32_e32 v57, 9, v51
	v_lshlrev_b32_e32 v51, 25, v51
	v_or_b32_e32 v53, v53, v59
	v_and_b32_e32 v57, 0x10000000, v57
	v_and_b32_e32 v51, 0x10000000, v51
	v_or_b32_e32 v55, v55, v57
	v_or_b32_e32 v51, v53, v51
	v_mad_i64_i32 v[90:91], s[18:19], v58, 24, v[88:89]
	ds_write2_b32 v44, v51, v55 offset1:1
	v_lshl_add_u64 v[92:93], v[90:91], 0, v[2:3]
	v_mad_i64_i32 v[94:95], s[18:19], v62, 24, v[88:89]
	v_mad_i64_i32 v[98:99], s[18:19], v66, 24, v[88:89]
	;; [unrolled: 1-line block ×3, first 2 shown]
	v_lshrrev_b32_e32 v57, 4, v67
	v_and_b32_e32 v63, 0xf0f0f0f, v67
	v_lshl_add_u64 v[96:97], v[94:95], 0, v[2:3]
	v_lshl_add_u64 v[100:101], v[98:99], 0, v[2:3]
	;; [unrolled: 1-line block ×3, first 2 shown]
	global_load_dword v65, v[92:93], off offset:8
	global_load_dword v67, v[96:97], off offset:8
	;; [unrolled: 1-line block ×8, first 2 shown]
	v_ashrrev_i32_e32 v51, v2, v106
	v_lshlrev_b32_e32 v53, 4, v51
	v_lshlrev_b32_e32 v55, 11, v51
	v_lshrrev_b32_e32 v59, 12, v51
	v_and_b32_e32 v53, 16, v53
	v_lshrrev_b32_e32 v61, 5, v51
	v_and_b32_e32 v57, 0xf0f0f0f, v57
	v_and_b32_e32 v59, 16, v59
	v_or_b32_e32 v53, v53, v63
	v_and_b32_e32 v55, 0x1000, v55
	v_or_b32_e32 v57, v59, v57
	;; [unrolled: 2-line block ×3, first 2 shown]
	v_lshlrev_b32_e32 v55, 2, v51
	v_or_b32_e32 v57, v57, v59
	v_lshlrev_b32_e32 v59, 18, v51
	v_and_b32_e32 v55, 0x100000, v55
	v_and_b32_e32 v59, 0x100000, v59
	v_or_b32_e32 v55, v57, v55
	v_lshlrev_b32_e32 v57, 9, v51
	v_lshlrev_b32_e32 v51, 25, v51
	v_or_b32_e32 v53, v53, v59
	v_and_b32_e32 v57, 0x10000000, v57
	v_and_b32_e32 v51, 0x10000000, v51
	v_or_b32_e32 v55, v55, v57
	v_or_b32_e32 v51, v53, v51
	ds_write2_b32 v48, v51, v55 offset1:1
	v_ashrrev_i32_e32 v51, v2, v83
	v_lshlrev_b32_e32 v53, 4, v51
	v_lshlrev_b32_e32 v55, 11, v51
	v_lshrrev_b32_e32 v57, 4, v69
	v_lshrrev_b32_e32 v59, 12, v51
	v_and_b32_e32 v63, 0xf0f0f0f, v69
	v_and_b32_e32 v53, 16, v53
	v_lshrrev_b32_e32 v61, 5, v51
	v_and_b32_e32 v57, 0xf0f0f0f, v57
	v_and_b32_e32 v59, 16, v59
	v_or_b32_e32 v53, v53, v63
	v_and_b32_e32 v55, 0x1000, v55
	v_or_b32_e32 v57, v59, v57
	;; [unrolled: 2-line block ×3, first 2 shown]
	v_lshlrev_b32_e32 v55, 2, v51
	v_or_b32_e32 v57, v57, v59
	v_lshlrev_b32_e32 v59, 18, v51
	v_and_b32_e32 v55, 0x100000, v55
	v_and_b32_e32 v59, 0x100000, v59
	v_or_b32_e32 v55, v57, v55
	v_lshlrev_b32_e32 v57, 9, v51
	v_lshlrev_b32_e32 v51, 25, v51
	v_or_b32_e32 v53, v53, v59
	v_and_b32_e32 v57, 0x10000000, v57
	v_and_b32_e32 v51, 0x10000000, v51
	v_or_b32_e32 v55, v55, v57
	v_or_b32_e32 v51, v53, v51
	ds_write2_b32 v52, v51, v55 offset1:1
	v_ashrrev_i32_e32 v51, v2, v81
	v_lshlrev_b32_e32 v53, 4, v51
	v_lshlrev_b32_e32 v55, 11, v51
	v_lshrrev_b32_e32 v57, 4, v79
	v_lshrrev_b32_e32 v59, 12, v51
	v_and_b32_e32 v63, 0xf0f0f0f, v79
	v_and_b32_e32 v53, 16, v53
	v_lshrrev_b32_e32 v61, 5, v51
	v_and_b32_e32 v57, 0xf0f0f0f, v57
	v_and_b32_e32 v59, 16, v59
	v_or_b32_e32 v53, v53, v63
	v_and_b32_e32 v55, 0x1000, v55
	v_or_b32_e32 v57, v59, v57
	;; [unrolled: 2-line block ×3, first 2 shown]
	v_lshlrev_b32_e32 v55, 2, v51
	v_or_b32_e32 v57, v57, v59
	v_lshlrev_b32_e32 v59, 18, v51
	v_and_b32_e32 v55, 0x100000, v55
	v_and_b32_e32 v59, 0x100000, v59
	v_or_b32_e32 v55, v57, v55
	v_lshlrev_b32_e32 v57, 9, v51
	v_lshlrev_b32_e32 v51, 25, v51
	v_or_b32_e32 v53, v53, v59
	v_and_b32_e32 v57, 0x10000000, v57
	v_and_b32_e32 v51, 0x10000000, v51
	v_or_b32_e32 v55, v55, v57
	v_or_b32_e32 v51, v53, v51
	ds_write2_b32 v56, v51, v55 offset1:1
	s_waitcnt vmcnt(0)
	v_ashrrev_i32_e32 v51, v2, v105
	v_lshlrev_b32_e32 v53, 4, v51
	v_lshlrev_b32_e32 v55, 11, v51
	v_lshrrev_b32_e32 v57, 4, v65
	v_lshrrev_b32_e32 v59, 12, v51
	v_and_b32_e32 v63, 0xf0f0f0f, v65
	v_and_b32_e32 v53, 16, v53
	v_lshrrev_b32_e32 v61, 5, v51
	v_and_b32_e32 v57, 0xf0f0f0f, v57
	v_and_b32_e32 v59, 16, v59
	v_or_b32_e32 v53, v53, v63
	v_and_b32_e32 v55, 0x1000, v55
	v_or_b32_e32 v57, v59, v57
	;; [unrolled: 2-line block ×3, first 2 shown]
	v_lshlrev_b32_e32 v55, 2, v51
	v_or_b32_e32 v57, v57, v59
	v_lshlrev_b32_e32 v59, 18, v51
	v_and_b32_e32 v55, 0x100000, v55
	v_and_b32_e32 v59, 0x100000, v59
	v_or_b32_e32 v55, v57, v55
	v_lshlrev_b32_e32 v57, 9, v51
	v_lshlrev_b32_e32 v51, 25, v51
	v_or_b32_e32 v53, v53, v59
	v_and_b32_e32 v57, 0x10000000, v57
	v_and_b32_e32 v51, 0x10000000, v51
	v_or_b32_e32 v55, v55, v57
	v_or_b32_e32 v51, v53, v51
	ds_write2_b32 v60, v51, v55 offset1:1
	v_ashrrev_i32_e32 v51, v2, v104
	v_lshlrev_b32_e32 v53, 4, v51
	v_lshrrev_b32_e32 v57, 4, v67
	v_lshrrev_b32_e32 v59, 12, v51
	v_mad_u64_u32 v[88:89], s[2:3], v74, 24, s[2:3]
	v_lshrrev_b32_e32 v61, 5, v51
	v_and_b32_e32 v57, 0xf0f0f0f, v57
	v_and_b32_e32 v63, 0xf0f0f0f, v67
	;; [unrolled: 1-line block ×4, first 2 shown]
	v_mad_i64_i32 v[90:91], s[2:3], v76, 24, v[88:89]
	v_mad_i64_i32 v[92:93], s[2:3], v78, 24, v[88:89]
	;; [unrolled: 1-line block ×4, first 2 shown]
	v_or_b32_e32 v57, v59, v57
	v_or_b32_e32 v53, v53, v63
	v_and_b32_e32 v59, 0x1000, v61
	global_load_dword v61, v[90:91], off
	global_load_dword v63, v[92:93], off
	;; [unrolled: 1-line block ×4, first 2 shown]
	v_lshlrev_b32_e32 v55, 11, v51
	v_and_b32_e32 v55, 0x1000, v55
	v_or_b32_e32 v53, v53, v55
	v_lshlrev_b32_e32 v55, 2, v51
	v_or_b32_e32 v57, v57, v59
	v_lshlrev_b32_e32 v59, 18, v51
	v_and_b32_e32 v55, 0x100000, v55
	v_and_b32_e32 v59, 0x100000, v59
	v_or_b32_e32 v55, v57, v55
	v_lshlrev_b32_e32 v57, 9, v51
	v_lshlrev_b32_e32 v51, 25, v51
	v_or_b32_e32 v53, v53, v59
	v_and_b32_e32 v57, 0x10000000, v57
	v_and_b32_e32 v51, 0x10000000, v51
	v_or_b32_e32 v55, v55, v57
	v_or_b32_e32 v51, v53, v51
	ds_write2_b32 v64, v51, v55 offset1:1
	v_ashrrev_i32_e32 v51, v2, v77
	v_lshlrev_b32_e32 v53, 4, v51
	v_lshlrev_b32_e32 v55, 11, v51
	v_lshrrev_b32_e32 v57, 4, v71
	v_lshrrev_b32_e32 v59, 12, v51
	v_and_b32_e32 v71, 0xf0f0f0f, v71
	v_and_b32_e32 v53, 16, v53
	v_lshrrev_b32_e32 v69, 5, v51
	v_and_b32_e32 v57, 0xf0f0f0f, v57
	v_and_b32_e32 v59, 16, v59
	v_or_b32_e32 v53, v53, v71
	v_and_b32_e32 v55, 0x1000, v55
	v_or_b32_e32 v57, v59, v57
	v_and_b32_e32 v59, 0x1000, v69
	v_or_b32_e32 v53, v53, v55
	v_lshlrev_b32_e32 v55, 2, v51
	v_or_b32_e32 v57, v57, v59
	v_lshlrev_b32_e32 v59, 18, v51
	v_and_b32_e32 v55, 0x100000, v55
	v_and_b32_e32 v59, 0x100000, v59
	v_or_b32_e32 v55, v57, v55
	v_lshlrev_b32_e32 v57, 9, v51
	v_lshlrev_b32_e32 v51, 25, v51
	v_or_b32_e32 v53, v53, v59
	v_and_b32_e32 v57, 0x10000000, v57
	v_and_b32_e32 v51, 0x10000000, v51
	v_or_b32_e32 v55, v55, v57
	v_or_b32_e32 v51, v53, v51
	ds_write2_b32 v68, v51, v55 offset1:1
	v_ashrrev_i32_e32 v51, v2, v75
	v_lshlrev_b32_e32 v53, 4, v51
	v_lshlrev_b32_e32 v55, 11, v51
	v_lshrrev_b32_e32 v57, 4, v73
	v_lshrrev_b32_e32 v59, 12, v51
	v_and_b32_e32 v71, 0xf0f0f0f, v73
	v_and_b32_e32 v53, 16, v53
	v_lshrrev_b32_e32 v69, 5, v51
	v_and_b32_e32 v57, 0xf0f0f0f, v57
	v_and_b32_e32 v59, 16, v59
	v_or_b32_e32 v53, v53, v71
	v_and_b32_e32 v55, 0x1000, v55
	v_or_b32_e32 v57, v59, v57
	;; [unrolled: 2-line block ×3, first 2 shown]
	v_lshlrev_b32_e32 v55, 2, v51
	v_or_b32_e32 v57, v57, v59
	v_lshlrev_b32_e32 v59, 18, v51
	v_and_b32_e32 v55, 0x100000, v55
	v_and_b32_e32 v59, 0x100000, v59
	v_or_b32_e32 v55, v57, v55
	v_lshlrev_b32_e32 v57, 9, v51
	v_lshlrev_b32_e32 v51, 25, v51
	v_or_b32_e32 v53, v53, v59
	v_and_b32_e32 v57, 0x10000000, v57
	v_and_b32_e32 v51, 0x10000000, v51
	v_or_b32_e32 v55, v55, v57
	v_or_b32_e32 v51, v53, v51
	ds_write2_b32 v72, v51, v55 offset1:1
	s_waitcnt vmcnt(3)
	ds_write_b32 v43, v61
	s_waitcnt vmcnt(2)
	ds_write_b32 v45, v63
	;; [unrolled: 2-line block ×4, first 2 shown]
	s_cbranch_scc0 .LBB184_4
; %bb.6:                                ;   in Loop: Header=BB184_5 Depth=1
	v_add_u32_e32 v51, s20, v11
	v_cmp_gt_i32_e64 s[2:3], s8, v51
	s_and_b64 s[18:19], s[0:1], s[2:3]
	s_and_saveexec_b64 s[2:3], s[18:19]
	s_cbranch_execz .LBB184_8
; %bb.7:                                ;   in Loop: Header=BB184_5 Depth=1
	v_add_u32_e32 v51, v84, v51
	v_mad_i64_i32 v[88:89], s[18:19], v51, 36, v[86:87]
	global_load_dword v51, v[88:89], off offset:4
	s_waitcnt vmcnt(0)
	ds_write_b32 v15, v51
.LBB184_8:                              ;   in Loop: Header=BB184_5 Depth=1
	s_or_b64 exec, exec, s[2:3]
	v_add_u32_e32 v88, s20, v9
	v_cmp_gt_i32_e64 s[2:3], s8, v88
	s_and_b64 s[18:19], s[12:13], s[2:3]
	s_and_saveexec_b64 s[2:3], s[18:19]
	s_cbranch_execz .LBB184_10
; %bb.9:                                ;   in Loop: Header=BB184_5 Depth=1
	v_add_u32_e32 v51, v84, v88
	v_mad_i64_i32 v[90:91], s[18:19], v51, 36, s[14:15]
	global_load_dword v51, v[90:91], off
	s_waitcnt vmcnt(0)
	ds_write_b32 v19, v51
.LBB184_10:                             ;   in Loop: Header=BB184_5 Depth=1
	s_or_b64 exec, exec, s[2:3]
	s_mov_b32 s2, -4
	v_mov_b32_e32 v51, v13
	v_mov_b32_e32 v53, v21
	;; [unrolled: 1-line block ×7, first 2 shown]
	s_waitcnt lgkmcnt(0)
	s_barrier
.LBB184_11:                             ;   Parent Loop BB184_5 Depth=1
                                        ; =>  This Inner Loop Header: Depth=2
	ds_read_b128 v[90:93], v51
	ds_read_b128 v[94:97], v51 offset:16
	ds_read_b32 v65, v55
	ds_read_b32 v67, v57
	ds_read2_b32 v[98:99], v53 offset1:1
	v_mov_b32_e32 v69, 0
	v_add_u32_e32 v71, 0x2080, v53
	v_add_u32_e32 v75, 0x2088, v53
	s_waitcnt lgkmcnt(1)
	v_pk_mul_f16 v67, v65, v67
	s_waitcnt lgkmcnt(0)
	v_dot4c_i32_i8_e32 v69, v98, v90
	v_dot4c_i32_i8_e32 v69, v99, v94
	ds_read2_b32 v[98:99], v53 offset0:2 offset1:3
	v_cvt_f32_f16_sdwa v100, v67 dst_sel:DWORD dst_unused:UNUSED_PAD src0_sel:WORD_1
	v_add_u32_e32 v79, 0x6188, v53
	s_add_i32 s2, s2, 4
	v_add_u32_e32 v57, 4, v57
	s_waitcnt lgkmcnt(0)
	v_dot4c_i32_i8_e32 v69, v98, v91
	v_dot4c_i32_i8_e32 v69, v99, v95
	ds_read2_b32 v[98:99], v53 offset0:4 offset1:5
	v_add_u32_e32 v55, 4, v55
	v_add_u32_e32 v51, 32, v51
	s_cmp_lt_u32 s2, 12
	s_waitcnt lgkmcnt(0)
	v_dot4c_i32_i8_e32 v69, v98, v92
	v_dot4c_i32_i8_e32 v69, v99, v96
	ds_read2_b32 v[98:99], v53 offset0:6 offset1:7
	s_waitcnt lgkmcnt(0)
	v_dot4c_i32_i8_e32 v69, v98, v93
	v_dot4c_i32_i8_e32 v69, v99, v97
	ds_read_b32 v73, v59
	ds_read2_b32 v[98:99], v71 offset1:1
	v_mov_b32_e32 v71, 0
	v_add_u32_e32 v59, 4, v59
	s_waitcnt lgkmcnt(1)
	v_pk_mul_f16 v73, v65, v73
	s_waitcnt lgkmcnt(0)
	v_dot4c_i32_i8_e32 v71, v98, v90
	v_dot4c_i32_i8_e32 v71, v99, v94
	ds_read2_b32 v[98:99], v75 offset1:1
	v_add_u32_e32 v75, 0x2090, v53
	v_cvt_f32_f16_sdwa v101, v73 dst_sel:DWORD dst_unused:UNUSED_PAD src0_sel:WORD_1
	s_waitcnt lgkmcnt(0)
	v_dot4c_i32_i8_e32 v71, v98, v91
	v_dot4c_i32_i8_e32 v71, v99, v95
	ds_read2_b32 v[98:99], v75 offset1:1
	v_add_u32_e32 v75, 0x2098, v53
	s_waitcnt lgkmcnt(0)
	v_dot4c_i32_i8_e32 v71, v98, v92
	v_dot4c_i32_i8_e32 v71, v99, v96
	ds_read2_b32 v[98:99], v75 offset1:1
	v_add_u32_e32 v75, 0x4108, v53
	s_waitcnt lgkmcnt(0)
	v_dot4c_i32_i8_e32 v71, v98, v93
	v_dot4c_i32_i8_e32 v71, v99, v97
	v_cvt_f32_f16_e32 v99, v73
	v_cvt_f32_f16_e32 v98, v67
	v_add_u32_e32 v67, 0x4100, v53
	ds_read_b32 v73, v61
	ds_read2_b32 v[102:103], v67 offset1:1
	v_mov_b32_e32 v67, 0
	v_add_u32_e32 v61, 4, v61
	s_waitcnt lgkmcnt(1)
	v_pk_mul_f16 v73, v65, v73
	s_waitcnt lgkmcnt(0)
	v_dot4c_i32_i8_e32 v67, v102, v90
	v_dot4c_i32_i8_e32 v67, v103, v94
	ds_read2_b32 v[102:103], v75 offset1:1
	v_add_u32_e32 v75, 0x4110, v53
	s_waitcnt lgkmcnt(0)
	v_dot4c_i32_i8_e32 v67, v102, v91
	v_dot4c_i32_i8_e32 v67, v103, v95
	ds_read2_b32 v[102:103], v75 offset1:1
	v_add_u32_e32 v75, 0x4118, v53
	;; [unrolled: 5-line block ×3, first 2 shown]
	s_waitcnt lgkmcnt(0)
	v_dot4c_i32_i8_e32 v67, v102, v93
	v_dot4c_i32_i8_e32 v67, v103, v97
	ds_read_b32 v77, v63
	ds_read2_b32 v[102:103], v75 offset1:1
	v_mov_b32_e32 v75, 0
	v_add_u32_e32 v63, 4, v63
	s_waitcnt lgkmcnt(1)
	v_pk_mul_f16 v65, v65, v77
	s_waitcnt lgkmcnt(0)
	v_dot4c_i32_i8_e32 v75, v102, v90
	v_dot4c_i32_i8_e32 v75, v103, v94
	ds_read2_b32 v[102:103], v79 offset1:1
	v_add_u32_e32 v79, 0x6190, v53
	v_cvt_f32_i32_e32 v94, v67
	s_waitcnt lgkmcnt(0)
	v_dot4c_i32_i8_e32 v75, v102, v91
	ds_read2_b32 v[90:91], v79 offset1:1
	v_dot4c_i32_i8_e32 v75, v103, v95
	v_add_u32_e32 v79, 0x6198, v53
	v_add_u32_e32 v53, 32, v53
	s_waitcnt lgkmcnt(0)
	v_dot4c_i32_i8_e32 v75, v90, v92
	v_dot4c_i32_i8_e32 v75, v91, v96
	ds_read2_b32 v[90:91], v79 offset1:1
	v_cvt_f32_f16_sdwa v92, v73 dst_sel:DWORD dst_unused:UNUSED_PAD src0_sel:WORD_1
	v_cvt_f32_i32_e32 v96, v69
	s_waitcnt lgkmcnt(0)
	v_dot4c_i32_i8_e32 v75, v90, v93
	v_dot4c_i32_i8_e32 v75, v91, v97
	v_cvt_f32_f16_e32 v91, v65
	v_cvt_f32_f16_e32 v90, v73
	v_cvt_f32_f16_sdwa v93, v65 dst_sel:DWORD dst_unused:UNUSED_PAD src0_sel:WORD_1
	v_cvt_f32_i32_e32 v95, v75
	v_cvt_f32_i32_e32 v97, v71
	v_pk_fma_f32 v[90:91], v[90:91], v[94:95], v[92:93]
	v_pk_fma_f32 v[96:97], v[98:99], v[96:97], v[100:101]
	v_pk_add_f32 v[6:7], v[6:7], v[90:91]
	v_pk_add_f32 v[4:5], v[4:5], v[96:97]
	s_cbranch_scc1 .LBB184_11
; %bb.12:                               ;   in Loop: Header=BB184_5 Depth=1
	s_bitset1_b32 s6, 7
	s_cmp_ge_i32 s6, s5
	s_barrier
	s_cbranch_scc1 .LBB184_4
; %bb.13:                               ;   in Loop: Header=BB184_5 Depth=1
	v_add_u32_e32 v51, s20, v23
	v_cmp_gt_i32_e64 s[2:3], s8, v51
	s_and_b64 s[18:19], s[0:1], s[2:3]
	s_and_saveexec_b64 s[2:3], s[18:19]
	s_cbranch_execz .LBB184_15
; %bb.14:                               ;   in Loop: Header=BB184_5 Depth=1
	v_add_u32_e32 v51, v84, v51
	v_mad_i64_i32 v[90:91], s[18:19], v51, 36, v[86:87]
	global_load_dword v51, v[90:91], off offset:4
	s_waitcnt vmcnt(0)
	ds_write_b32 v15, v51
.LBB184_15:                             ;   in Loop: Header=BB184_5 Depth=1
	s_or_b64 exec, exec, s[2:3]
	s_and_saveexec_b64 s[18:19], vcc
	s_cbranch_execz .LBB184_18
; %bb.16:                               ;   in Loop: Header=BB184_5 Depth=1
	v_or_b32_e32 v51, 4, v88
	v_cmp_gt_i32_e64 s[2:3], s8, v51
	s_and_b64 s[2:3], s[0:1], s[2:3]
	s_and_b64 exec, exec, s[2:3]
	s_cbranch_execz .LBB184_18
; %bb.17:                               ;   in Loop: Header=BB184_5 Depth=1
	v_ashrrev_i32_e32 v89, 31, v88
	v_lshl_add_u64 v[88:89], v[84:85], 0, v[88:89]
	v_mad_u64_u32 v[90:91], s[2:3], v88, 36, s[14:15]
	v_mad_i32_i24 v91, v89, 36, v91
	global_load_dword v51, v[90:91], off offset:144
	s_waitcnt vmcnt(0)
	ds_write_b32 v19, v51
.LBB184_18:                             ;   in Loop: Header=BB184_5 Depth=1
	s_or_b64 exec, exec, s[18:19]
	s_mov_b32 s2, 12
	v_mov_b32_e32 v51, v17
	v_mov_b32_e32 v53, v13
	;; [unrolled: 1-line block ×7, first 2 shown]
	s_waitcnt lgkmcnt(0)
	s_barrier
.LBB184_19:                             ;   Parent Loop BB184_5 Depth=1
                                        ; =>  This Inner Loop Header: Depth=2
	ds_read_b128 v[88:91], v53
	ds_read_b32 v65, v51
	ds_read_b128 v[92:95], v53 offset:16
	ds_read2_b32 v[96:97], v55 offset1:1
	v_add_u32_e32 v71, 0x2080, v55
	v_add_u32_e32 v114, 0x4108, v55
	;; [unrolled: 1-line block ×8, first 2 shown]
	ds_read_b32 v69, v57
	ds_read2_b32 v[98:99], v55 offset0:2 offset1:3
	ds_read2_b32 v[100:101], v55 offset0:4 offset1:5
	;; [unrolled: 1-line block ×3, first 2 shown]
	v_add_u32_e32 v75, 0x2088, v55
	v_add_u32_e32 v77, 0x2090, v55
	;; [unrolled: 1-line block ×4, first 2 shown]
	ds_read_b32 v128, v59
	ds_read_b32 v129, v61
	;; [unrolled: 1-line block ×3, first 2 shown]
	ds_read2_b32 v[104:105], v71 offset1:1
	ds_read2_b32 v[106:107], v75 offset1:1
	;; [unrolled: 1-line block ×12, first 2 shown]
	v_mov_b32_e32 v67, 0
	v_mov_b32_e32 v73, 0
	;; [unrolled: 1-line block ×4, first 2 shown]
	s_waitcnt lgkmcnt(14)
	v_dot4c_i32_i8_e32 v67, v96, v88
	s_waitcnt lgkmcnt(11)
	v_dot4c_i32_i8_e32 v73, v104, v88
	;; [unrolled: 2-line block ×4, first 2 shown]
	v_dot4c_i32_i8_e32 v67, v97, v92
	v_dot4c_i32_i8_e32 v73, v105, v92
	v_dot4c_i32_i8_e32 v83, v113, v92
	v_dot4c_i32_i8_e32 v134, v121, v92
	v_dot4c_i32_i8_e32 v67, v98, v89
	v_dot4c_i32_i8_e32 v73, v106, v89
	v_dot4c_i32_i8_e32 v83, v114, v89
	s_waitcnt lgkmcnt(2)
	v_dot4c_i32_i8_e32 v134, v122, v89
	v_dot4c_i32_i8_e32 v67, v99, v93
	v_dot4c_i32_i8_e32 v73, v107, v93
	v_dot4c_i32_i8_e32 v83, v115, v93
	v_dot4c_i32_i8_e32 v134, v123, v93
	v_dot4c_i32_i8_e32 v67, v100, v90
	v_dot4c_i32_i8_e32 v73, v108, v90
	v_dot4c_i32_i8_e32 v83, v116, v90
	s_waitcnt lgkmcnt(1)
	v_dot4c_i32_i8_e32 v134, v124, v90
	;; [unrolled: 9-line block ×3, first 2 shown]
	v_pk_mul_f16 v69, v65, v69
	v_pk_mul_f16 v71, v65, v128
	;; [unrolled: 1-line block ×4, first 2 shown]
	v_dot4c_i32_i8_e32 v67, v103, v95
	v_dot4c_i32_i8_e32 v73, v111, v95
	;; [unrolled: 1-line block ×4, first 2 shown]
	v_cvt_f32_f16_e32 v97, v71
	v_cvt_f32_f16_e32 v96, v69
	v_cvt_f32_f16_sdwa v129, v71 dst_sel:DWORD dst_unused:UNUSED_PAD src0_sel:WORD_1
	v_cvt_f32_f16_sdwa v128, v69 dst_sel:DWORD dst_unused:UNUSED_PAD src0_sel:WORD_1
	v_cvt_f32_f16_e32 v131, v65
	v_cvt_f32_f16_e32 v130, v75
	v_cvt_f32_f16_sdwa v133, v65 dst_sel:DWORD dst_unused:UNUSED_PAD src0_sel:WORD_1
	v_cvt_f32_f16_sdwa v132, v75 dst_sel:DWORD dst_unused:UNUSED_PAD src0_sel:WORD_1
	v_cvt_f32_i32_e32 v88, v67
	v_cvt_f32_i32_e32 v91, v134
	;; [unrolled: 1-line block ×4, first 2 shown]
	s_add_i32 s2, s2, 4
	v_add_u32_e32 v63, 4, v63
	v_pk_fma_f32 v[88:89], v[96:97], v[88:89], v[128:129]
	v_pk_fma_f32 v[90:91], v[130:131], v[90:91], v[132:133]
	v_add_u32_e32 v61, 4, v61
	v_add_u32_e32 v59, 4, v59
	;; [unrolled: 1-line block ×6, first 2 shown]
	s_cmp_lt_u32 s2, 28
	v_pk_add_f32 v[6:7], v[6:7], v[90:91]
	v_pk_add_f32 v[4:5], v[4:5], v[88:89]
	s_cbranch_scc1 .LBB184_19
; %bb.20:                               ;   in Loop: Header=BB184_5 Depth=1
	s_barrier
	s_branch .LBB184_4
.LBB184_21:
	v_mov_b32_e32 v4, v3
	v_mov_b32_e32 v5, v3
	;; [unrolled: 1-line block ×3, first 2 shown]
	v_mov_b64_e32 v[6:7], v[4:5]
	v_mov_b64_e32 v[4:5], v[2:3]
.LBB184_22:
	s_mul_i32 s0, s10, s7
	s_waitcnt vmcnt(0)
	v_cmp_gt_i32_e32 vcc, s0, v1
	s_and_saveexec_b64 s[0:1], vcc
	s_cbranch_execz .LBB184_31
; %bb.23:
	v_and_b32_e32 v0, 0x3ff, v0
	v_add_u32_e32 v2, s11, v0
	v_mul_lo_u32 v0, v1, s9
	v_cmp_gt_u32_e32 vcc, s9, v2
	s_and_saveexec_b64 s[0:1], vcc
	s_cbranch_execz .LBB184_25
; %bb.24:
	v_add_u32_e32 v8, v0, v2
	v_mov_b32_e32 v9, 0
	v_lshl_add_u64 v[8:9], v[8:9], 2, s[16:17]
	global_store_dword v[8:9], v4, off
.LBB184_25:
	s_or_b64 exec, exec, s[0:1]
	v_add_u32_e32 v1, 32, v2
	v_cmp_gt_u32_e32 vcc, s9, v1
	s_and_saveexec_b64 s[0:1], vcc
	s_cbranch_execz .LBB184_27
; %bb.26:
	v_add_u32_e32 v8, v0, v1
	v_mov_b32_e32 v9, 0
	v_lshl_add_u64 v[8:9], v[8:9], 2, s[16:17]
	global_store_dword v[8:9], v5, off
.LBB184_27:
	s_or_b64 exec, exec, s[0:1]
	v_add_u32_e32 v1, 64, v2
	;; [unrolled: 11-line block ×3, first 2 shown]
	v_cmp_gt_u32_e32 vcc, s9, v1
	s_and_b64 exec, exec, vcc
	s_cbranch_execz .LBB184_31
; %bb.30:
	v_add_u32_e32 v0, v0, v1
	v_mov_b32_e32 v1, 0
	v_lshl_add_u64 v[0:1], v[0:1], 2, s[16:17]
	global_store_dword v[0:1], v7, off
.LBB184_31:
	s_endpgm
	.section	.rodata,"a",@progbits
	.p2align	6, 0x0
	.amdhsa_kernel _ZL8moe_q5_1IfLb1EEvPKvS1_PT_PKiS5_S5_iiiiiii
		.amdhsa_group_segment_fixed_size 38656
		.amdhsa_private_segment_fixed_size 0
		.amdhsa_kernarg_size 76
		.amdhsa_user_sgpr_count 2
		.amdhsa_user_sgpr_dispatch_ptr 0
		.amdhsa_user_sgpr_queue_ptr 0
		.amdhsa_user_sgpr_kernarg_segment_ptr 1
		.amdhsa_user_sgpr_dispatch_id 0
		.amdhsa_user_sgpr_kernarg_preload_length 0
		.amdhsa_user_sgpr_kernarg_preload_offset 0
		.amdhsa_user_sgpr_private_segment_size 0
		.amdhsa_uses_dynamic_stack 0
		.amdhsa_enable_private_segment 0
		.amdhsa_system_sgpr_workgroup_id_x 1
		.amdhsa_system_sgpr_workgroup_id_y 1
		.amdhsa_system_sgpr_workgroup_id_z 0
		.amdhsa_system_sgpr_workgroup_info 0
		.amdhsa_system_vgpr_workitem_id 1
		.amdhsa_next_free_vgpr 135
		.amdhsa_next_free_sgpr 96
		.amdhsa_accum_offset 136
		.amdhsa_reserve_vcc 1
		.amdhsa_float_round_mode_32 0
		.amdhsa_float_round_mode_16_64 0
		.amdhsa_float_denorm_mode_32 3
		.amdhsa_float_denorm_mode_16_64 3
		.amdhsa_dx10_clamp 1
		.amdhsa_ieee_mode 1
		.amdhsa_fp16_overflow 0
		.amdhsa_tg_split 0
		.amdhsa_exception_fp_ieee_invalid_op 0
		.amdhsa_exception_fp_denorm_src 0
		.amdhsa_exception_fp_ieee_div_zero 0
		.amdhsa_exception_fp_ieee_overflow 0
		.amdhsa_exception_fp_ieee_underflow 0
		.amdhsa_exception_fp_ieee_inexact 0
		.amdhsa_exception_int_div_zero 0
	.end_amdhsa_kernel
	.section	.text._ZL8moe_q5_1IfLb1EEvPKvS1_PT_PKiS5_S5_iiiiiii,"axG",@progbits,_ZL8moe_q5_1IfLb1EEvPKvS1_PT_PKiS5_S5_iiiiiii,comdat
.Lfunc_end184:
	.size	_ZL8moe_q5_1IfLb1EEvPKvS1_PT_PKiS5_S5_iiiiiii, .Lfunc_end184-_ZL8moe_q5_1IfLb1EEvPKvS1_PT_PKiS5_S5_iiiiiii
                                        ; -- End function
	.set _ZL8moe_q5_1IfLb1EEvPKvS1_PT_PKiS5_S5_iiiiiii.num_vgpr, 135
	.set _ZL8moe_q5_1IfLb1EEvPKvS1_PT_PKiS5_S5_iiiiiii.num_agpr, 0
	.set _ZL8moe_q5_1IfLb1EEvPKvS1_PT_PKiS5_S5_iiiiiii.numbered_sgpr, 23
	.set _ZL8moe_q5_1IfLb1EEvPKvS1_PT_PKiS5_S5_iiiiiii.num_named_barrier, 0
	.set _ZL8moe_q5_1IfLb1EEvPKvS1_PT_PKiS5_S5_iiiiiii.private_seg_size, 0
	.set _ZL8moe_q5_1IfLb1EEvPKvS1_PT_PKiS5_S5_iiiiiii.uses_vcc, 1
	.set _ZL8moe_q5_1IfLb1EEvPKvS1_PT_PKiS5_S5_iiiiiii.uses_flat_scratch, 0
	.set _ZL8moe_q5_1IfLb1EEvPKvS1_PT_PKiS5_S5_iiiiiii.has_dyn_sized_stack, 0
	.set _ZL8moe_q5_1IfLb1EEvPKvS1_PT_PKiS5_S5_iiiiiii.has_recursion, 0
	.set _ZL8moe_q5_1IfLb1EEvPKvS1_PT_PKiS5_S5_iiiiiii.has_indirect_call, 0
	.section	.AMDGPU.csdata,"",@progbits
; Kernel info:
; codeLenInByte = 6388
; TotalNumSgprs: 29
; NumVgprs: 135
; NumAgprs: 0
; TotalNumVgprs: 135
; ScratchSize: 0
; MemoryBound: 0
; FloatMode: 240
; IeeeMode: 1
; LDSByteSize: 38656 bytes/workgroup (compile time only)
; SGPRBlocks: 12
; VGPRBlocks: 16
; NumSGPRsForWavesPerEU: 102
; NumVGPRsForWavesPerEU: 135
; AccumOffset: 136
; Occupancy: 3
; WaveLimiterHint : 1
; COMPUTE_PGM_RSRC2:SCRATCH_EN: 0
; COMPUTE_PGM_RSRC2:USER_SGPR: 2
; COMPUTE_PGM_RSRC2:TRAP_HANDLER: 0
; COMPUTE_PGM_RSRC2:TGID_X_EN: 1
; COMPUTE_PGM_RSRC2:TGID_Y_EN: 1
; COMPUTE_PGM_RSRC2:TGID_Z_EN: 0
; COMPUTE_PGM_RSRC2:TIDIG_COMP_CNT: 1
; COMPUTE_PGM_RSRC3_GFX90A:ACCUM_OFFSET: 33
; COMPUTE_PGM_RSRC3_GFX90A:TG_SPLIT: 0
	.section	.text._ZL8moe_q8_0IfLb0EEvPKvS1_PT_PKiS5_S5_iiiiiii,"axG",@progbits,_ZL8moe_q8_0IfLb0EEvPKvS1_PT_PKiS5_S5_iiiiiii,comdat
	.globl	_ZL8moe_q8_0IfLb0EEvPKvS1_PT_PKiS5_S5_iiiiiii ; -- Begin function _ZL8moe_q8_0IfLb0EEvPKvS1_PT_PKiS5_S5_iiiiiii
	.p2align	8
	.type	_ZL8moe_q8_0IfLb0EEvPKvS1_PT_PKiS5_S5_iiiiiii,@function
_ZL8moe_q8_0IfLb0EEvPKvS1_PT_PKiS5_S5_iiiiiii: ; @_ZL8moe_q8_0IfLb0EEvPKvS1_PT_PKiS5_S5_iiiiiii
; %bb.0:
	s_load_dwordx4 s[4:7], s[0:1], 0x18
	s_mov_b32 s8, s3
	s_mov_b32 s9, 0
	s_lshl_b64 s[10:11], s[8:9], 2
	s_waitcnt lgkmcnt(0)
	s_add_u32 s6, s6, s10
	s_addc_u32 s7, s7, s11
	s_load_dword s12, s[6:7], 0x0
	s_waitcnt lgkmcnt(0)
	s_cmpk_gt_u32 s12, 0xff
	s_cbranch_scc1 .LBB185_23
; %bb.1:
	s_load_dwordx2 s[6:7], s[0:1], 0x28
	s_lshl_b32 s3, s8, 3
	s_waitcnt lgkmcnt(0)
	s_load_dword s6, s[6:7], 0x0
	s_waitcnt lgkmcnt(0)
	s_cmp_gt_u32 s3, s6
	s_cbranch_scc1 .LBB185_23
; %bb.2:
	v_bfe_u32 v4, v0, 10, 10
	v_mov_b32_e32 v6, s4
	v_mov_b32_e32 v7, s5
	v_add_u32_e32 v2, s3, v4
	v_mov_b32_e32 v3, 0
	v_lshl_add_u64 v[6:7], v[2:3], 2, v[6:7]
	global_load_dword v1, v[6:7], off
	s_load_dwordx2 s[10:11], s[0:1], 0x30
	s_load_dwordx2 s[8:9], s[0:1], 0x10
	s_load_dwordx4 s[4:7], s[0:1], 0x3c
	s_lshl_b32 s14, s2, 7
	s_mov_b32 s15, 0
	s_waitcnt lgkmcnt(0)
	s_cmp_lt_i32 s11, 32
	s_cbranch_scc1 .LBB185_13
; %bb.3:
	s_ashr_i32 s13, s11, 31
	s_lshr_b32 s13, s13, 27
	s_load_dwordx4 s[0:3], s[0:1], 0x0
	s_add_i32 s13, s11, s13
	s_ashr_i32 s16, s13, 5
	s_ashr_i32 s13, s5, 31
	s_lshr_b32 s13, s13, 27
	s_add_i32 s5, s5, s13
	s_mul_i32 s12, s12, s10
	s_ashr_i32 s5, s5, 5
	s_ashr_i32 s10, s12, 31
	v_lshlrev_b32_e32 v6, 3, v4
	v_bfe_u32 v7, v0, 2, 8
	s_waitcnt lgkmcnt(0)
	s_add_u32 s0, s0, s12
	v_add_u32_e32 v30, v7, v6
	s_addc_u32 s1, s1, s10
	s_mul_i32 s10, s16, s14
	v_mul_lo_u32 v28, s16, v30
	v_add_u16_e32 v6, v7, v6
	v_lshlrev_b32_e32 v32, 4, v30
	v_add_u32_e32 v30, 64, v30
	s_mul_hi_i32 s12, s10, 34
	s_mul_i32 s10, s10, 34
	v_and_b32_e32 v26, 3, v0
	v_lshrrev_b16_e32 v6, 1, v6
	v_lshrrev_b32_e32 v34, 1, v30
	s_add_u32 s10, s0, s10
	v_and_b32_e32 v6, 0x1ffc, v6
	v_lshlrev_b32_e32 v7, 2, v26
	s_movk_i32 s19, 0x4200
	v_and_b32_e32 v34, 0x3ffc, v34
	v_mov_b32_e32 v36, 0x4a40
	s_addc_u32 s17, s1, s12
	v_add3_u32 v6, v6, v7, s19
	v_add3_u32 v7, v34, v7, s19
	v_and_b32_e32 v34, 31, v0
	v_lshl_add_u32 v43, v4, 7, v36
	s_abs_i32 s12, s7
	v_lshl_add_u32 v45, v34, 2, v43
	v_cvt_f32_u32_e32 v34, s12
	s_sub_i32 s13, 0, s12
	s_waitcnt vmcnt(0)
	v_sub_u32_e32 v44, 0, v1
	v_max_i32_e32 v44, v1, v44
	v_rcp_iflag_f32_e32 v34, v34
	v_mul_lo_u32 v10, s16, v4
	s_lshl_b32 s18, s16, 3
	v_add_u32_e32 v12, s18, v10
	v_mul_f32_e32 v34, 0x4f7ffffe, v34
	v_cvt_u32_f32_e32 v34, v34
	v_xor_b32_e32 v42, s7, v1
	v_add_u32_e32 v14, s18, v12
	v_ashrrev_i32_e32 v42, 31, v42
	v_mul_lo_u32 v46, s13, v34
	v_mul_hi_u32 v46, v34, v46
	v_add_u32_e32 v34, v34, v46
	v_mul_hi_u32 v34, v44, v34
	v_mul_lo_u32 v46, v34, s12
	v_sub_u32_e32 v44, v44, v46
	v_add_u32_e32 v46, 1, v34
	v_cmp_le_u32_e32 vcc, s12, v44
	v_and_b32_e32 v9, 0x3ff, v0
	v_add_u32_e32 v16, s18, v14
	v_cndmask_b32_e32 v34, v34, v46, vcc
	v_subrev_u32_e32 v46, s12, v44
	v_cndmask_b32_e32 v44, v44, v46, vcc
	v_add_u32_e32 v46, 1, v34
	v_cmp_le_u32_e32 vcc, s12, v44
	v_lshlrev_b32_e32 v5, 2, v9
	s_movk_i32 s0, 0x84
	v_cndmask_b32_e32 v34, v34, v46, vcc
	v_xor_b32_e32 v34, v34, v42
	v_add_u32_e32 v18, s18, v16
	v_add_u32_e32 v40, 0x60, v9
	v_sub_u32_e32 v34, v34, v42
	v_mad_u32_u24 v11, v4, s0, v5
	v_add_u32_e32 v20, s18, v18
	v_cmp_gt_u32_e64 s[0:1], 4, v9
	v_add_u32_e32 v38, 64, v9
	v_cmp_gt_i32_e32 vcc, s4, v34
	v_lshrrev_b32_e32 v40, 1, v40
	v_add_u32_e32 v22, s18, v20
	v_add_u32_e32 v36, 32, v9
	v_mul_lo_u32 v47, v34, s5
	s_and_b64 s[12:13], s[0:1], vcc
	v_lshlrev_b32_e32 v34, 4, v9
	v_and_b32_e32 v40, 0xfc, v40
	s_movk_i32 s0, 0x4800
	v_lshrrev_b32_e32 v38, 1, v38
	v_add_u32_e32 v24, s18, v22
	v_lshlrev_b32_e32 v30, 4, v30
	v_add3_u32 v50, v34, v40, s0
	v_and_b32_e32 v38, 0xfc, v38
	s_movk_i32 s0, 0x4600
	v_lshrrev_b32_e32 v36, 1, v36
	v_bfe_u32 v8, v0, 3, 7
	v_add3_u32 v51, v34, v38, s0
	v_and_b32_e32 v36, 0xfc, v36
	s_movk_i32 s0, 0x4400
	v_add_u32_e32 v56, v7, v30
	v_add_u32_e32 v30, s18, v24
	v_add3_u32 v52, v34, v36, s0
	v_lshlrev_b32_e32 v36, 2, v8
	v_add_u32_e32 v55, v6, v32
	v_add_u32_e32 v32, s18, v30
	v_add3_u32 v53, v34, v36, s19
	v_add_u32_e32 v34, s18, v32
	v_add_u32_e32 v36, s18, v34
	;; [unrolled: 1-line block ×4, first 2 shown]
	v_and_b32_e32 v2, 28, v5
	v_add_u32_e32 v5, 0x4e40, v5
	v_lshlrev_b32_e32 v4, 4, v4
	v_add_u32_e32 v42, s18, v40
	v_add_u32_e32 v13, 0x420, v11
	;; [unrolled: 1-line block ×18, first 2 shown]
	v_mov_b32_e32 v4, v3
	v_mov_b32_e32 v5, v3
	;; [unrolled: 1-line block ×4, first 2 shown]
	v_mul_u32_u24_e32 v58, 0x84, v9
	v_add_u32_e32 v44, s18, v42
	v_lshl_add_u32 v46, s16, 6, v28
	v_lshl_add_u64 v[48:49], s[2:3], 0, v[2:3]
	s_branch .LBB185_5
.LBB185_4:                              ;   in Loop: Header=BB185_5 Depth=1
	s_add_i32 s15, s15, 4
	s_cmp_ge_i32 s15, s16
	s_cbranch_scc1 .LBB185_14
.LBB185_5:                              ; =>This Loop Header: Depth=1
                                        ;     Child Loop BB185_11 Depth 2
	s_mul_i32 s0, s15, 34
	s_mul_hi_u32 s1, s15, 34
	s_add_u32 s0, s10, s0
	s_addc_u32 s1, s17, s1
	v_mad_u64_u32 v[60:61], s[18:19], v8, 34, s[0:1]
	v_mad_u64_u32 v[62:63], s[18:19], v10, 34, v[60:61]
	v_mad_u64_u32 v[64:65], s[18:19], v12, 34, v[60:61]
	v_mad_u64_u32 v[66:67], s[18:19], v14, 34, v[60:61]
	v_mad_u64_u32 v[68:69], s[18:19], v16, 34, v[60:61]
	v_mad_u64_u32 v[70:71], s[18:19], v18, 34, v[60:61]
	v_mad_u64_u32 v[72:73], s[18:19], v20, 34, v[60:61]
	v_mad_u64_u32 v[74:75], s[18:19], v22, 34, v[60:61]
	v_lshl_add_u64 v[62:63], v[62:63], 0, v[2:3]
	v_lshl_add_u64 v[64:65], v[64:65], 0, v[2:3]
	;; [unrolled: 1-line block ×7, first 2 shown]
	v_mad_u64_u32 v[76:77], s[18:19], v24, 34, v[60:61]
	v_lshl_add_u64 v[76:77], v[76:77], 0, v[2:3]
	global_load_dword v59, v[62:63], off offset:2
	global_load_dword v78, v[64:65], off offset:2
	;; [unrolled: 1-line block ×8, first 2 shown]
	v_mad_u64_u32 v[62:63], s[18:19], v30, 34, v[60:61]
	v_mad_u64_u32 v[64:65], s[18:19], v32, 34, v[60:61]
	;; [unrolled: 1-line block ×8, first 2 shown]
	v_lshl_add_u64 v[62:63], v[62:63], 0, v[2:3]
	v_lshl_add_u64 v[60:61], v[60:61], 0, v[2:3]
	;; [unrolled: 1-line block ×8, first 2 shown]
	global_load_dword v76, v[62:63], off offset:2
	global_load_dword v77, v[64:65], off offset:2
	;; [unrolled: 1-line block ×8, first 2 shown]
	v_mad_u64_u32 v[60:61], s[0:1], v26, 34, s[0:1]
	v_mad_u64_u32 v[62:63], s[0:1], v28, 34, v[60:61]
	;; [unrolled: 1-line block ×3, first 2 shown]
	global_load_ushort v62, v[62:63], off
	s_lshl_b32 s0, s15, 5
	global_load_ushort v60, v[60:61], off
	s_cmp_ge_i32 s0, s11
	s_waitcnt vmcnt(17)
	ds_write_b32 v11, v59
	s_waitcnt vmcnt(16)
	ds_write_b32 v13, v78
	;; [unrolled: 2-line block ×16, first 2 shown]
	s_waitcnt vmcnt(1)
	v_cvt_f32_f16_e32 v59, v62
	s_waitcnt vmcnt(0)
	v_cvt_f32_f16_e32 v60, v60
	ds_write_b32 v55, v59
	ds_write_b32 v56, v60
	s_cbranch_scc1 .LBB185_4
; %bb.6:                                ;   in Loop: Header=BB185_5 Depth=1
	v_add_u32_e32 v59, s15, v8
	v_cmp_gt_i32_e64 s[0:1], s5, v59
	s_and_b64 s[18:19], vcc, s[0:1]
	s_and_saveexec_b64 s[0:1], s[18:19]
	s_cbranch_execz .LBB185_8
; %bb.7:                                ;   in Loop: Header=BB185_5 Depth=1
	v_add_u32_e32 v59, v47, v59
	v_mad_i64_i32 v[60:61], s[18:19], v59, 36, v[48:49]
	global_load_dword v59, v[60:61], off offset:4
	s_waitcnt vmcnt(0)
	ds_write_b32 v45, v59
.LBB185_8:                              ;   in Loop: Header=BB185_5 Depth=1
	s_or_b64 exec, exec, s[0:1]
	v_or_b32_e32 v59, s15, v9
	v_cmp_gt_i32_e64 s[0:1], s5, v59
	s_and_b64 s[18:19], s[12:13], s[0:1]
	s_and_saveexec_b64 s[0:1], s[18:19]
	s_cbranch_execz .LBB185_10
; %bb.9:                                ;   in Loop: Header=BB185_5 Depth=1
	v_add_u32_e32 v59, v47, v59
	v_mad_i64_i32 v[60:61], s[18:19], v59, 36, s[2:3]
	global_load_dword v59, v[60:61], off
	s_waitcnt vmcnt(0)
	v_cvt_f32_f16_e32 v59, v59
	ds_write_b32 v57, v59
.LBB185_10:                             ;   in Loop: Header=BB185_5 Depth=1
	s_or_b64 exec, exec, s[0:1]
	s_mov_b32 s0, -8
	v_mov_b32_e32 v59, v43
	v_mov_b32_e32 v60, v54
	;; [unrolled: 1-line block ×7, first 2 shown]
	s_waitcnt lgkmcnt(0)
	s_barrier
.LBB185_11:                             ;   Parent Loop BB185_5 Depth=1
                                        ; =>  This Inner Loop Header: Depth=2
	ds_read_b128 v[66:69], v59
	ds_read_b128 v[70:73], v59 offset:16
	v_add_u32_e32 v88, 0x1080, v65
	v_add_u32_e32 v90, 0x1088, v65
	;; [unrolled: 1-line block ×12, first 2 shown]
	ds_read2_b32 v[74:75], v65 offset0:2 offset1:3
	ds_read2_b32 v[76:77], v65 offset0:4 offset1:5
	;; [unrolled: 1-line block ×3, first 2 shown]
	ds_read_b32 v80, v60
	ds_read_b32 v82, v61
	ds_read2_b32 v[84:85], v65 offset1:1
	ds_read_b32 v83, v62
	ds_read_b32 v86, v63
	;; [unrolled: 1-line block ×3, first 2 shown]
	ds_read2_b32 v[88:89], v88 offset1:1
	ds_read2_b32 v[90:91], v90 offset1:1
	ds_read2_b32 v[92:93], v92 offset1:1
	ds_read2_b32 v[94:95], v94 offset1:1
	ds_read2_b32 v[96:97], v96 offset1:1
	ds_read2_b32 v[98:99], v98 offset1:1
	ds_read2_b32 v[100:101], v100 offset1:1
	ds_read2_b32 v[102:103], v102 offset1:1
	ds_read2_b32 v[104:105], v104 offset1:1
	ds_read2_b32 v[106:107], v106 offset1:1
	ds_read2_b32 v[108:109], v108 offset1:1
	ds_read2_b32 v[110:111], v110 offset1:1
	v_mov_b32_e32 v81, 0
	v_mov_b32_e32 v112, 0
	;; [unrolled: 1-line block ×4, first 2 shown]
	s_waitcnt lgkmcnt(14)
	v_dot4c_i32_i8_e32 v81, v84, v66
	s_waitcnt lgkmcnt(11)
	v_dot4c_i32_i8_e32 v112, v88, v66
	;; [unrolled: 2-line block ×4, first 2 shown]
	v_dot4c_i32_i8_e32 v81, v85, v67
	v_dot4c_i32_i8_e32 v112, v89, v67
	v_dot4c_i32_i8_e32 v113, v97, v67
	v_dot4c_i32_i8_e32 v114, v105, v67
	v_dot4c_i32_i8_e32 v81, v74, v68
	v_dot4c_i32_i8_e32 v112, v90, v68
	v_dot4c_i32_i8_e32 v113, v98, v68
	s_waitcnt lgkmcnt(2)
	v_dot4c_i32_i8_e32 v114, v106, v68
	v_dot4c_i32_i8_e32 v81, v75, v69
	v_dot4c_i32_i8_e32 v112, v91, v69
	v_dot4c_i32_i8_e32 v113, v99, v69
	v_dot4c_i32_i8_e32 v114, v107, v69
	v_dot4c_i32_i8_e32 v81, v76, v70
	v_dot4c_i32_i8_e32 v112, v92, v70
	v_dot4c_i32_i8_e32 v113, v100, v70
	s_waitcnt lgkmcnt(1)
	v_dot4c_i32_i8_e32 v114, v108, v70
	;; [unrolled: 9-line block ×3, first 2 shown]
	v_dot4c_i32_i8_e32 v81, v79, v73
	v_dot4c_i32_i8_e32 v112, v95, v73
	;; [unrolled: 1-line block ×4, first 2 shown]
	v_cvt_f32_i32_e32 v66, v81
	v_cvt_f32_i32_e32 v67, v112
	;; [unrolled: 1-line block ×4, first 2 shown]
	s_add_i32 s0, s0, 8
	v_pk_mul_f32 v[70:71], v[80:81], v[82:83] op_sel_hi:[0,1]
	v_pk_mul_f32 v[72:73], v[80:81], v[86:87] op_sel_hi:[0,1]
	v_add_u32_e32 v65, 32, v65
	v_add_u32_e32 v64, 4, v64
	;; [unrolled: 1-line block ×7, first 2 shown]
	s_cmp_lt_u32 s0, 24
	v_pk_fma_f32 v[6:7], v[72:73], v[68:69], v[6:7]
	v_pk_fma_f32 v[4:5], v[70:71], v[66:67], v[4:5]
	s_cbranch_scc1 .LBB185_11
; %bb.12:                               ;   in Loop: Header=BB185_5 Depth=1
	s_barrier
	s_branch .LBB185_4
.LBB185_13:
	v_mov_b32_e32 v4, v3
	v_mov_b32_e32 v5, v3
	;; [unrolled: 1-line block ×3, first 2 shown]
	v_mov_b64_e32 v[6:7], v[4:5]
	v_mov_b64_e32 v[4:5], v[2:3]
.LBB185_14:
	s_mul_i32 s0, s7, s4
	s_waitcnt vmcnt(0)
	v_cmp_gt_i32_e32 vcc, s0, v1
	s_and_saveexec_b64 s[0:1], vcc
	s_cbranch_execz .LBB185_23
; %bb.15:
	v_and_b32_e32 v0, 0x3ff, v0
	v_add_u32_e32 v2, s14, v0
	v_mul_lo_u32 v0, v1, s6
	v_cmp_gt_u32_e32 vcc, s6, v2
	s_and_saveexec_b64 s[0:1], vcc
	s_cbranch_execz .LBB185_17
; %bb.16:
	v_add_u32_e32 v8, v0, v2
	v_mov_b32_e32 v9, 0
	v_lshl_add_u64 v[8:9], v[8:9], 2, s[8:9]
	global_store_dword v[8:9], v4, off
.LBB185_17:
	s_or_b64 exec, exec, s[0:1]
	v_add_u32_e32 v1, 32, v2
	v_cmp_gt_u32_e32 vcc, s6, v1
	s_and_saveexec_b64 s[0:1], vcc
	s_cbranch_execz .LBB185_19
; %bb.18:
	v_add_u32_e32 v8, v0, v1
	v_mov_b32_e32 v9, 0
	v_lshl_add_u64 v[8:9], v[8:9], 2, s[8:9]
	global_store_dword v[8:9], v5, off
.LBB185_19:
	s_or_b64 exec, exec, s[0:1]
	v_add_u32_e32 v1, 64, v2
	;; [unrolled: 11-line block ×3, first 2 shown]
	v_cmp_gt_u32_e32 vcc, s6, v1
	s_and_b64 exec, exec, vcc
	s_cbranch_execz .LBB185_23
; %bb.22:
	v_add_u32_e32 v0, v0, v1
	v_mov_b32_e32 v1, 0
	v_lshl_add_u64 v[0:1], v[0:1], 2, s[8:9]
	global_store_dword v[0:1], v7, off
.LBB185_23:
	s_endpgm
	.section	.rodata,"a",@progbits
	.p2align	6, 0x0
	.amdhsa_kernel _ZL8moe_q8_0IfLb0EEvPKvS1_PT_PKiS5_S5_iiiiiii
		.amdhsa_group_segment_fixed_size 20160
		.amdhsa_private_segment_fixed_size 0
		.amdhsa_kernarg_size 76
		.amdhsa_user_sgpr_count 2
		.amdhsa_user_sgpr_dispatch_ptr 0
		.amdhsa_user_sgpr_queue_ptr 0
		.amdhsa_user_sgpr_kernarg_segment_ptr 1
		.amdhsa_user_sgpr_dispatch_id 0
		.amdhsa_user_sgpr_kernarg_preload_length 0
		.amdhsa_user_sgpr_kernarg_preload_offset 0
		.amdhsa_user_sgpr_private_segment_size 0
		.amdhsa_uses_dynamic_stack 0
		.amdhsa_enable_private_segment 0
		.amdhsa_system_sgpr_workgroup_id_x 1
		.amdhsa_system_sgpr_workgroup_id_y 1
		.amdhsa_system_sgpr_workgroup_id_z 0
		.amdhsa_system_sgpr_workgroup_info 0
		.amdhsa_system_vgpr_workitem_id 1
		.amdhsa_next_free_vgpr 115
		.amdhsa_next_free_sgpr 20
		.amdhsa_accum_offset 116
		.amdhsa_reserve_vcc 1
		.amdhsa_float_round_mode_32 0
		.amdhsa_float_round_mode_16_64 0
		.amdhsa_float_denorm_mode_32 3
		.amdhsa_float_denorm_mode_16_64 3
		.amdhsa_dx10_clamp 1
		.amdhsa_ieee_mode 1
		.amdhsa_fp16_overflow 0
		.amdhsa_tg_split 0
		.amdhsa_exception_fp_ieee_invalid_op 0
		.amdhsa_exception_fp_denorm_src 0
		.amdhsa_exception_fp_ieee_div_zero 0
		.amdhsa_exception_fp_ieee_overflow 0
		.amdhsa_exception_fp_ieee_underflow 0
		.amdhsa_exception_fp_ieee_inexact 0
		.amdhsa_exception_int_div_zero 0
	.end_amdhsa_kernel
	.section	.text._ZL8moe_q8_0IfLb0EEvPKvS1_PT_PKiS5_S5_iiiiiii,"axG",@progbits,_ZL8moe_q8_0IfLb0EEvPKvS1_PT_PKiS5_S5_iiiiiii,comdat
.Lfunc_end185:
	.size	_ZL8moe_q8_0IfLb0EEvPKvS1_PT_PKiS5_S5_iiiiiii, .Lfunc_end185-_ZL8moe_q8_0IfLb0EEvPKvS1_PT_PKiS5_S5_iiiiiii
                                        ; -- End function
	.set _ZL8moe_q8_0IfLb0EEvPKvS1_PT_PKiS5_S5_iiiiiii.num_vgpr, 115
	.set _ZL8moe_q8_0IfLb0EEvPKvS1_PT_PKiS5_S5_iiiiiii.num_agpr, 0
	.set _ZL8moe_q8_0IfLb0EEvPKvS1_PT_PKiS5_S5_iiiiiii.numbered_sgpr, 20
	.set _ZL8moe_q8_0IfLb0EEvPKvS1_PT_PKiS5_S5_iiiiiii.num_named_barrier, 0
	.set _ZL8moe_q8_0IfLb0EEvPKvS1_PT_PKiS5_S5_iiiiiii.private_seg_size, 0
	.set _ZL8moe_q8_0IfLb0EEvPKvS1_PT_PKiS5_S5_iiiiiii.uses_vcc, 1
	.set _ZL8moe_q8_0IfLb0EEvPKvS1_PT_PKiS5_S5_iiiiiii.uses_flat_scratch, 0
	.set _ZL8moe_q8_0IfLb0EEvPKvS1_PT_PKiS5_S5_iiiiiii.has_dyn_sized_stack, 0
	.set _ZL8moe_q8_0IfLb0EEvPKvS1_PT_PKiS5_S5_iiiiiii.has_recursion, 0
	.set _ZL8moe_q8_0IfLb0EEvPKvS1_PT_PKiS5_S5_iiiiiii.has_indirect_call, 0
	.section	.AMDGPU.csdata,"",@progbits
; Kernel info:
; codeLenInByte = 2576
; TotalNumSgprs: 26
; NumVgprs: 115
; NumAgprs: 0
; TotalNumVgprs: 115
; ScratchSize: 0
; MemoryBound: 0
; FloatMode: 240
; IeeeMode: 1
; LDSByteSize: 20160 bytes/workgroup (compile time only)
; SGPRBlocks: 3
; VGPRBlocks: 14
; NumSGPRsForWavesPerEU: 26
; NumVGPRsForWavesPerEU: 115
; AccumOffset: 116
; Occupancy: 4
; WaveLimiterHint : 1
; COMPUTE_PGM_RSRC2:SCRATCH_EN: 0
; COMPUTE_PGM_RSRC2:USER_SGPR: 2
; COMPUTE_PGM_RSRC2:TRAP_HANDLER: 0
; COMPUTE_PGM_RSRC2:TGID_X_EN: 1
; COMPUTE_PGM_RSRC2:TGID_Y_EN: 1
; COMPUTE_PGM_RSRC2:TGID_Z_EN: 0
; COMPUTE_PGM_RSRC2:TIDIG_COMP_CNT: 1
; COMPUTE_PGM_RSRC3_GFX90A:ACCUM_OFFSET: 28
; COMPUTE_PGM_RSRC3_GFX90A:TG_SPLIT: 0
	.section	.text._ZL8moe_q8_0IfLb1EEvPKvS1_PT_PKiS5_S5_iiiiiii,"axG",@progbits,_ZL8moe_q8_0IfLb1EEvPKvS1_PT_PKiS5_S5_iiiiiii,comdat
	.globl	_ZL8moe_q8_0IfLb1EEvPKvS1_PT_PKiS5_S5_iiiiiii ; -- Begin function _ZL8moe_q8_0IfLb1EEvPKvS1_PT_PKiS5_S5_iiiiiii
	.p2align	8
	.type	_ZL8moe_q8_0IfLb1EEvPKvS1_PT_PKiS5_S5_iiiiiii,@function
_ZL8moe_q8_0IfLb1EEvPKvS1_PT_PKiS5_S5_iiiiiii: ; @_ZL8moe_q8_0IfLb1EEvPKvS1_PT_PKiS5_S5_iiiiiii
; %bb.0:
	s_load_dwordx4 s[4:7], s[0:1], 0x18
	s_mov_b32 s8, s3
	s_mov_b32 s9, 0
	s_lshl_b64 s[10:11], s[8:9], 2
	s_waitcnt lgkmcnt(0)
	s_add_u32 s6, s6, s10
	s_addc_u32 s7, s7, s11
	s_load_dword s14, s[6:7], 0x0
	s_waitcnt lgkmcnt(0)
	s_cmpk_gt_u32 s14, 0xff
	s_cbranch_scc1 .LBB186_23
; %bb.1:
	s_load_dwordx2 s[6:7], s[0:1], 0x28
	s_lshl_b32 s3, s8, 3
	s_waitcnt lgkmcnt(0)
	s_load_dword s6, s[6:7], 0x0
	s_waitcnt lgkmcnt(0)
	s_cmp_gt_u32 s3, s6
	s_cbranch_scc1 .LBB186_23
; %bb.2:
	v_bfe_u32 v4, v0, 10, 10
	v_mov_b32_e32 v6, s4
	v_mov_b32_e32 v7, s5
	v_add_u32_e32 v2, s3, v4
	v_mov_b32_e32 v3, 0
	v_lshl_add_u64 v[6:7], v[2:3], 2, v[6:7]
	global_load_dword v1, v[6:7], off
	s_load_dwordx8 s[4:11], s[0:1], 0x30
	s_load_dwordx2 s[12:13], s[0:1], 0x10
	s_waitcnt lgkmcnt(0)
	s_lshl_b32 s11, s2, 7
	s_mov_b32 s16, 0
	s_cmp_lt_i32 s5, 32
	s_cbranch_scc1 .LBB186_13
; %bb.3:
	s_ashr_i32 s15, s5, 31
	s_lshr_b32 s15, s15, 27
	s_load_dwordx4 s[0:3], s[0:1], 0x0
	s_add_i32 s15, s5, s15
	s_ashr_i32 s17, s15, 5
	s_ashr_i32 s15, s8, 31
	s_lshr_b32 s15, s15, 27
	s_add_i32 s8, s8, s15
	s_mul_i32 s14, s14, s4
	s_ashr_i32 s8, s8, 5
	s_ashr_i32 s4, s14, 31
	s_waitcnt lgkmcnt(0)
	s_add_u32 s0, s0, s14
	s_addc_u32 s1, s1, s4
	s_mul_i32 s4, s17, s11
	s_mul_hi_i32 s14, s4, 34
	s_mul_i32 s4, s4, 34
	s_add_u32 s4, s0, s4
	s_addc_u32 s18, s1, s14
	s_not_b32 s0, s11
	s_add_i32 s6, s6, s0
	v_add_u32_e32 v5, 8, v4
	v_min_i32_e32 v45, s6, v5
	v_add_u32_e32 v5, 16, v4
	v_min_i32_e32 v47, s6, v5
	;; [unrolled: 2-line block ×15, first 2 shown]
	v_bfe_u32 v5, v0, 2, 8
	v_and_b32_e32 v9, 0x3ff, v0
	v_lshl_add_u32 v5, v4, 3, v5
	v_lshlrev_b32_e32 v6, 2, v9
	v_min_i32_e32 v44, s6, v4
	s_movk_i32 s14, 0x84
	v_min_i32_e32 v75, s6, v5
	v_add_u32_e32 v5, 64, v5
	v_mad_u64_u32 v[10:11], s[0:1], v44, s14, v[6:7]
	v_mad_u64_u32 v[12:13], s[0:1], v45, s14, v[6:7]
	;; [unrolled: 1-line block ×10, first 2 shown]
	v_min_i32_e32 v77, s6, v5
	v_ashrrev_i32_e32 v7, 31, v75
	v_ashrrev_i32_e32 v5, 31, v77
	s_abs_i32 s1, s10
	v_lshrrev_b32_e32 v7, 29, v7
	v_lshrrev_b32_e32 v5, 29, v5
	v_cvt_f32_u32_e32 v13, s1
	v_add_u32_e32 v7, v75, v7
	v_add_u32_e32 v5, v77, v5
	v_and_b32_e32 v30, 3, v0
	v_ashrrev_i32_e32 v7, 3, v7
	v_ashrrev_i32_e32 v5, 3, v5
	v_lshlrev_b32_e32 v7, 2, v7
	v_lshlrev_b32_e32 v11, 2, v30
	s_movk_i32 s0, 0x4200
	v_lshlrev_b32_e32 v5, 2, v5
	v_add3_u32 v7, v7, v11, s0
	v_add3_u32 v5, v5, v11, s0
	v_rcp_iflag_f32_e32 v11, v13
	s_sub_i32 s6, 0, s1
	s_waitcnt vmcnt(0)
	v_sub_u32_e32 v19, 0, v1
	v_max_i32_e32 v19, v1, v19
	v_mul_f32_e32 v11, 0x4f7ffffe, v11
	v_cvt_u32_f32_e32 v11, v11
	v_xor_b32_e32 v23, s10, v1
	v_ashrrev_i32_e32 v23, 31, v23
	v_add_u32_e32 v17, 0x60, v9
	v_mul_lo_u32 v21, s6, v11
	v_mul_hi_u32 v21, v11, v21
	v_add_u32_e32 v11, v11, v21
	v_mul_hi_u32 v11, v19, v11
	v_mul_lo_u32 v21, v11, s1
	v_sub_u32_e32 v19, v19, v21
	v_add_u32_e32 v21, 1, v11
	v_cmp_le_u32_e32 vcc, s1, v19
	v_add_u32_e32 v13, 64, v9
	v_add_u32_e32 v15, 32, v9
	v_cndmask_b32_e32 v11, v11, v21, vcc
	v_subrev_u32_e32 v21, s1, v19
	v_cndmask_b32_e32 v19, v19, v21, vcc
	v_add_u32_e32 v21, 1, v11
	v_cmp_le_u32_e32 vcc, s1, v19
	v_lshlrev_b32_e32 v19, 4, v9
	s_movk_i32 s1, 0x4800
	v_cndmask_b32_e32 v11, v11, v21, vcc
	v_xor_b32_e32 v11, v11, v23
	v_sub_u32_e32 v27, v11, v23
	v_lshrrev_b32_e32 v11, 1, v17
	v_and_b32_e32 v11, 0xfc, v11
	v_lshrrev_b32_e32 v13, 1, v13
	v_bfe_u32 v8, v0, 3, 7
	v_add3_u32 v11, v19, v11, s1
	v_and_b32_e32 v13, 0xfc, v13
	s_movk_i32 s1, 0x4600
	v_lshrrev_b32_e32 v15, 1, v15
	v_add3_u32 v13, v19, v13, s1
	v_and_b32_e32 v15, 0xfc, v15
	s_movk_i32 s1, 0x4400
	v_lshlrev_b32_e32 v17, 2, v8
	v_add3_u32 v15, v19, v15, s1
	v_add3_u32 v17, v19, v17, s0
	v_lshlrev_b32_e32 v19, 4, v75
	v_add_u32_e32 v19, v7, v19
	v_lshlrev_b32_e32 v7, 4, v77
	v_and_b32_e32 v2, 28, v6
	v_add_u32_e32 v21, v5, v7
	v_add_u32_e32 v5, 0x4e40, v6
	v_mad_u64_u32 v[32:33], s[0:1], v63, s14, v[6:7]
	v_mad_u64_u32 v[34:35], s[0:1], v65, s14, v[6:7]
	;; [unrolled: 1-line block ×6, first 2 shown]
	v_mov_b32_e32 v6, 0x4a40
	v_lshl_add_u32 v23, v4, 7, v6
	v_and_b32_e32 v6, 31, v0
	v_cmp_gt_u32_e64 s[0:1], 4, v9
	v_lshlrev_b32_e32 v4, 4, v4
	v_cmp_gt_i32_e32 vcc, s7, v27
	v_lshl_add_u32 v25, v6, 2, v23
	v_mul_lo_u32 v27, v27, s8
	s_and_b64 s[14:15], s[0:1], vcc
	v_add_u32_e32 v29, v5, v4
	v_add_u32_e32 v31, 0x4e40, v4
	v_mov_b32_e32 v4, v3
	v_mov_b32_e32 v5, v3
	;; [unrolled: 1-line block ×4, first 2 shown]
	v_mul_lo_u32 v44, v44, s17
	v_mul_lo_u32 v46, v45, s17
	;; [unrolled: 1-line block ×18, first 2 shown]
	v_mul_u32_u24_e32 v33, 0x84, v9
	v_lshl_add_u64 v[80:81], s[2:3], 0, v[2:3]
	s_branch .LBB186_5
.LBB186_4:                              ;   in Loop: Header=BB186_5 Depth=1
	s_add_i32 s16, s16, 4
	s_cmp_ge_i32 s16, s17
	s_cbranch_scc1 .LBB186_14
.LBB186_5:                              ; =>This Loop Header: Depth=1
                                        ;     Child Loop BB186_11 Depth 2
	s_mul_i32 s0, s16, 34
	s_mul_hi_u32 s1, s16, 34
	s_add_u32 s0, s4, s0
	s_addc_u32 s1, s18, s1
	v_mad_u64_u32 v[82:83], s[20:21], v8, 34, s[0:1]
	v_mad_i64_i32 v[84:85], s[20:21], v44, 34, v[82:83]
	v_mad_i64_i32 v[86:87], s[20:21], v46, 34, v[82:83]
	;; [unrolled: 1-line block ×7, first 2 shown]
	v_lshl_add_u64 v[84:85], v[84:85], 0, v[2:3]
	v_lshl_add_u64 v[86:87], v[86:87], 0, v[2:3]
	;; [unrolled: 1-line block ×7, first 2 shown]
	v_mad_i64_i32 v[98:99], s[20:21], v58, 34, v[82:83]
	v_lshl_add_u64 v[98:99], v[98:99], 0, v[2:3]
	global_load_dword v35, v[84:85], off offset:2
	global_load_dword v37, v[86:87], off offset:2
	;; [unrolled: 1-line block ×8, first 2 shown]
	v_mad_i64_i32 v[84:85], s[20:21], v60, 34, v[82:83]
	v_mad_i64_i32 v[86:87], s[20:21], v62, 34, v[82:83]
	;; [unrolled: 1-line block ×8, first 2 shown]
	v_lshl_add_u64 v[84:85], v[84:85], 0, v[2:3]
	v_lshl_add_u64 v[82:83], v[82:83], 0, v[2:3]
	;; [unrolled: 1-line block ×8, first 2 shown]
	global_load_dword v51, v[84:85], off offset:2
	global_load_dword v53, v[86:87], off offset:2
	;; [unrolled: 1-line block ×8, first 2 shown]
	v_mad_u64_u32 v[82:83], s[0:1], v30, 34, s[0:1]
	v_mad_i64_i32 v[84:85], s[0:1], v76, 34, v[82:83]
	v_mad_i64_i32 v[82:83], s[0:1], v78, 34, v[82:83]
	global_load_ushort v67, v[84:85], off
	global_load_ushort v69, v[82:83], off
	s_lshl_b32 s0, s16, 5
	s_cmp_ge_i32 s0, s5
	s_waitcnt vmcnt(17)
	ds_write_b32 v10, v35
	s_waitcnt vmcnt(16)
	ds_write_b32 v12, v37
	;; [unrolled: 2-line block ×16, first 2 shown]
	s_waitcnt vmcnt(1)
	v_cvt_f32_f16_e32 v35, v67
	s_waitcnt vmcnt(0)
	v_cvt_f32_f16_e32 v37, v69
	ds_write_b32 v19, v35
	ds_write_b32 v21, v37
	s_cbranch_scc1 .LBB186_4
; %bb.6:                                ;   in Loop: Header=BB186_5 Depth=1
	v_add_u32_e32 v35, s16, v8
	v_cmp_gt_i32_e64 s[0:1], s8, v35
	s_and_b64 s[20:21], vcc, s[0:1]
	s_and_saveexec_b64 s[0:1], s[20:21]
	s_cbranch_execz .LBB186_8
; %bb.7:                                ;   in Loop: Header=BB186_5 Depth=1
	v_add_u32_e32 v35, v27, v35
	v_mad_i64_i32 v[82:83], s[20:21], v35, 36, v[80:81]
	global_load_dword v35, v[82:83], off offset:4
	s_waitcnt vmcnt(0)
	ds_write_b32 v25, v35
.LBB186_8:                              ;   in Loop: Header=BB186_5 Depth=1
	s_or_b64 exec, exec, s[0:1]
	v_or_b32_e32 v35, s16, v9
	v_cmp_gt_i32_e64 s[0:1], s8, v35
	s_and_b64 s[20:21], s[14:15], s[0:1]
	s_and_saveexec_b64 s[0:1], s[20:21]
	s_cbranch_execz .LBB186_10
; %bb.9:                                ;   in Loop: Header=BB186_5 Depth=1
	v_add_u32_e32 v35, v27, v35
	v_mad_i64_i32 v[82:83], s[20:21], v35, 36, s[2:3]
	global_load_dword v35, v[82:83], off
	s_waitcnt vmcnt(0)
	v_cvt_f32_f16_e32 v35, v35
	ds_write_b32 v29, v35
.LBB186_10:                             ;   in Loop: Header=BB186_5 Depth=1
	s_or_b64 exec, exec, s[0:1]
	s_mov_b32 s0, -8
	v_mov_b32_e32 v35, v23
	v_mov_b32_e32 v37, v31
	;; [unrolled: 1-line block ×7, first 2 shown]
	s_waitcnt lgkmcnt(0)
	s_barrier
.LBB186_11:                             ;   Parent Loop BB186_5 Depth=1
                                        ; =>  This Inner Loop Header: Depth=2
	ds_read_b128 v[82:85], v35
	ds_read_b128 v[86:89], v35 offset:16
	v_add_u32_e32 v51, 0x1080, v47
	ds_read2_b32 v[90:91], v47 offset0:2 offset1:3
	ds_read2_b32 v[92:93], v47 offset0:4 offset1:5
	;; [unrolled: 1-line block ×3, first 2 shown]
	v_add_u32_e32 v55, 0x1088, v47
	v_add_u32_e32 v57, 0x1090, v47
	;; [unrolled: 1-line block ×8, first 2 shown]
	ds_read_b32 v96, v37
	ds_read_b32 v98, v39
	ds_read2_b32 v[100:101], v47 offset1:1
	ds_read_b32 v99, v41
	ds_read_b32 v102, v43
	;; [unrolled: 1-line block ×3, first 2 shown]
	v_add_u32_e32 v75, 0x3188, v47
	v_add_u32_e32 v77, 0x3190, v47
	;; [unrolled: 1-line block ×3, first 2 shown]
	ds_read2_b32 v[104:105], v51 offset1:1
	ds_read2_b32 v[106:107], v55 offset1:1
	;; [unrolled: 1-line block ×12, first 2 shown]
	v_mov_b32_e32 v49, 0
	v_mov_b32_e32 v53, 0
	v_mov_b32_e32 v63, 0
	v_mov_b32_e32 v73, 0
	s_waitcnt lgkmcnt(14)
	v_dot4c_i32_i8_e32 v49, v100, v82
	s_waitcnt lgkmcnt(11)
	v_dot4c_i32_i8_e32 v53, v104, v82
	;; [unrolled: 2-line block ×4, first 2 shown]
	v_dot4c_i32_i8_e32 v49, v101, v83
	v_dot4c_i32_i8_e32 v53, v105, v83
	v_dot4c_i32_i8_e32 v63, v113, v83
	v_dot4c_i32_i8_e32 v73, v121, v83
	v_dot4c_i32_i8_e32 v49, v90, v84
	v_dot4c_i32_i8_e32 v53, v106, v84
	v_dot4c_i32_i8_e32 v63, v114, v84
	s_waitcnt lgkmcnt(2)
	v_dot4c_i32_i8_e32 v73, v122, v84
	v_dot4c_i32_i8_e32 v49, v91, v85
	v_dot4c_i32_i8_e32 v53, v107, v85
	v_dot4c_i32_i8_e32 v63, v115, v85
	v_dot4c_i32_i8_e32 v73, v123, v85
	v_dot4c_i32_i8_e32 v49, v92, v86
	v_dot4c_i32_i8_e32 v53, v108, v86
	v_dot4c_i32_i8_e32 v63, v116, v86
	s_waitcnt lgkmcnt(1)
	v_dot4c_i32_i8_e32 v73, v124, v86
	;; [unrolled: 9-line block ×3, first 2 shown]
	v_dot4c_i32_i8_e32 v49, v95, v89
	v_dot4c_i32_i8_e32 v53, v111, v89
	;; [unrolled: 1-line block ×4, first 2 shown]
	v_cvt_f32_i32_e32 v82, v49
	v_cvt_f32_i32_e32 v83, v53
	;; [unrolled: 1-line block ×4, first 2 shown]
	s_add_i32 s0, s0, 8
	v_pk_mul_f32 v[86:87], v[96:97], v[98:99] op_sel_hi:[0,1]
	v_pk_mul_f32 v[88:89], v[96:97], v[102:103] op_sel_hi:[0,1]
	v_add_u32_e32 v47, 32, v47
	v_add_u32_e32 v45, 4, v45
	;; [unrolled: 1-line block ×7, first 2 shown]
	s_cmp_lt_u32 s0, 24
	v_pk_fma_f32 v[6:7], v[88:89], v[84:85], v[6:7]
	v_pk_fma_f32 v[4:5], v[86:87], v[82:83], v[4:5]
	s_cbranch_scc1 .LBB186_11
; %bb.12:                               ;   in Loop: Header=BB186_5 Depth=1
	s_barrier
	s_branch .LBB186_4
.LBB186_13:
	v_mov_b32_e32 v4, v3
	v_mov_b32_e32 v5, v3
	;; [unrolled: 1-line block ×3, first 2 shown]
	v_mov_b64_e32 v[6:7], v[4:5]
	v_mov_b64_e32 v[4:5], v[2:3]
.LBB186_14:
	s_mul_i32 s0, s10, s7
	s_waitcnt vmcnt(0)
	v_cmp_gt_i32_e32 vcc, s0, v1
	s_and_saveexec_b64 s[0:1], vcc
	s_cbranch_execz .LBB186_23
; %bb.15:
	v_and_b32_e32 v0, 0x3ff, v0
	v_add_u32_e32 v2, s11, v0
	v_mul_lo_u32 v0, v1, s9
	v_cmp_gt_u32_e32 vcc, s9, v2
	s_and_saveexec_b64 s[0:1], vcc
	s_cbranch_execz .LBB186_17
; %bb.16:
	v_add_u32_e32 v8, v0, v2
	v_mov_b32_e32 v9, 0
	v_lshl_add_u64 v[8:9], v[8:9], 2, s[12:13]
	global_store_dword v[8:9], v4, off
.LBB186_17:
	s_or_b64 exec, exec, s[0:1]
	v_add_u32_e32 v1, 32, v2
	v_cmp_gt_u32_e32 vcc, s9, v1
	s_and_saveexec_b64 s[0:1], vcc
	s_cbranch_execz .LBB186_19
; %bb.18:
	v_add_u32_e32 v8, v0, v1
	v_mov_b32_e32 v9, 0
	v_lshl_add_u64 v[8:9], v[8:9], 2, s[12:13]
	global_store_dword v[8:9], v5, off
.LBB186_19:
	s_or_b64 exec, exec, s[0:1]
	v_add_u32_e32 v1, 64, v2
	;; [unrolled: 11-line block ×3, first 2 shown]
	v_cmp_gt_u32_e32 vcc, s9, v1
	s_and_b64 exec, exec, vcc
	s_cbranch_execz .LBB186_23
; %bb.22:
	v_add_u32_e32 v0, v0, v1
	v_mov_b32_e32 v1, 0
	v_lshl_add_u64 v[0:1], v[0:1], 2, s[12:13]
	global_store_dword v[0:1], v7, off
.LBB186_23:
	s_endpgm
	.section	.rodata,"a",@progbits
	.p2align	6, 0x0
	.amdhsa_kernel _ZL8moe_q8_0IfLb1EEvPKvS1_PT_PKiS5_S5_iiiiiii
		.amdhsa_group_segment_fixed_size 20160
		.amdhsa_private_segment_fixed_size 0
		.amdhsa_kernarg_size 76
		.amdhsa_user_sgpr_count 2
		.amdhsa_user_sgpr_dispatch_ptr 0
		.amdhsa_user_sgpr_queue_ptr 0
		.amdhsa_user_sgpr_kernarg_segment_ptr 1
		.amdhsa_user_sgpr_dispatch_id 0
		.amdhsa_user_sgpr_kernarg_preload_length 0
		.amdhsa_user_sgpr_kernarg_preload_offset 0
		.amdhsa_user_sgpr_private_segment_size 0
		.amdhsa_uses_dynamic_stack 0
		.amdhsa_enable_private_segment 0
		.amdhsa_system_sgpr_workgroup_id_x 1
		.amdhsa_system_sgpr_workgroup_id_y 1
		.amdhsa_system_sgpr_workgroup_id_z 0
		.amdhsa_system_sgpr_workgroup_info 0
		.amdhsa_system_vgpr_workitem_id 1
		.amdhsa_next_free_vgpr 128
		.amdhsa_next_free_sgpr 22
		.amdhsa_accum_offset 128
		.amdhsa_reserve_vcc 1
		.amdhsa_float_round_mode_32 0
		.amdhsa_float_round_mode_16_64 0
		.amdhsa_float_denorm_mode_32 3
		.amdhsa_float_denorm_mode_16_64 3
		.amdhsa_dx10_clamp 1
		.amdhsa_ieee_mode 1
		.amdhsa_fp16_overflow 0
		.amdhsa_tg_split 0
		.amdhsa_exception_fp_ieee_invalid_op 0
		.amdhsa_exception_fp_denorm_src 0
		.amdhsa_exception_fp_ieee_div_zero 0
		.amdhsa_exception_fp_ieee_overflow 0
		.amdhsa_exception_fp_ieee_underflow 0
		.amdhsa_exception_fp_ieee_inexact 0
		.amdhsa_exception_int_div_zero 0
	.end_amdhsa_kernel
	.section	.text._ZL8moe_q8_0IfLb1EEvPKvS1_PT_PKiS5_S5_iiiiiii,"axG",@progbits,_ZL8moe_q8_0IfLb1EEvPKvS1_PT_PKiS5_S5_iiiiiii,comdat
.Lfunc_end186:
	.size	_ZL8moe_q8_0IfLb1EEvPKvS1_PT_PKiS5_S5_iiiiiii, .Lfunc_end186-_ZL8moe_q8_0IfLb1EEvPKvS1_PT_PKiS5_S5_iiiiiii
                                        ; -- End function
	.set _ZL8moe_q8_0IfLb1EEvPKvS1_PT_PKiS5_S5_iiiiiii.num_vgpr, 128
	.set _ZL8moe_q8_0IfLb1EEvPKvS1_PT_PKiS5_S5_iiiiiii.num_agpr, 0
	.set _ZL8moe_q8_0IfLb1EEvPKvS1_PT_PKiS5_S5_iiiiiii.numbered_sgpr, 22
	.set _ZL8moe_q8_0IfLb1EEvPKvS1_PT_PKiS5_S5_iiiiiii.num_named_barrier, 0
	.set _ZL8moe_q8_0IfLb1EEvPKvS1_PT_PKiS5_S5_iiiiiii.private_seg_size, 0
	.set _ZL8moe_q8_0IfLb1EEvPKvS1_PT_PKiS5_S5_iiiiiii.uses_vcc, 1
	.set _ZL8moe_q8_0IfLb1EEvPKvS1_PT_PKiS5_S5_iiiiiii.uses_flat_scratch, 0
	.set _ZL8moe_q8_0IfLb1EEvPKvS1_PT_PKiS5_S5_iiiiiii.has_dyn_sized_stack, 0
	.set _ZL8moe_q8_0IfLb1EEvPKvS1_PT_PKiS5_S5_iiiiiii.has_recursion, 0
	.set _ZL8moe_q8_0IfLb1EEvPKvS1_PT_PKiS5_S5_iiiiiii.has_indirect_call, 0
	.section	.AMDGPU.csdata,"",@progbits
; Kernel info:
; codeLenInByte = 2804
; TotalNumSgprs: 28
; NumVgprs: 128
; NumAgprs: 0
; TotalNumVgprs: 128
; ScratchSize: 0
; MemoryBound: 0
; FloatMode: 240
; IeeeMode: 1
; LDSByteSize: 20160 bytes/workgroup (compile time only)
; SGPRBlocks: 3
; VGPRBlocks: 15
; NumSGPRsForWavesPerEU: 28
; NumVGPRsForWavesPerEU: 128
; AccumOffset: 128
; Occupancy: 4
; WaveLimiterHint : 1
; COMPUTE_PGM_RSRC2:SCRATCH_EN: 0
; COMPUTE_PGM_RSRC2:USER_SGPR: 2
; COMPUTE_PGM_RSRC2:TRAP_HANDLER: 0
; COMPUTE_PGM_RSRC2:TGID_X_EN: 1
; COMPUTE_PGM_RSRC2:TGID_Y_EN: 1
; COMPUTE_PGM_RSRC2:TGID_Z_EN: 0
; COMPUTE_PGM_RSRC2:TIDIG_COMP_CNT: 1
; COMPUTE_PGM_RSRC3_GFX90A:ACCUM_OFFSET: 31
; COMPUTE_PGM_RSRC3_GFX90A:TG_SPLIT: 0
	.section	.text._ZL8moe_q2_KIfLb0EEvPKvS1_PT_PKiS5_S5_iiiiiii,"axG",@progbits,_ZL8moe_q2_KIfLb0EEvPKvS1_PT_PKiS5_S5_iiiiiii,comdat
	.globl	_ZL8moe_q2_KIfLb0EEvPKvS1_PT_PKiS5_S5_iiiiiii ; -- Begin function _ZL8moe_q2_KIfLb0EEvPKvS1_PT_PKiS5_S5_iiiiiii
	.p2align	8
	.type	_ZL8moe_q2_KIfLb0EEvPKvS1_PT_PKiS5_S5_iiiiiii,@function
_ZL8moe_q2_KIfLb0EEvPKvS1_PT_PKiS5_S5_iiiiiii: ; @_ZL8moe_q2_KIfLb0EEvPKvS1_PT_PKiS5_S5_iiiiiii
; %bb.0:
	s_load_dwordx4 s[4:7], s[0:1], 0x18
	s_mov_b32 s8, s3
	s_mov_b32 s9, 0
	s_lshl_b64 s[10:11], s[8:9], 2
	s_waitcnt lgkmcnt(0)
	s_add_u32 s6, s6, s10
	s_addc_u32 s7, s7, s11
	s_load_dword s3, s[6:7], 0x0
	s_waitcnt lgkmcnt(0)
	s_cmpk_gt_u32 s3, 0xff
	s_cbranch_scc1 .LBB187_46
; %bb.1:
	s_load_dwordx2 s[6:7], s[0:1], 0x28
	s_waitcnt lgkmcnt(0)
	s_load_dword s7, s[6:7], 0x0
	s_lshl_b32 s6, s8, 3
	s_waitcnt lgkmcnt(0)
	s_cmp_gt_u32 s6, s7
	s_cbranch_scc1 .LBB187_46
; %bb.2:
	v_bfe_u32 v2, v0, 10, 10
	v_mov_b32_e32 v4, s4
	v_mov_b32_e32 v5, s5
	v_add_u32_e32 v26, s6, v2
	v_mov_b32_e32 v27, 0
	v_lshl_add_u64 v[4:5], v[26:27], 2, v[4:5]
	global_load_dword v1, v[4:5], off
	s_load_dwordx2 s[14:15], s[0:1], 0x30
	s_load_dwordx2 s[12:13], s[0:1], 0x10
	s_load_dwordx4 s[4:7], s[0:1], 0x3c
	s_lshl_b32 s18, s2, 7
	v_mov_b32_e32 v26, v27
	s_waitcnt lgkmcnt(0)
	s_cmpk_lt_i32 s15, 0x100
	v_mov_b32_e32 v29, v27
	v_mov_b32_e32 v28, v27
	s_cbranch_scc1 .LBB187_37
; %bb.3:
	s_load_dwordx4 s[8:11], s[0:1], 0x0
	s_ashr_i32 s0, s15, 31
	s_lshr_b32 s0, s0, 24
	s_add_i32 s0, s15, s0
	s_ashr_i32 s19, s0, 8
	s_ashr_i32 s0, s5, 31
	s_lshr_b32 s0, s0, 27
	s_add_i32 s0, s5, s0
	s_mul_i32 s3, s3, s14
	s_ashr_i32 s5, s0, 5
	s_ashr_i32 s0, s3, 31
	s_waitcnt lgkmcnt(0)
	s_add_u32 s1, s8, s3
	s_mul_i32 s2, s19, s18
	s_addc_u32 s0, s9, s0
	s_mul_hi_i32 s3, s2, 0x54
	s_mulk_i32 s2, 0x54
	s_add_u32 s20, s1, s2
	s_addc_u32 s21, s0, s3
	s_abs_i32 s3, s7
	v_cvt_f32_u32_e32 v31, s3
	s_lshl_b32 s2, s19, 3
	v_mov_b32_e32 v4, s2
	v_mad_i32_i24 v14, s19, v2, v4
	v_lshlrev_b32_e32 v6, 4, v2
	v_bfe_u32 v4, v0, 1, 9
	v_and_b32_e32 v13, 0x3ff, v0
	v_and_b32_e32 v16, 1, v0
	v_add_u32_e32 v4, v4, v6
	v_rcp_iflag_f32_e32 v31, v31
	v_lshlrev_b32_e32 v3, 2, v13
	s_movk_i32 s0, 0x84
	v_and_b32_e32 v5, 0x7f, v4
	v_lshlrev_b32_e32 v7, 2, v16
	v_lshrrev_b32_e32 v4, 2, v4
	v_mad_u32_u24 v15, v2, s0, v3
	v_mul_i32_i24_e32 v18, s19, v5
	v_lshl_or_b32 v5, v5, 3, v7
	v_and_b32_e32 v4, 28, v4
	s_movk_i32 s0, 0x5280
	v_bfe_u32 v19, v0, 3, 7
	v_add3_u32 v17, v5, v4, s0
	v_lshl_add_u32 v4, v2, 2, v19
	v_and_b32_e32 v7, 7, v0
	v_and_b32_e32 v5, 0x1ffc, v4
	v_lshlrev_b32_e32 v8, 2, v7
	s_movk_i32 s0, 0x4200
	s_lshl_b32 s16, s19, 5
	v_mul_f32_e32 v31, 0x4f7ffffe, v31
	v_add3_u32 v9, v5, v8, s0
	v_add_u32_e32 v5, 32, v4
	v_mov_b32_e32 v23, s16
	v_cvt_u32_f32_e32 v31, v31
	v_mul_i32_i24_e32 v22, s19, v4
	v_lshlrev_b32_e32 v26, 5, v4
	v_mad_i32_i24 v24, s19, v4, v23
	v_and_b32_e32 v23, 0x3ffc, v5
	v_lshlrev_b32_e32 v28, 5, v5
	v_add_u32_e32 v5, 64, v4
	v_add_u32_e32 v4, 0x60, v4
	v_add3_u32 v27, v23, v8, s0
	v_and_b32_e32 v23, 0x3ffc, v5
	v_lshlrev_b32_e32 v34, 5, v5
	v_and_b32_e32 v5, 0x3ffc, v4
	v_add3_u32 v29, v23, v8, s0
	v_add3_u32 v8, v5, v8, s0
	v_lshlrev_b32_e32 v36, 5, v4
	v_add_u32_e32 v35, 0x5aa0, v6
	v_add_u32_e32 v6, 32, v13
	s_sub_i32 s0, 0, s3
	v_lshlrev_b32_e32 v38, 1, v6
	v_mul_lo_u32 v45, s0, v31
	v_add_u32_e32 v61, v8, v36
	v_add_u32_e32 v36, s2, v14
	v_lshrrev_b32_e32 v40, 4, v6
	v_add_u32_e32 v30, 64, v13
	s_waitcnt vmcnt(0)
	v_sub_u32_e32 v33, 0, v1
	v_mul_hi_u32 v45, v31, v45
	v_lshlrev_b32_e32 v67, 2, v38
	v_add_u32_e32 v38, s2, v36
	v_lshlrev_b32_e32 v42, 1, v30
	v_max_i32_e32 v33, v1, v33
	v_add_u32_e32 v31, v31, v45
	v_lshlrev_b32_e32 v65, 2, v40
	v_add_u32_e32 v40, s2, v38
	v_lshrrev_b32_e32 v44, 4, v30
	v_add_u32_e32 v32, 0x60, v13
	v_mul_hi_u32 v31, v33, v31
	v_lshlrev_b32_e32 v73, 2, v42
	v_add_u32_e32 v42, s2, v40
	v_lshlrev_b32_e32 v46, 1, v32
	v_mul_lo_u32 v45, v31, s3
	v_lshlrev_b32_e32 v69, 2, v44
	v_add_u32_e32 v44, s2, v42
	v_lshrrev_b32_e32 v48, 4, v32
	v_sub_u32_e32 v33, v33, v45
	v_lshlrev_b32_e32 v75, 2, v46
	v_add_u32_e32 v46, s2, v44
	v_add_u32_e32 v45, 1, v31
	v_cmp_le_u32_e64 s[0:1], s3, v33
	v_lshlrev_b32_e32 v74, 2, v48
	v_add_u32_e32 v48, s2, v46
	v_cndmask_b32_e64 v31, v31, v45, s[0:1]
	v_subrev_u32_e32 v45, s3, v33
	v_add_u32_e32 v50, s2, v48
	v_cndmask_b32_e64 v33, v33, v45, s[0:1]
	v_add_u32_e32 v52, s2, v50
	v_add_u32_e32 v45, 1, v31
	v_xor_b32_e32 v47, s7, v1
	v_cmp_le_u32_e64 s[0:1], s3, v33
	v_add_u32_e32 v54, s2, v52
	v_ashrrev_i32_e32 v47, 31, v47
	v_cndmask_b32_e64 v31, v31, v45, s[0:1]
	v_add_u32_e32 v56, s2, v54
	v_lshrrev_b32_e32 v39, 3, v6
	v_xor_b32_e32 v31, v31, v47
	v_lshlrev_b32_e32 v33, 5, v13
	v_and_b32_e32 v6, 0x1fc, v6
	v_add_u32_e32 v58, s2, v56
	v_mov_b32_e32 v11, 0
	v_mov_b32_e32 v23, 0x56a0
	v_sub_u32_e32 v31, v31, v47
	v_add_u32_e32 v47, v33, v6
	v_and_b32_e32 v6, 0x1fc, v30
	v_add_u32_e32 v60, s2, v58
	v_and_b32_e32 v10, 60, v3
	v_mul_i32_i24_e32 v12, s19, v2
	v_and_b32_e32 v20, 12, v3
	v_and_b32_e32 v25, 31, v0
	;; [unrolled: 1-line block ×3, first 2 shown]
	v_mov_b32_e32 v5, v11
	v_lshl_add_u32 v23, v2, 7, v23
	v_cmp_gt_u32_e32 vcc, 4, v13
	v_add_u32_e32 v37, v35, v3
	v_mul_u32_u24_e32 v2, 33, v13
	v_lshlrev_b32_e32 v3, 1, v13
	v_lshrrev_b32_e32 v41, 3, v30
	v_cmp_gt_i32_e64 s[0:1], s4, v31
	v_and_b32_e32 v45, 0xfc, v0
	v_add_u32_e32 v49, v33, v6
	v_and_b32_e32 v6, 0x1fc, v32
	v_mul_lo_u32 v30, v31, s5
	v_add_u32_e32 v59, v29, v34
	v_bfe_u32 v34, v0, 4, 6
	v_add_u32_e32 v62, s2, v60
	v_cmp_lt_u32_e64 s[2:3], 3, v7
	v_add_u32_e32 v66, s16, v24
	s_movk_i32 s14, 0x54
	s_mov_b32 s22, 0
	v_mov_b32_e32 v21, v11
	v_lshl_add_u32 v25, v25, 2, v23
	v_lshrrev_b32_e32 v43, 3, v32
	v_add_u32_e32 v45, v33, v45
	v_add_u32_e32 v51, v33, v6
	v_lshl_add_u64 v[32:33], s[10:11], 0, v[4:5]
	s_and_b64 s[8:9], vcc, s[0:1]
	v_lshlrev_b32_e32 v53, 2, v2
	v_ashrrev_i32_e32 v31, 31, v30
	v_add_u32_e32 v55, v9, v26
	v_add_u32_e32 v57, v27, v28
	v_lshlrev_b32_e32 v63, 2, v3
	s_mov_b32 s23, 0x1010101
	v_mov_b32_e32 v28, v11
	v_mov_b32_e32 v29, v11
	;; [unrolled: 1-line block ×4, first 2 shown]
	v_lshlrev_b32_e32 v76, 2, v34
	v_mov_b32_e32 v77, 4
	v_mov_b32_e32 v78, 15
	v_cndmask_b32_e64 v64, 0, 1, s[2:3]
	v_add_u32_e32 v68, s16, v66
	s_branch .LBB187_5
.LBB187_4:                              ;   in Loop: Header=BB187_5 Depth=1
	s_add_i32 s22, s22, 2
	s_cmp_ge_i32 s22, s19
	s_cbranch_scc1 .LBB187_37
.LBB187_5:                              ; =>This Loop Header: Depth=1
                                        ;     Child Loop BB187_11 Depth 2
                                        ;     Child Loop BB187_19 Depth 2
                                        ;     Child Loop BB187_27 Depth 2
                                        ;     Child Loop BB187_35 Depth 2
	s_mul_i32 s2, s22, 0x54
	s_mul_hi_u32 s3, s22, 0x54
	s_add_u32 s2, s20, s2
	s_addc_u32 s3, s21, s3
	v_mov_b64_e32 v[2:3], s[2:3]
	v_mad_u64_u32 v[4:5], s[2:3], v34, s14, v[2:3]
	v_mad_u64_u32 v[6:7], s[2:3], v12, s14, v[4:5]
	v_lshl_add_u64 v[6:7], v[6:7], 0, v[10:11]
	v_mad_u64_u32 v[8:9], s[2:3], v14, s14, v[4:5]
	v_mad_u64_u32 v[70:71], s[2:3], v36, s14, v[4:5]
	;; [unrolled: 1-line block ×7, first 2 shown]
	v_lshl_add_u64 v[8:9], v[8:9], 0, v[10:11]
	v_lshl_add_u64 v[70:71], v[70:71], 0, v[10:11]
	;; [unrolled: 1-line block ×7, first 2 shown]
	global_load_dword v72, v[6:7], off offset:16
	global_load_dword v79, v[8:9], off offset:16
	;; [unrolled: 1-line block ×8, first 2 shown]
	v_mad_u64_u32 v[6:7], s[2:3], v48, s14, v[4:5]
	v_mad_u64_u32 v[8:9], s[2:3], v50, s14, v[4:5]
	;; [unrolled: 1-line block ×8, first 2 shown]
	v_lshl_add_u64 v[6:7], v[6:7], 0, v[10:11]
	v_lshl_add_u64 v[4:5], v[4:5], 0, v[10:11]
	;; [unrolled: 1-line block ×8, first 2 shown]
	global_load_dword v88, v[6:7], off offset:16
	global_load_dword v89, v[8:9], off offset:16
	;; [unrolled: 1-line block ×8, first 2 shown]
	v_mad_u64_u32 v[4:5], s[2:3], v18, s14, v[2:3]
	v_mad_u64_u32 v[2:3], s[2:3], v64, s14, v[2:3]
	v_lshl_add_u64 v[2:3], v[2:3], 0, v[20:21]
	v_mad_u64_u32 v[4:5], s[2:3], v16, s14, v[4:5]
	v_mad_u64_u32 v[6:7], s[2:3], v22, s14, v[2:3]
	;; [unrolled: 1-line block ×5, first 2 shown]
	global_load_dword v80, v[4:5], off offset:80
	global_load_dword v81, v[6:7], off
	global_load_dword v82, v[8:9], off
	;; [unrolled: 1-line block ×3, first 2 shown]
	s_lshl_b32 s24, s22, 8
	global_load_dword v2, v[2:3], off
	v_add_u32_e32 v3, 0x420, v15
	s_cmp_lt_i32 s24, s15
	s_waitcnt vmcnt(20)
	ds_write_b32 v15, v72
	s_waitcnt vmcnt(19)
	ds_write_b32 v3, v79
	v_add_u32_e32 v3, 0x840, v15
	s_waitcnt vmcnt(18)
	ds_write_b32 v3, v90
	v_add_u32_e32 v3, 0xc60, v15
	;; [unrolled: 3-line block ×14, first 2 shown]
	s_waitcnt vmcnt(5)
	ds_write_b32 v3, v101
	s_waitcnt vmcnt(4)
	ds_write_b32 v17, v80
	;; [unrolled: 2-line block ×6, first 2 shown]
	s_cbranch_scc0 .LBB187_4
; %bb.6:                                ;   in Loop: Header=BB187_5 Depth=1
	s_lshl_b32 s25, s22, 3
	v_add_u32_e32 v2, s25, v19
	v_cmp_gt_i32_e64 s[2:3], s5, v2
	s_and_b64 s[16:17], s[0:1], s[2:3]
	s_and_saveexec_b64 s[2:3], s[16:17]
	s_cbranch_execz .LBB187_8
; %bb.7:                                ;   in Loop: Header=BB187_5 Depth=1
	v_add_u32_e32 v2, v30, v2
	v_mad_i64_i32 v[2:3], s[16:17], v2, 36, v[32:33]
	global_load_dword v2, v[2:3], off offset:4
	s_waitcnt vmcnt(0)
	ds_write_b32 v25, v2
.LBB187_8:                              ;   in Loop: Header=BB187_5 Depth=1
	s_or_b64 exec, exec, s[2:3]
	v_add_u32_e32 v70, s25, v13
	v_cmp_gt_i32_e64 s[2:3], s5, v70
	s_and_b64 s[16:17], s[8:9], s[2:3]
	s_and_saveexec_b64 s[2:3], s[16:17]
	s_cbranch_execz .LBB187_10
; %bb.9:                                ;   in Loop: Header=BB187_5 Depth=1
	v_add_u32_e32 v2, v30, v70
	v_mad_i64_i32 v[2:3], s[16:17], v2, 36, s[10:11]
	global_load_dword v2, v[2:3], off
	s_waitcnt vmcnt(0)
	v_cvt_f32_f16_e32 v2, v2
	ds_write_b32 v37, v2
.LBB187_10:                             ;   in Loop: Header=BB187_5 Depth=1
	s_or_b64 exec, exec, s[2:3]
	s_mov_b32 s2, 0
	v_mov_b32_e32 v71, v35
	v_mov_b32_e32 v79, v23
	s_waitcnt lgkmcnt(0)
	s_barrier
.LBB187_11:                             ;   Parent Loop BB187_5 Depth=1
                                        ; =>  This Inner Loop Header: Depth=2
	s_and_b32 s16, s2, 0x3ffffff8
	v_lshl_add_u32 v80, s16, 2, v53
	ds_read_b32 v72, v71
	ds_read_b128 v[6:9], v79
	ds_read_b128 v[2:5], v79 offset:16
	ds_read2_b32 v[82:83], v80 offset1:1
	s_lshr_b32 s16, s2, 2
	s_and_b32 s16, s16, 0x3ffffffc
	s_addk_i32 s16, 0x5280
	v_add3_u32 v90, s16, v76, v63
	ds_read_b32 v90, v90
	s_waitcnt lgkmcnt(1)
	v_ashrrev_i32_e32 v81, s2, v82
	v_ashrrev_i32_e32 v82, s2, v83
	v_and_b32_e32 v84, 0x3030303, v82
	ds_read2_b32 v[82:83], v80 offset0:2 offset1:3
	v_add3_u32 v92, s16, v65, v67
	ds_read_b32 v92, v92
	v_and_b32_e32 v81, 0x3030303, v81
	v_mov_b32_e32 v91, 0
	s_waitcnt lgkmcnt(1)
	v_ashrrev_i32_e32 v82, s2, v82
	v_and_b32_e32 v85, 0x3030303, v82
	v_ashrrev_i32_e32 v82, s2, v83
	v_and_b32_e32 v86, 0x3030303, v82
	ds_read2_b32 v[82:83], v80 offset0:4 offset1:5
	s_and_b32 s3, s2, -16
	v_dot4c_i32_i8_e32 v91, v81, v6
	v_mov_b32_e32 v81, 0
	s_add_i32 s3, s2, s3
	s_waitcnt lgkmcnt(0)
	v_ashrrev_i32_e32 v82, s2, v82
	v_and_b32_e32 v87, 0x3030303, v82
	v_ashrrev_i32_e32 v82, s2, v83
	v_and_b32_e32 v88, 0x3030303, v82
	ds_read2_b32 v[82:83], v80 offset0:6 offset1:7
	v_add_u32_e32 v89, 0x4200, v45
	v_dot4c_i32_i8_e32 v81, v87, v2
	v_add_u32_e32 v89, s3, v89
	v_dot4c_i32_i8_e32 v81, v88, v3
	s_waitcnt lgkmcnt(0)
	v_ashrrev_i32_e32 v82, s2, v82
	v_and_b32_e32 v82, 0x3030303, v82
	v_dot4c_i32_i8_e32 v81, v82, v4
	ds_read_u16 v82, v89
	v_ashrrev_i32_e32 v83, s2, v83
	v_and_b32_e32 v83, 0x3030303, v83
	v_dot4c_i32_i8_e32 v91, v84, v7
	v_dot4c_i32_i8_e32 v91, v85, v8
	;; [unrolled: 1-line block ×3, first 2 shown]
	s_waitcnt lgkmcnt(0)
	v_bfe_u32 v83, v82, 4, 4
	v_dot4c_i32_i8_e32 v91, v86, v9
	v_mul_lo_u32 v83, v83, s23
	v_mov_b32_e32 v86, 0
	v_dot4c_i32_i8_e32 v86, v83, v6
	v_dot4c_i32_i8_e32 v86, v83, v7
	;; [unrolled: 1-line block ×4, first 2 shown]
	v_lshrrev_b32_sdwa v83, v77, v82 dst_sel:DWORD dst_unused:UNUSED_PAD src0_sel:DWORD src1_sel:BYTE_1
	v_mul_lo_u32 v83, v83, s23
	v_dot4c_i32_i8_e32 v86, v83, v2
	v_dot4c_i32_i8_e32 v86, v83, v3
	;; [unrolled: 1-line block ×4, first 2 shown]
	v_and_b32_e32 v83, 15, v82
	v_and_b32_sdwa v82, v82, v78 dst_sel:DWORD dst_unused:UNUSED_PAD src0_sel:BYTE_1 src1_sel:DWORD
	v_and_b32_e32 v84, 0xffff, v82
	v_and_b32_e32 v82, 0xffff, v83
	v_mul_lo_u32 v82, v91, v82
	v_mad_u64_u32 v[82:83], s[26:27], v81, v84, v[82:83]
	v_cvt_f32_f16_e32 v84, v90
	v_cvt_f32_f16_sdwa v85, v90 dst_sel:DWORD dst_unused:UNUSED_PAD src0_sel:WORD_1
	v_cvt_f32_i32_e32 v82, v82
	v_cvt_f32_i32_e32 v83, v86
	v_add_u32_e32 v81, 0x1080, v80
	v_mov_b32_e32 v93, 0
	v_add_u32_e32 v91, 0x4600, v47
	v_pk_mul_f32 v[82:83], v[84:85], v[82:83]
	ds_read2_b32 v[84:85], v81 offset1:1
	v_add_u32_e32 v91, s3, v91
	v_add_u32_e32 v79, 32, v79
	;; [unrolled: 1-line block ×3, first 2 shown]
	s_waitcnt lgkmcnt(0)
	v_ashrrev_i32_e32 v81, s2, v84
	v_ashrrev_i32_e32 v84, s2, v85
	v_and_b32_e32 v86, 0x3030303, v84
	v_add_u32_e32 v84, 0x1088, v80
	ds_read2_b32 v[84:85], v84 offset1:1
	v_and_b32_e32 v81, 0x3030303, v81
	v_dot4c_i32_i8_e32 v93, v81, v6
	v_mov_b32_e32 v81, 0
	v_dot4c_i32_i8_e32 v93, v86, v7
	s_waitcnt lgkmcnt(0)
	v_ashrrev_i32_e32 v84, s2, v84
	v_and_b32_e32 v87, 0x3030303, v84
	v_ashrrev_i32_e32 v84, s2, v85
	v_and_b32_e32 v88, 0x3030303, v84
	v_add_u32_e32 v84, 0x1090, v80
	ds_read2_b32 v[84:85], v84 offset1:1
	v_mov_b32_e32 v86, 0
	v_dot4c_i32_i8_e32 v93, v87, v8
	v_dot4c_i32_i8_e32 v93, v88, v9
	s_waitcnt lgkmcnt(0)
	v_ashrrev_i32_e32 v84, s2, v84
	v_and_b32_e32 v89, 0x3030303, v84
	v_ashrrev_i32_e32 v84, s2, v85
	v_and_b32_e32 v90, 0x3030303, v84
	v_add_u32_e32 v84, 0x1098, v80
	ds_read2_b32 v[84:85], v84 offset1:1
	v_dot4c_i32_i8_e32 v81, v89, v2
	v_dot4c_i32_i8_e32 v81, v90, v3
	v_add3_u32 v90, s16, v69, v73
	v_add_u32_e32 v89, 0x4a00, v49
	s_waitcnt lgkmcnt(0)
	v_ashrrev_i32_e32 v84, s2, v84
	v_and_b32_e32 v84, 0x3030303, v84
	v_dot4c_i32_i8_e32 v81, v84, v4
	ds_read_u16 v84, v91
	v_ashrrev_i32_e32 v85, s2, v85
	v_and_b32_e32 v85, 0x3030303, v85
	v_dot4c_i32_i8_e32 v81, v85, v5
	ds_read_b32 v90, v90
	s_waitcnt lgkmcnt(1)
	v_bfe_u32 v85, v84, 4, 4
	v_mul_lo_u32 v85, v85, s23
	v_dot4c_i32_i8_e32 v86, v85, v6
	v_dot4c_i32_i8_e32 v86, v85, v7
	;; [unrolled: 1-line block ×4, first 2 shown]
	v_lshrrev_b32_sdwa v85, v77, v84 dst_sel:DWORD dst_unused:UNUSED_PAD src0_sel:DWORD src1_sel:BYTE_1
	v_mul_lo_u32 v85, v85, s23
	v_dot4c_i32_i8_e32 v86, v85, v2
	v_dot4c_i32_i8_e32 v86, v85, v3
	;; [unrolled: 1-line block ×4, first 2 shown]
	v_and_b32_e32 v85, 15, v84
	v_and_b32_sdwa v84, v84, v78 dst_sel:DWORD dst_unused:UNUSED_PAD src0_sel:BYTE_1 src1_sel:DWORD
	v_and_b32_e32 v87, 0xffff, v84
	v_and_b32_e32 v84, 0xffff, v85
	v_mul_lo_u32 v84, v93, v84
	v_mad_u64_u32 v[84:85], s[26:27], v81, v87, v[84:85]
	v_cvt_f32_f16_e32 v81, v92
	v_cvt_f32_i32_e32 v84, v84
	v_cvt_f32_f16_sdwa v87, v92 dst_sel:DWORD dst_unused:UNUSED_PAD src0_sel:WORD_1
	v_mov_b32_e32 v91, 0
	v_add_u32_e32 v89, s3, v89
	v_mul_f32_e32 v85, v81, v84
	v_cvt_f32_i32_e32 v81, v86
	v_mov_b32_e32 v84, v82
	v_mov_b32_e32 v86, v83
	;; [unrolled: 1-line block ×3, first 2 shown]
	v_mul_f32_e32 v87, v87, v81
	v_pk_add_f32 v[82:83], v[84:85], v[86:87] neg_lo:[0,1] neg_hi:[0,1]
	v_add_u32_e32 v81, 0x2100, v80
	v_pk_fma_f32 v[28:29], v[72:73], v[82:83], v[28:29] op_sel_hi:[0,1,1]
	ds_read2_b32 v[82:83], v81 offset1:1
	s_waitcnt lgkmcnt(0)
	v_ashrrev_i32_e32 v81, s2, v82
	v_ashrrev_i32_e32 v82, s2, v83
	v_and_b32_e32 v84, 0x3030303, v82
	v_add_u32_e32 v82, 0x2108, v80
	ds_read2_b32 v[82:83], v82 offset1:1
	v_and_b32_e32 v81, 0x3030303, v81
	v_dot4c_i32_i8_e32 v91, v81, v6
	v_mov_b32_e32 v81, 0
	v_dot4c_i32_i8_e32 v91, v84, v7
	s_waitcnt lgkmcnt(0)
	v_ashrrev_i32_e32 v82, s2, v82
	v_and_b32_e32 v85, 0x3030303, v82
	v_ashrrev_i32_e32 v82, s2, v83
	v_and_b32_e32 v86, 0x3030303, v82
	v_add_u32_e32 v82, 0x2110, v80
	ds_read2_b32 v[82:83], v82 offset1:1
	v_dot4c_i32_i8_e32 v91, v85, v8
	v_dot4c_i32_i8_e32 v91, v86, v9
	v_mov_b32_e32 v86, 0
	v_cvt_f32_f16_sdwa v85, v90 dst_sel:DWORD dst_unused:UNUSED_PAD src0_sel:WORD_1
	s_waitcnt lgkmcnt(0)
	v_ashrrev_i32_e32 v82, s2, v82
	v_and_b32_e32 v87, 0x3030303, v82
	v_ashrrev_i32_e32 v82, s2, v83
	v_and_b32_e32 v88, 0x3030303, v82
	v_add_u32_e32 v82, 0x2118, v80
	ds_read2_b32 v[82:83], v82 offset1:1
	v_dot4c_i32_i8_e32 v81, v87, v2
	v_dot4c_i32_i8_e32 v81, v88, v3
	s_waitcnt lgkmcnt(0)
	v_ashrrev_i32_e32 v82, s2, v82
	v_and_b32_e32 v82, 0x3030303, v82
	v_dot4c_i32_i8_e32 v81, v82, v4
	ds_read_u16 v82, v89
	v_ashrrev_i32_e32 v83, s2, v83
	v_and_b32_e32 v83, 0x3030303, v83
	v_dot4c_i32_i8_e32 v81, v83, v5
	s_waitcnt lgkmcnt(0)
	v_bfe_u32 v83, v82, 4, 4
	v_mul_lo_u32 v83, v83, s23
	v_dot4c_i32_i8_e32 v86, v83, v6
	v_dot4c_i32_i8_e32 v86, v83, v7
	;; [unrolled: 1-line block ×4, first 2 shown]
	v_lshrrev_b32_sdwa v83, v77, v82 dst_sel:DWORD dst_unused:UNUSED_PAD src0_sel:DWORD src1_sel:BYTE_1
	v_mul_lo_u32 v83, v83, s23
	v_dot4c_i32_i8_e32 v86, v83, v2
	v_dot4c_i32_i8_e32 v86, v83, v3
	;; [unrolled: 1-line block ×4, first 2 shown]
	v_and_b32_e32 v83, 15, v82
	v_and_b32_sdwa v82, v82, v78 dst_sel:DWORD dst_unused:UNUSED_PAD src0_sel:BYTE_1 src1_sel:DWORD
	v_and_b32_e32 v84, 0xffff, v82
	v_and_b32_e32 v82, 0xffff, v83
	v_mul_lo_u32 v82, v91, v82
	v_mad_u64_u32 v[82:83], s[26:27], v81, v84, v[82:83]
	v_cvt_f32_f16_e32 v84, v90
	v_cvt_f32_i32_e32 v82, v82
	v_cvt_f32_i32_e32 v83, v86
	v_add_u32_e32 v81, 0x3180, v80
	v_add3_u32 v91, s16, v74, v75
	v_add_u32_e32 v90, 0x4e00, v51
	v_pk_mul_f32 v[82:83], v[84:85], v[82:83]
	ds_read2_b32 v[84:85], v81 offset1:1
	ds_read_b32 v91, v91
	v_add_u32_e32 v90, s3, v90
	s_add_i32 s3, s2, 2
	s_cmp_lt_u32 s2, 6
	s_waitcnt lgkmcnt(1)
	v_ashrrev_i32_e32 v81, s2, v84
	v_and_b32_e32 v86, 0x3030303, v81
	v_ashrrev_i32_e32 v81, s2, v85
	v_and_b32_e32 v87, 0x3030303, v81
	v_add_u32_e32 v81, 0x3188, v80
	ds_read2_b32 v[84:85], v81 offset1:1
	v_dot4c_i32_i8_e32 v92, v86, v6
	v_mov_b32_e32 v86, 0
	v_dot4c_i32_i8_e32 v92, v87, v7
	s_waitcnt lgkmcnt(0)
	v_ashrrev_i32_e32 v81, s2, v84
	v_and_b32_e32 v88, 0x3030303, v81
	v_ashrrev_i32_e32 v81, s2, v85
	v_and_b32_e32 v89, 0x3030303, v81
	v_add_u32_e32 v81, 0x3190, v80
	ds_read2_b32 v[84:85], v81 offset1:1
	v_add_u32_e32 v80, 0x3198, v80
	v_dot4c_i32_i8_e32 v92, v88, v8
	v_dot4c_i32_i8_e32 v92, v89, v9
	s_waitcnt lgkmcnt(0)
	v_ashrrev_i32_e32 v81, s2, v84
	v_and_b32_e32 v84, 0x3030303, v81
	v_ashrrev_i32_e32 v81, s2, v85
	v_and_b32_e32 v85, 0x3030303, v81
	ds_read2_b32 v[80:81], v80 offset1:1
	v_dot4c_i32_i8_e32 v86, v84, v2
	v_dot4c_i32_i8_e32 v86, v85, v3
	v_mov_b32_e32 v84, 0
	s_waitcnt lgkmcnt(0)
	v_ashrrev_i32_e32 v80, s2, v80
	v_and_b32_e32 v80, 0x3030303, v80
	v_dot4c_i32_i8_e32 v86, v80, v4
	ds_read_u16 v80, v90
	v_ashrrev_i32_e32 v81, s2, v81
	v_and_b32_e32 v81, 0x3030303, v81
	v_dot4c_i32_i8_e32 v86, v81, v5
	s_mov_b32 s2, s3
	s_waitcnt lgkmcnt(0)
	v_bfe_u32 v81, v80, 4, 4
	v_mul_lo_u32 v81, v81, s23
	v_dot4c_i32_i8_e32 v84, v81, v6
	v_dot4c_i32_i8_e32 v84, v81, v7
	;; [unrolled: 1-line block ×3, first 2 shown]
	v_lshrrev_b32_sdwa v6, v77, v80 dst_sel:DWORD dst_unused:UNUSED_PAD src0_sel:DWORD src1_sel:BYTE_1
	v_dot4c_i32_i8_e32 v84, v81, v9
	v_mul_lo_u32 v6, v6, s23
	v_dot4c_i32_i8_e32 v84, v6, v2
	v_and_b32_e32 v2, 15, v80
	v_dot4c_i32_i8_e32 v84, v6, v3
	v_and_b32_sdwa v3, v80, v78 dst_sel:DWORD dst_unused:UNUSED_PAD src0_sel:BYTE_1 src1_sel:DWORD
	v_and_b32_e32 v2, 0xffff, v2
	v_dot4c_i32_i8_e32 v84, v6, v4
	v_and_b32_e32 v3, 0xffff, v3
	v_mul_lo_u32 v2, v92, v2
	v_dot4c_i32_i8_e32 v84, v6, v5
	v_mad_u64_u32 v[2:3], s[16:17], v86, v3, v[2:3]
	v_cvt_f32_f16_e32 v4, v91
	v_cvt_f32_f16_sdwa v5, v91 dst_sel:DWORD dst_unused:UNUSED_PAD src0_sel:WORD_1
	v_cvt_f32_i32_e32 v2, v2
	v_cvt_f32_i32_e32 v3, v84
	v_pk_mul_f32 v[2:3], v[4:5], v[2:3]
	v_mov_b32_e32 v4, v82
	v_mov_b32_e32 v5, v2
	;; [unrolled: 1-line block ×3, first 2 shown]
	v_pk_add_f32 v[2:3], v[4:5], v[2:3] neg_lo:[0,1] neg_hi:[0,1]
	s_nop 0
	v_pk_fma_f32 v[26:27], v[72:73], v[2:3], v[26:27] op_sel_hi:[0,1,1]
	s_cbranch_scc1 .LBB187_11
; %bb.12:                               ;   in Loop: Header=BB187_5 Depth=1
	s_or_b32 s2, s24, 0x80
	s_cmp_ge_i32 s2, s15
	s_barrier
	s_cbranch_scc1 .LBB187_4
; %bb.13:                               ;   in Loop: Header=BB187_5 Depth=1
	v_add_u32_e32 v2, s25, v39
	v_cmp_gt_i32_e64 s[2:3], s5, v2
	s_and_b64 s[16:17], s[0:1], s[2:3]
	s_and_saveexec_b64 s[2:3], s[16:17]
	s_cbranch_execz .LBB187_15
; %bb.14:                               ;   in Loop: Header=BB187_5 Depth=1
	v_add_u32_e32 v2, v30, v2
	v_mad_i64_i32 v[2:3], s[16:17], v2, 36, v[32:33]
	global_load_dword v2, v[2:3], off offset:4
	s_waitcnt vmcnt(0)
	ds_write_b32 v25, v2
.LBB187_15:                             ;   in Loop: Header=BB187_5 Depth=1
	s_or_b64 exec, exec, s[2:3]
	s_and_saveexec_b64 s[16:17], vcc
	s_cbranch_execz .LBB187_18
; %bb.16:                               ;   in Loop: Header=BB187_5 Depth=1
	v_or_b32_e32 v2, 4, v70
	v_cmp_gt_i32_e64 s[2:3], s5, v2
	s_and_b64 s[2:3], s[0:1], s[2:3]
	s_and_b64 exec, exec, s[2:3]
	s_cbranch_execz .LBB187_18
; %bb.17:                               ;   in Loop: Header=BB187_5 Depth=1
	v_ashrrev_i32_e32 v71, 31, v70
	v_lshl_add_u64 v[2:3], v[30:31], 0, v[70:71]
	v_mad_u64_u32 v[4:5], s[2:3], v2, 36, s[10:11]
	v_mad_i32_i24 v5, v3, 36, v5
	global_load_dword v2, v[4:5], off offset:144
	s_waitcnt vmcnt(0)
	v_cvt_f32_f16_e32 v2, v2
	ds_write_b32 v37, v2
.LBB187_18:                             ;   in Loop: Header=BB187_5 Depth=1
	s_or_b64 exec, exec, s[16:17]
	s_mov_b32 s2, 8
	v_mov_b32_e32 v71, v23
	v_mov_b32_e32 v79, v35
	s_waitcnt lgkmcnt(0)
	s_barrier
.LBB187_19:                             ;   Parent Loop BB187_5 Depth=1
                                        ; =>  This Inner Loop Header: Depth=2
	s_and_b32 s17, s2, 0x3ffffff8
	v_lshl_add_u32 v80, s17, 2, v53
	ds_read_b32 v72, v79
	ds_read_b128 v[6:9], v71
	ds_read_b128 v[2:5], v71 offset:16
	ds_read2_b32 v[82:83], v80 offset1:1
	s_lshr_b32 s17, s2, 2
	s_and_b32 s17, s17, 0x3ffffffc
	s_addk_i32 s17, 0x5280
	s_add_i32 s3, s2, -8
	v_add3_u32 v90, s17, v76, v63
	ds_read_b32 v90, v90
	s_waitcnt lgkmcnt(1)
	v_ashrrev_i32_e32 v81, s3, v82
	v_ashrrev_i32_e32 v82, s3, v83
	v_and_b32_e32 v84, 0x3030303, v82
	ds_read2_b32 v[82:83], v80 offset0:2 offset1:3
	v_add3_u32 v92, s17, v65, v67
	ds_read_b32 v92, v92
	v_and_b32_e32 v81, 0x3030303, v81
	v_mov_b32_e32 v91, 0
	s_waitcnt lgkmcnt(1)
	v_ashrrev_i32_e32 v82, s3, v82
	v_and_b32_e32 v85, 0x3030303, v82
	v_ashrrev_i32_e32 v82, s3, v83
	v_and_b32_e32 v86, 0x3030303, v82
	ds_read2_b32 v[82:83], v80 offset0:4 offset1:5
	s_and_b32 s16, s2, -16
	v_dot4c_i32_i8_e32 v91, v81, v6
	v_mov_b32_e32 v81, 0
	s_add_i32 s16, s2, s16
	s_waitcnt lgkmcnt(0)
	v_ashrrev_i32_e32 v82, s3, v82
	v_and_b32_e32 v87, 0x3030303, v82
	v_ashrrev_i32_e32 v82, s3, v83
	v_and_b32_e32 v88, 0x3030303, v82
	ds_read2_b32 v[82:83], v80 offset0:6 offset1:7
	v_dot4c_i32_i8_e32 v81, v87, v2
	v_add_u32_e32 v89, s16, v45
	v_dot4c_i32_i8_e32 v81, v88, v3
	v_dot4c_i32_i8_e32 v91, v84, v7
	s_waitcnt lgkmcnt(0)
	v_ashrrev_i32_e32 v82, s3, v82
	v_and_b32_e32 v82, 0x3030303, v82
	v_dot4c_i32_i8_e32 v81, v82, v4
	ds_read_u16 v82, v89 offset:16896
	v_ashrrev_i32_e32 v83, s3, v83
	v_and_b32_e32 v83, 0x3030303, v83
	v_dot4c_i32_i8_e32 v91, v85, v8
	v_dot4c_i32_i8_e32 v81, v83, v5
	s_waitcnt lgkmcnt(0)
	v_bfe_u32 v83, v82, 4, 4
	v_dot4c_i32_i8_e32 v91, v86, v9
	v_mul_lo_u32 v83, v83, s23
	v_mov_b32_e32 v86, 0
	v_dot4c_i32_i8_e32 v86, v83, v6
	v_dot4c_i32_i8_e32 v86, v83, v7
	;; [unrolled: 1-line block ×4, first 2 shown]
	v_lshrrev_b32_sdwa v83, v77, v82 dst_sel:DWORD dst_unused:UNUSED_PAD src0_sel:DWORD src1_sel:BYTE_1
	v_mul_lo_u32 v83, v83, s23
	v_dot4c_i32_i8_e32 v86, v83, v2
	v_dot4c_i32_i8_e32 v86, v83, v3
	;; [unrolled: 1-line block ×4, first 2 shown]
	v_and_b32_e32 v83, 15, v82
	v_and_b32_sdwa v82, v82, v78 dst_sel:DWORD dst_unused:UNUSED_PAD src0_sel:BYTE_1 src1_sel:DWORD
	v_and_b32_e32 v84, 0xffff, v82
	v_and_b32_e32 v82, 0xffff, v83
	v_mul_lo_u32 v82, v91, v82
	v_mad_u64_u32 v[82:83], s[26:27], v81, v84, v[82:83]
	v_cvt_f32_f16_e32 v84, v90
	v_cvt_f32_f16_sdwa v85, v90 dst_sel:DWORD dst_unused:UNUSED_PAD src0_sel:WORD_1
	v_cvt_f32_i32_e32 v82, v82
	v_cvt_f32_i32_e32 v83, v86
	v_add_u32_e32 v81, 0x1080, v80
	v_mov_b32_e32 v93, 0
	v_add_u32_e32 v91, s16, v47
	v_pk_mul_f32 v[82:83], v[84:85], v[82:83]
	ds_read2_b32 v[84:85], v81 offset1:1
	v_add_u32_e32 v79, 4, v79
	v_add_u32_e32 v71, 32, v71
	s_waitcnt lgkmcnt(0)
	v_ashrrev_i32_e32 v81, s3, v84
	v_ashrrev_i32_e32 v84, s3, v85
	v_and_b32_e32 v86, 0x3030303, v84
	v_add_u32_e32 v84, 0x1088, v80
	ds_read2_b32 v[84:85], v84 offset1:1
	v_and_b32_e32 v81, 0x3030303, v81
	v_dot4c_i32_i8_e32 v93, v81, v6
	v_mov_b32_e32 v81, 0
	v_dot4c_i32_i8_e32 v93, v86, v7
	s_waitcnt lgkmcnt(0)
	v_ashrrev_i32_e32 v84, s3, v84
	v_and_b32_e32 v87, 0x3030303, v84
	v_ashrrev_i32_e32 v84, s3, v85
	v_and_b32_e32 v88, 0x3030303, v84
	v_add_u32_e32 v84, 0x1090, v80
	ds_read2_b32 v[84:85], v84 offset1:1
	v_mov_b32_e32 v86, 0
	v_dot4c_i32_i8_e32 v93, v87, v8
	v_dot4c_i32_i8_e32 v93, v88, v9
	s_waitcnt lgkmcnt(0)
	v_ashrrev_i32_e32 v84, s3, v84
	v_and_b32_e32 v89, 0x3030303, v84
	v_ashrrev_i32_e32 v84, s3, v85
	v_and_b32_e32 v90, 0x3030303, v84
	v_add_u32_e32 v84, 0x1098, v80
	ds_read2_b32 v[84:85], v84 offset1:1
	v_dot4c_i32_i8_e32 v81, v89, v2
	v_dot4c_i32_i8_e32 v81, v90, v3
	v_add3_u32 v90, s17, v69, v73
	v_add_u32_e32 v89, s16, v49
	s_waitcnt lgkmcnt(0)
	v_ashrrev_i32_e32 v84, s3, v84
	v_and_b32_e32 v84, 0x3030303, v84
	v_dot4c_i32_i8_e32 v81, v84, v4
	ds_read_u16 v84, v91 offset:17920
	v_ashrrev_i32_e32 v85, s3, v85
	v_and_b32_e32 v85, 0x3030303, v85
	v_dot4c_i32_i8_e32 v81, v85, v5
	ds_read_b32 v90, v90
	s_waitcnt lgkmcnt(1)
	v_bfe_u32 v85, v84, 4, 4
	v_mul_lo_u32 v85, v85, s23
	v_dot4c_i32_i8_e32 v86, v85, v6
	v_dot4c_i32_i8_e32 v86, v85, v7
	;; [unrolled: 1-line block ×4, first 2 shown]
	v_lshrrev_b32_sdwa v85, v77, v84 dst_sel:DWORD dst_unused:UNUSED_PAD src0_sel:DWORD src1_sel:BYTE_1
	v_mul_lo_u32 v85, v85, s23
	v_dot4c_i32_i8_e32 v86, v85, v2
	v_dot4c_i32_i8_e32 v86, v85, v3
	;; [unrolled: 1-line block ×4, first 2 shown]
	v_and_b32_e32 v85, 15, v84
	v_and_b32_sdwa v84, v84, v78 dst_sel:DWORD dst_unused:UNUSED_PAD src0_sel:BYTE_1 src1_sel:DWORD
	v_and_b32_e32 v87, 0xffff, v84
	v_and_b32_e32 v84, 0xffff, v85
	v_mul_lo_u32 v84, v93, v84
	v_mad_u64_u32 v[84:85], s[26:27], v81, v87, v[84:85]
	v_cvt_f32_f16_e32 v81, v92
	v_cvt_f32_i32_e32 v84, v84
	v_cvt_f32_f16_sdwa v87, v92 dst_sel:DWORD dst_unused:UNUSED_PAD src0_sel:WORD_1
	v_mov_b32_e32 v91, 0
	v_mov_b32_e32 v92, 0
	v_mul_f32_e32 v85, v81, v84
	v_cvt_f32_i32_e32 v81, v86
	v_mov_b32_e32 v84, v82
	v_mov_b32_e32 v86, v83
	v_mul_f32_e32 v87, v87, v81
	v_pk_add_f32 v[82:83], v[84:85], v[86:87] neg_lo:[0,1] neg_hi:[0,1]
	v_add_u32_e32 v81, 0x2100, v80
	v_pk_fma_f32 v[28:29], v[72:73], v[82:83], v[28:29] op_sel_hi:[0,1,1]
	ds_read2_b32 v[82:83], v81 offset1:1
	s_waitcnt lgkmcnt(0)
	v_ashrrev_i32_e32 v81, s3, v82
	v_ashrrev_i32_e32 v82, s3, v83
	v_and_b32_e32 v84, 0x3030303, v82
	v_add_u32_e32 v82, 0x2108, v80
	ds_read2_b32 v[82:83], v82 offset1:1
	v_and_b32_e32 v81, 0x3030303, v81
	v_dot4c_i32_i8_e32 v91, v81, v6
	v_mov_b32_e32 v81, 0
	v_dot4c_i32_i8_e32 v91, v84, v7
	s_waitcnt lgkmcnt(0)
	v_ashrrev_i32_e32 v82, s3, v82
	v_and_b32_e32 v85, 0x3030303, v82
	v_ashrrev_i32_e32 v82, s3, v83
	v_and_b32_e32 v86, 0x3030303, v82
	v_add_u32_e32 v82, 0x2110, v80
	ds_read2_b32 v[82:83], v82 offset1:1
	v_dot4c_i32_i8_e32 v91, v85, v8
	v_dot4c_i32_i8_e32 v91, v86, v9
	v_mov_b32_e32 v86, 0
	v_cvt_f32_f16_sdwa v85, v90 dst_sel:DWORD dst_unused:UNUSED_PAD src0_sel:WORD_1
	s_waitcnt lgkmcnt(0)
	v_ashrrev_i32_e32 v82, s3, v82
	v_and_b32_e32 v87, 0x3030303, v82
	v_ashrrev_i32_e32 v82, s3, v83
	v_and_b32_e32 v88, 0x3030303, v82
	v_add_u32_e32 v82, 0x2118, v80
	ds_read2_b32 v[82:83], v82 offset1:1
	v_dot4c_i32_i8_e32 v81, v87, v2
	v_dot4c_i32_i8_e32 v81, v88, v3
	s_waitcnt lgkmcnt(0)
	v_ashrrev_i32_e32 v82, s3, v82
	v_and_b32_e32 v82, 0x3030303, v82
	v_dot4c_i32_i8_e32 v81, v82, v4
	ds_read_u16 v82, v89 offset:18944
	v_ashrrev_i32_e32 v83, s3, v83
	v_and_b32_e32 v83, 0x3030303, v83
	v_dot4c_i32_i8_e32 v81, v83, v5
	s_waitcnt lgkmcnt(0)
	v_bfe_u32 v83, v82, 4, 4
	v_mul_lo_u32 v83, v83, s23
	v_dot4c_i32_i8_e32 v86, v83, v6
	v_dot4c_i32_i8_e32 v86, v83, v7
	;; [unrolled: 1-line block ×4, first 2 shown]
	v_lshrrev_b32_sdwa v83, v77, v82 dst_sel:DWORD dst_unused:UNUSED_PAD src0_sel:DWORD src1_sel:BYTE_1
	v_mul_lo_u32 v83, v83, s23
	v_dot4c_i32_i8_e32 v86, v83, v2
	v_dot4c_i32_i8_e32 v86, v83, v3
	;; [unrolled: 1-line block ×4, first 2 shown]
	v_and_b32_e32 v83, 15, v82
	v_and_b32_sdwa v82, v82, v78 dst_sel:DWORD dst_unused:UNUSED_PAD src0_sel:BYTE_1 src1_sel:DWORD
	v_and_b32_e32 v84, 0xffff, v82
	v_and_b32_e32 v82, 0xffff, v83
	v_mul_lo_u32 v82, v91, v82
	v_mad_u64_u32 v[82:83], s[26:27], v81, v84, v[82:83]
	v_cvt_f32_f16_e32 v84, v90
	v_cvt_f32_i32_e32 v82, v82
	v_cvt_f32_i32_e32 v83, v86
	v_add_u32_e32 v81, 0x3180, v80
	v_add3_u32 v91, s17, v74, v75
	ds_read_b32 v91, v91
	v_pk_mul_f32 v[82:83], v[84:85], v[82:83]
	ds_read2_b32 v[84:85], v81 offset1:1
	v_add_u32_e32 v90, s16, v51
	s_waitcnt lgkmcnt(0)
	v_ashrrev_i32_e32 v81, s3, v84
	v_and_b32_e32 v86, 0x3030303, v81
	v_ashrrev_i32_e32 v81, s3, v85
	v_and_b32_e32 v87, 0x3030303, v81
	v_add_u32_e32 v81, 0x3188, v80
	ds_read2_b32 v[84:85], v81 offset1:1
	v_dot4c_i32_i8_e32 v92, v86, v6
	v_mov_b32_e32 v86, 0
	v_dot4c_i32_i8_e32 v92, v87, v7
	s_waitcnt lgkmcnt(0)
	v_ashrrev_i32_e32 v81, s3, v84
	v_and_b32_e32 v88, 0x3030303, v81
	v_ashrrev_i32_e32 v81, s3, v85
	v_and_b32_e32 v89, 0x3030303, v81
	v_add_u32_e32 v81, 0x3190, v80
	ds_read2_b32 v[84:85], v81 offset1:1
	v_add_u32_e32 v80, 0x3198, v80
	v_dot4c_i32_i8_e32 v92, v88, v8
	v_dot4c_i32_i8_e32 v92, v89, v9
	s_waitcnt lgkmcnt(0)
	v_ashrrev_i32_e32 v81, s3, v84
	v_and_b32_e32 v84, 0x3030303, v81
	v_ashrrev_i32_e32 v81, s3, v85
	v_and_b32_e32 v85, 0x3030303, v81
	ds_read2_b32 v[80:81], v80 offset1:1
	v_dot4c_i32_i8_e32 v86, v84, v2
	v_dot4c_i32_i8_e32 v86, v85, v3
	v_mov_b32_e32 v84, 0
	s_waitcnt lgkmcnt(0)
	v_ashrrev_i32_e32 v80, s3, v80
	v_and_b32_e32 v80, 0x3030303, v80
	v_dot4c_i32_i8_e32 v86, v80, v4
	ds_read_u16 v80, v90 offset:19968
	v_ashrrev_i32_e32 v81, s3, v81
	v_and_b32_e32 v81, 0x3030303, v81
	v_dot4c_i32_i8_e32 v86, v81, v5
	s_add_i32 s3, s2, 2
	s_waitcnt lgkmcnt(0)
	v_bfe_u32 v81, v80, 4, 4
	v_mul_lo_u32 v81, v81, s23
	v_dot4c_i32_i8_e32 v84, v81, v6
	v_dot4c_i32_i8_e32 v84, v81, v7
	;; [unrolled: 1-line block ×3, first 2 shown]
	v_lshrrev_b32_sdwa v6, v77, v80 dst_sel:DWORD dst_unused:UNUSED_PAD src0_sel:DWORD src1_sel:BYTE_1
	v_dot4c_i32_i8_e32 v84, v81, v9
	v_mul_lo_u32 v6, v6, s23
	v_dot4c_i32_i8_e32 v84, v6, v2
	v_and_b32_e32 v2, 15, v80
	v_dot4c_i32_i8_e32 v84, v6, v3
	v_and_b32_sdwa v3, v80, v78 dst_sel:DWORD dst_unused:UNUSED_PAD src0_sel:BYTE_1 src1_sel:DWORD
	v_and_b32_e32 v2, 0xffff, v2
	v_dot4c_i32_i8_e32 v84, v6, v4
	v_and_b32_e32 v3, 0xffff, v3
	v_mul_lo_u32 v2, v92, v2
	v_dot4c_i32_i8_e32 v84, v6, v5
	v_mad_u64_u32 v[2:3], s[16:17], v86, v3, v[2:3]
	v_cvt_f32_f16_e32 v4, v91
	v_cvt_f32_f16_sdwa v5, v91 dst_sel:DWORD dst_unused:UNUSED_PAD src0_sel:WORD_1
	v_cvt_f32_i32_e32 v2, v2
	v_cvt_f32_i32_e32 v3, v84
	s_cmp_lt_u32 s2, 14
	s_mov_b32 s2, s3
	v_pk_mul_f32 v[2:3], v[4:5], v[2:3]
	v_mov_b32_e32 v4, v82
	v_mov_b32_e32 v5, v2
	;; [unrolled: 1-line block ×3, first 2 shown]
	v_pk_add_f32 v[2:3], v[4:5], v[2:3] neg_lo:[0,1] neg_hi:[0,1]
	s_nop 0
	v_pk_fma_f32 v[26:27], v[72:73], v[2:3], v[26:27] op_sel_hi:[0,1,1]
	s_cbranch_scc1 .LBB187_19
; %bb.20:                               ;   in Loop: Header=BB187_5 Depth=1
	s_or_b32 s2, s24, 0x100
	s_cmp_ge_i32 s2, s15
	s_barrier
	s_cbranch_scc1 .LBB187_4
; %bb.21:                               ;   in Loop: Header=BB187_5 Depth=1
	v_add_u32_e32 v2, s25, v41
	v_cmp_gt_i32_e64 s[2:3], s5, v2
	s_and_b64 s[16:17], s[0:1], s[2:3]
	s_and_saveexec_b64 s[2:3], s[16:17]
	s_cbranch_execz .LBB187_23
; %bb.22:                               ;   in Loop: Header=BB187_5 Depth=1
	v_add_u32_e32 v2, v30, v2
	v_mad_i64_i32 v[2:3], s[16:17], v2, 36, v[32:33]
	global_load_dword v2, v[2:3], off offset:4
	s_waitcnt vmcnt(0)
	ds_write_b32 v25, v2
.LBB187_23:                             ;   in Loop: Header=BB187_5 Depth=1
	s_or_b64 exec, exec, s[2:3]
	s_and_saveexec_b64 s[16:17], vcc
	s_cbranch_execz .LBB187_26
; %bb.24:                               ;   in Loop: Header=BB187_5 Depth=1
	v_or_b32_e32 v2, 8, v70
	v_cmp_gt_i32_e64 s[2:3], s5, v2
	s_and_b64 s[2:3], s[0:1], s[2:3]
	s_and_b64 exec, exec, s[2:3]
	s_cbranch_execz .LBB187_26
; %bb.25:                               ;   in Loop: Header=BB187_5 Depth=1
	v_ashrrev_i32_e32 v71, 31, v70
	v_lshl_add_u64 v[2:3], v[30:31], 0, v[70:71]
	v_mad_u64_u32 v[4:5], s[2:3], v2, 36, s[10:11]
	v_mad_i32_i24 v5, v3, 36, v5
	global_load_dword v2, v[4:5], off offset:288
	s_waitcnt vmcnt(0)
	v_cvt_f32_f16_e32 v2, v2
	ds_write_b32 v37, v2
.LBB187_26:                             ;   in Loop: Header=BB187_5 Depth=1
	s_or_b64 exec, exec, s[16:17]
	s_mov_b32 s2, 16
	v_mov_b32_e32 v71, v23
	v_mov_b32_e32 v79, v35
	s_waitcnt lgkmcnt(0)
	s_barrier
.LBB187_27:                             ;   Parent Loop BB187_5 Depth=1
                                        ; =>  This Inner Loop Header: Depth=2
	s_and_b32 s17, s2, 0x3ffffff8
	v_lshl_add_u32 v80, s17, 2, v53
	ds_read_b32 v72, v79
	ds_read_b128 v[6:9], v71
	ds_read_b128 v[2:5], v71 offset:16
	ds_read2_b32 v[82:83], v80 offset1:1
	s_lshr_b32 s17, s2, 2
	s_and_b32 s17, s17, 0x3ffffffc
	s_addk_i32 s17, 0x5280
	s_add_i32 s3, s2, -16
	v_add3_u32 v90, s17, v76, v63
	ds_read_b32 v90, v90
	s_waitcnt lgkmcnt(1)
	v_ashrrev_i32_e32 v81, s3, v82
	v_ashrrev_i32_e32 v82, s3, v83
	v_and_b32_e32 v84, 0x3030303, v82
	ds_read2_b32 v[82:83], v80 offset0:2 offset1:3
	v_add3_u32 v92, s17, v65, v67
	ds_read_b32 v92, v92
	v_and_b32_e32 v81, 0x3030303, v81
	v_mov_b32_e32 v91, 0
	s_waitcnt lgkmcnt(1)
	v_ashrrev_i32_e32 v82, s3, v82
	v_and_b32_e32 v85, 0x3030303, v82
	v_ashrrev_i32_e32 v82, s3, v83
	v_and_b32_e32 v86, 0x3030303, v82
	ds_read2_b32 v[82:83], v80 offset0:4 offset1:5
	s_and_b32 s16, s2, -16
	v_dot4c_i32_i8_e32 v91, v81, v6
	v_mov_b32_e32 v81, 0
	s_add_i32 s16, s2, s16
	s_waitcnt lgkmcnt(0)
	v_ashrrev_i32_e32 v82, s3, v82
	v_and_b32_e32 v87, 0x3030303, v82
	v_ashrrev_i32_e32 v82, s3, v83
	v_and_b32_e32 v88, 0x3030303, v82
	ds_read2_b32 v[82:83], v80 offset0:6 offset1:7
	v_dot4c_i32_i8_e32 v81, v87, v2
	v_add_u32_e32 v89, s16, v45
	v_dot4c_i32_i8_e32 v81, v88, v3
	v_dot4c_i32_i8_e32 v91, v84, v7
	s_waitcnt lgkmcnt(0)
	v_ashrrev_i32_e32 v82, s3, v82
	v_and_b32_e32 v82, 0x3030303, v82
	v_dot4c_i32_i8_e32 v81, v82, v4
	ds_read_u16 v82, v89 offset:16880
	v_ashrrev_i32_e32 v83, s3, v83
	v_and_b32_e32 v83, 0x3030303, v83
	v_dot4c_i32_i8_e32 v91, v85, v8
	v_dot4c_i32_i8_e32 v81, v83, v5
	s_waitcnt lgkmcnt(0)
	v_bfe_u32 v83, v82, 4, 4
	v_dot4c_i32_i8_e32 v91, v86, v9
	v_mul_lo_u32 v83, v83, s23
	v_mov_b32_e32 v86, 0
	v_dot4c_i32_i8_e32 v86, v83, v6
	v_dot4c_i32_i8_e32 v86, v83, v7
	;; [unrolled: 1-line block ×4, first 2 shown]
	v_lshrrev_b32_sdwa v83, v77, v82 dst_sel:DWORD dst_unused:UNUSED_PAD src0_sel:DWORD src1_sel:BYTE_1
	v_mul_lo_u32 v83, v83, s23
	v_dot4c_i32_i8_e32 v86, v83, v2
	v_dot4c_i32_i8_e32 v86, v83, v3
	;; [unrolled: 1-line block ×4, first 2 shown]
	v_and_b32_e32 v83, 15, v82
	v_and_b32_sdwa v82, v82, v78 dst_sel:DWORD dst_unused:UNUSED_PAD src0_sel:BYTE_1 src1_sel:DWORD
	v_and_b32_e32 v84, 0xffff, v82
	v_and_b32_e32 v82, 0xffff, v83
	v_mul_lo_u32 v82, v91, v82
                                        ; kill: def $vgpr83 killed $sgpr0 killed $exec
	v_cvt_f32_f16_sdwa v85, v90 dst_sel:DWORD dst_unused:UNUSED_PAD src0_sel:WORD_1
	v_mad_u64_u32 v[82:83], s[26:27], v81, v84, v[82:83]
	v_cvt_f32_f16_e32 v84, v90
	v_cvt_f32_i32_e32 v82, v82
	v_cvt_f32_i32_e32 v83, v86
	v_add_u32_e32 v81, 0x1080, v80
	v_mov_b32_e32 v93, 0
	v_add_u32_e32 v91, s16, v47
	v_pk_mul_f32 v[82:83], v[84:85], v[82:83]
	ds_read2_b32 v[84:85], v81 offset1:1
	v_add_u32_e32 v79, 4, v79
	v_add_u32_e32 v71, 32, v71
	s_waitcnt lgkmcnt(0)
	v_ashrrev_i32_e32 v81, s3, v84
	v_ashrrev_i32_e32 v84, s3, v85
	v_and_b32_e32 v86, 0x3030303, v84
	v_add_u32_e32 v84, 0x1088, v80
	ds_read2_b32 v[84:85], v84 offset1:1
	v_and_b32_e32 v81, 0x3030303, v81
	v_dot4c_i32_i8_e32 v93, v81, v6
	v_mov_b32_e32 v81, 0
	v_dot4c_i32_i8_e32 v93, v86, v7
	s_waitcnt lgkmcnt(0)
	v_ashrrev_i32_e32 v84, s3, v84
	v_and_b32_e32 v87, 0x3030303, v84
	v_ashrrev_i32_e32 v84, s3, v85
	v_and_b32_e32 v88, 0x3030303, v84
	v_add_u32_e32 v84, 0x1090, v80
	ds_read2_b32 v[84:85], v84 offset1:1
	v_mov_b32_e32 v86, 0
	v_dot4c_i32_i8_e32 v93, v87, v8
	v_dot4c_i32_i8_e32 v93, v88, v9
	s_waitcnt lgkmcnt(0)
	v_ashrrev_i32_e32 v84, s3, v84
	v_and_b32_e32 v89, 0x3030303, v84
	v_ashrrev_i32_e32 v84, s3, v85
	v_and_b32_e32 v90, 0x3030303, v84
	v_add_u32_e32 v84, 0x1098, v80
	ds_read2_b32 v[84:85], v84 offset1:1
	v_dot4c_i32_i8_e32 v81, v89, v2
	v_dot4c_i32_i8_e32 v81, v90, v3
	v_add3_u32 v90, s17, v69, v73
	v_add_u32_e32 v89, s16, v49
	s_waitcnt lgkmcnt(0)
	v_ashrrev_i32_e32 v84, s3, v84
	v_and_b32_e32 v84, 0x3030303, v84
	v_dot4c_i32_i8_e32 v81, v84, v4
	ds_read_u16 v84, v91 offset:17904
	v_ashrrev_i32_e32 v85, s3, v85
	v_and_b32_e32 v85, 0x3030303, v85
	v_dot4c_i32_i8_e32 v81, v85, v5
	ds_read_b32 v90, v90
	s_waitcnt lgkmcnt(1)
	v_bfe_u32 v85, v84, 4, 4
	v_mul_lo_u32 v85, v85, s23
	v_dot4c_i32_i8_e32 v86, v85, v6
	v_dot4c_i32_i8_e32 v86, v85, v7
	;; [unrolled: 1-line block ×4, first 2 shown]
	v_lshrrev_b32_sdwa v85, v77, v84 dst_sel:DWORD dst_unused:UNUSED_PAD src0_sel:DWORD src1_sel:BYTE_1
	v_mul_lo_u32 v85, v85, s23
	v_dot4c_i32_i8_e32 v86, v85, v2
	v_dot4c_i32_i8_e32 v86, v85, v3
	;; [unrolled: 1-line block ×4, first 2 shown]
	v_and_b32_e32 v85, 15, v84
	v_and_b32_sdwa v84, v84, v78 dst_sel:DWORD dst_unused:UNUSED_PAD src0_sel:BYTE_1 src1_sel:DWORD
	v_and_b32_e32 v87, 0xffff, v84
	v_and_b32_e32 v84, 0xffff, v85
	v_mul_lo_u32 v84, v93, v84
                                        ; kill: def $vgpr85 killed $sgpr0 killed $exec
	v_mov_b32_e32 v91, 0
	v_mad_u64_u32 v[84:85], s[26:27], v81, v87, v[84:85]
	v_cvt_f32_f16_e32 v81, v92
	v_cvt_f32_i32_e32 v84, v84
	v_cvt_f32_f16_sdwa v87, v92 dst_sel:DWORD dst_unused:UNUSED_PAD src0_sel:WORD_1
	v_mov_b32_e32 v92, 0
	v_mul_f32_e32 v85, v81, v84
	v_cvt_f32_i32_e32 v81, v86
	v_mov_b32_e32 v84, v82
	v_mov_b32_e32 v86, v83
	v_mul_f32_e32 v87, v87, v81
	v_pk_add_f32 v[82:83], v[84:85], v[86:87] neg_lo:[0,1] neg_hi:[0,1]
	v_add_u32_e32 v81, 0x2100, v80
	v_pk_fma_f32 v[28:29], v[72:73], v[82:83], v[28:29] op_sel_hi:[0,1,1]
	ds_read2_b32 v[82:83], v81 offset1:1
	s_waitcnt lgkmcnt(0)
	v_ashrrev_i32_e32 v81, s3, v82
	v_ashrrev_i32_e32 v82, s3, v83
	v_and_b32_e32 v84, 0x3030303, v82
	v_add_u32_e32 v82, 0x2108, v80
	ds_read2_b32 v[82:83], v82 offset1:1
	v_and_b32_e32 v81, 0x3030303, v81
	v_dot4c_i32_i8_e32 v91, v81, v6
	v_mov_b32_e32 v81, 0
	v_dot4c_i32_i8_e32 v91, v84, v7
	s_waitcnt lgkmcnt(0)
	v_ashrrev_i32_e32 v82, s3, v82
	v_and_b32_e32 v85, 0x3030303, v82
	v_ashrrev_i32_e32 v82, s3, v83
	v_and_b32_e32 v86, 0x3030303, v82
	v_add_u32_e32 v82, 0x2110, v80
	ds_read2_b32 v[82:83], v82 offset1:1
	v_dot4c_i32_i8_e32 v91, v85, v8
	v_dot4c_i32_i8_e32 v91, v86, v9
	v_mov_b32_e32 v86, 0
	v_cvt_f32_f16_sdwa v85, v90 dst_sel:DWORD dst_unused:UNUSED_PAD src0_sel:WORD_1
	s_waitcnt lgkmcnt(0)
	v_ashrrev_i32_e32 v82, s3, v82
	v_and_b32_e32 v87, 0x3030303, v82
	v_ashrrev_i32_e32 v82, s3, v83
	v_and_b32_e32 v88, 0x3030303, v82
	v_add_u32_e32 v82, 0x2118, v80
	ds_read2_b32 v[82:83], v82 offset1:1
	v_dot4c_i32_i8_e32 v81, v87, v2
	v_dot4c_i32_i8_e32 v81, v88, v3
	s_waitcnt lgkmcnt(0)
	v_ashrrev_i32_e32 v82, s3, v82
	v_and_b32_e32 v82, 0x3030303, v82
	v_dot4c_i32_i8_e32 v81, v82, v4
	ds_read_u16 v82, v89 offset:18928
	v_ashrrev_i32_e32 v83, s3, v83
	v_and_b32_e32 v83, 0x3030303, v83
	v_dot4c_i32_i8_e32 v81, v83, v5
	s_waitcnt lgkmcnt(0)
	v_bfe_u32 v83, v82, 4, 4
	v_mul_lo_u32 v83, v83, s23
	v_dot4c_i32_i8_e32 v86, v83, v6
	v_dot4c_i32_i8_e32 v86, v83, v7
	;; [unrolled: 1-line block ×4, first 2 shown]
	v_lshrrev_b32_sdwa v83, v77, v82 dst_sel:DWORD dst_unused:UNUSED_PAD src0_sel:DWORD src1_sel:BYTE_1
	v_mul_lo_u32 v83, v83, s23
	v_dot4c_i32_i8_e32 v86, v83, v2
	v_dot4c_i32_i8_e32 v86, v83, v3
	;; [unrolled: 1-line block ×4, first 2 shown]
	v_and_b32_e32 v83, 15, v82
	v_and_b32_sdwa v82, v82, v78 dst_sel:DWORD dst_unused:UNUSED_PAD src0_sel:BYTE_1 src1_sel:DWORD
	v_and_b32_e32 v84, 0xffff, v82
	v_and_b32_e32 v82, 0xffff, v83
	v_mul_lo_u32 v82, v91, v82
                                        ; kill: def $vgpr83 killed $sgpr0 killed $exec
	v_add3_u32 v91, s17, v74, v75
	v_mad_u64_u32 v[82:83], s[26:27], v81, v84, v[82:83]
	v_cvt_f32_f16_e32 v84, v90
	v_cvt_f32_i32_e32 v82, v82
	v_cvt_f32_i32_e32 v83, v86
	v_add_u32_e32 v81, 0x3180, v80
	ds_read_b32 v91, v91
	v_add_u32_e32 v90, s16, v51
	v_pk_mul_f32 v[82:83], v[84:85], v[82:83]
	ds_read2_b32 v[84:85], v81 offset1:1
	s_waitcnt lgkmcnt(0)
	v_ashrrev_i32_e32 v81, s3, v84
	v_and_b32_e32 v86, 0x3030303, v81
	v_ashrrev_i32_e32 v81, s3, v85
	v_and_b32_e32 v87, 0x3030303, v81
	v_add_u32_e32 v81, 0x3188, v80
	ds_read2_b32 v[84:85], v81 offset1:1
	v_dot4c_i32_i8_e32 v92, v86, v6
	v_mov_b32_e32 v86, 0
	v_dot4c_i32_i8_e32 v92, v87, v7
	s_waitcnt lgkmcnt(0)
	v_ashrrev_i32_e32 v81, s3, v84
	v_and_b32_e32 v88, 0x3030303, v81
	v_ashrrev_i32_e32 v81, s3, v85
	v_and_b32_e32 v89, 0x3030303, v81
	v_add_u32_e32 v81, 0x3190, v80
	ds_read2_b32 v[84:85], v81 offset1:1
	v_add_u32_e32 v80, 0x3198, v80
	v_dot4c_i32_i8_e32 v92, v88, v8
	v_dot4c_i32_i8_e32 v92, v89, v9
	s_waitcnt lgkmcnt(0)
	v_ashrrev_i32_e32 v81, s3, v84
	v_and_b32_e32 v84, 0x3030303, v81
	v_ashrrev_i32_e32 v81, s3, v85
	v_and_b32_e32 v85, 0x3030303, v81
	ds_read2_b32 v[80:81], v80 offset1:1
	v_dot4c_i32_i8_e32 v86, v84, v2
	v_dot4c_i32_i8_e32 v86, v85, v3
	v_mov_b32_e32 v84, 0
	s_waitcnt lgkmcnt(0)
	v_ashrrev_i32_e32 v80, s3, v80
	v_and_b32_e32 v80, 0x3030303, v80
	v_dot4c_i32_i8_e32 v86, v80, v4
	ds_read_u16 v80, v90 offset:19952
	v_ashrrev_i32_e32 v81, s3, v81
	v_and_b32_e32 v81, 0x3030303, v81
	v_dot4c_i32_i8_e32 v86, v81, v5
	s_add_i32 s3, s2, 2
	s_waitcnt lgkmcnt(0)
	v_bfe_u32 v81, v80, 4, 4
	v_mul_lo_u32 v81, v81, s23
	v_dot4c_i32_i8_e32 v84, v81, v6
	v_dot4c_i32_i8_e32 v84, v81, v7
	;; [unrolled: 1-line block ×3, first 2 shown]
	v_lshrrev_b32_sdwa v6, v77, v80 dst_sel:DWORD dst_unused:UNUSED_PAD src0_sel:DWORD src1_sel:BYTE_1
	v_dot4c_i32_i8_e32 v84, v81, v9
	v_mul_lo_u32 v6, v6, s23
	v_dot4c_i32_i8_e32 v84, v6, v2
	v_and_b32_e32 v2, 15, v80
	v_dot4c_i32_i8_e32 v84, v6, v3
	v_and_b32_sdwa v3, v80, v78 dst_sel:DWORD dst_unused:UNUSED_PAD src0_sel:BYTE_1 src1_sel:DWORD
	v_and_b32_e32 v2, 0xffff, v2
	v_dot4c_i32_i8_e32 v84, v6, v4
	v_and_b32_e32 v3, 0xffff, v3
	v_mul_lo_u32 v2, v92, v2
	v_dot4c_i32_i8_e32 v84, v6, v5
	v_mad_u64_u32 v[2:3], s[16:17], v86, v3, v[2:3]
	v_cvt_f32_f16_e32 v4, v91
	v_cvt_f32_f16_sdwa v5, v91 dst_sel:DWORD dst_unused:UNUSED_PAD src0_sel:WORD_1
	v_cvt_f32_i32_e32 v2, v2
	v_cvt_f32_i32_e32 v3, v84
	s_cmp_lt_u32 s2, 22
	s_mov_b32 s2, s3
	v_pk_mul_f32 v[2:3], v[4:5], v[2:3]
	v_mov_b32_e32 v4, v82
	v_mov_b32_e32 v5, v2
	;; [unrolled: 1-line block ×3, first 2 shown]
	v_pk_add_f32 v[2:3], v[4:5], v[2:3] neg_lo:[0,1] neg_hi:[0,1]
	s_nop 0
	v_pk_fma_f32 v[26:27], v[72:73], v[2:3], v[26:27] op_sel_hi:[0,1,1]
	s_cbranch_scc1 .LBB187_27
; %bb.28:                               ;   in Loop: Header=BB187_5 Depth=1
	s_or_b32 s2, s24, 0x180
	s_cmp_ge_i32 s2, s15
	s_barrier
	s_cbranch_scc1 .LBB187_4
; %bb.29:                               ;   in Loop: Header=BB187_5 Depth=1
	v_add_u32_e32 v2, s25, v43
	v_cmp_gt_i32_e64 s[2:3], s5, v2
	s_and_b64 s[16:17], s[0:1], s[2:3]
	s_and_saveexec_b64 s[2:3], s[16:17]
	s_cbranch_execz .LBB187_31
; %bb.30:                               ;   in Loop: Header=BB187_5 Depth=1
	v_add_u32_e32 v2, v30, v2
	v_mad_i64_i32 v[2:3], s[16:17], v2, 36, v[32:33]
	global_load_dword v2, v[2:3], off offset:4
	s_waitcnt vmcnt(0)
	ds_write_b32 v25, v2
.LBB187_31:                             ;   in Loop: Header=BB187_5 Depth=1
	s_or_b64 exec, exec, s[2:3]
	s_and_saveexec_b64 s[16:17], vcc
	s_cbranch_execz .LBB187_34
; %bb.32:                               ;   in Loop: Header=BB187_5 Depth=1
	v_or_b32_e32 v2, 12, v70
	v_cmp_gt_i32_e64 s[2:3], s5, v2
	s_and_b64 s[2:3], s[0:1], s[2:3]
	s_and_b64 exec, exec, s[2:3]
	s_cbranch_execz .LBB187_34
; %bb.33:                               ;   in Loop: Header=BB187_5 Depth=1
	v_ashrrev_i32_e32 v71, 31, v70
	v_lshl_add_u64 v[2:3], v[30:31], 0, v[70:71]
	v_mad_u64_u32 v[4:5], s[2:3], v2, 36, s[10:11]
	v_mad_i32_i24 v5, v3, 36, v5
	global_load_dword v2, v[4:5], off offset:432
	s_waitcnt vmcnt(0)
	v_cvt_f32_f16_e32 v2, v2
	ds_write_b32 v37, v2
.LBB187_34:                             ;   in Loop: Header=BB187_5 Depth=1
	s_or_b64 exec, exec, s[16:17]
	s_mov_b32 s2, 24
	v_mov_b32_e32 v71, v23
	v_mov_b32_e32 v72, v35
	s_waitcnt lgkmcnt(0)
	s_barrier
.LBB187_35:                             ;   Parent Loop BB187_5 Depth=1
                                        ; =>  This Inner Loop Header: Depth=2
	s_and_b32 s17, s2, 0x3ffffff8
	v_lshl_add_u32 v79, s17, 2, v53
	ds_read_b32 v70, v72
	ds_read_b128 v[6:9], v71
	ds_read_b128 v[2:5], v71 offset:16
	ds_read2_b32 v[80:81], v79 offset1:1
	s_lshr_b32 s17, s2, 2
	s_and_b32 s17, s17, 0x3ffffffc
	s_addk_i32 s17, 0x5280
	s_sub_i32 s3, s2, 24
	v_add3_u32 v89, s17, v76, v63
	ds_read_b32 v89, v89
	s_waitcnt lgkmcnt(1)
	v_ashrrev_i32_e32 v80, s3, v80
	v_and_b32_e32 v82, 0x3030303, v80
	v_ashrrev_i32_e32 v80, s3, v81
	v_and_b32_e32 v83, 0x3030303, v80
	ds_read2_b32 v[80:81], v79 offset0:2 offset1:3
	v_add3_u32 v91, s17, v65, v67
	ds_read_b32 v91, v91
	v_mov_b32_e32 v90, 0
	s_and_b32 s16, s2, -16
	s_waitcnt lgkmcnt(1)
	v_ashrrev_i32_e32 v80, s3, v80
	v_and_b32_e32 v84, 0x3030303, v80
	v_ashrrev_i32_e32 v80, s3, v81
	v_and_b32_e32 v85, 0x3030303, v80
	ds_read2_b32 v[80:81], v79 offset0:4 offset1:5
	v_dot4c_i32_i8_e32 v90, v82, v6
	v_mov_b32_e32 v82, 0
	s_add_i32 s16, s2, s16
	v_add_u32_e32 v88, s16, v45
	s_waitcnt lgkmcnt(0)
	v_ashrrev_i32_e32 v80, s3, v80
	v_and_b32_e32 v86, 0x3030303, v80
	v_ashrrev_i32_e32 v80, s3, v81
	v_and_b32_e32 v87, 0x3030303, v80
	ds_read2_b32 v[80:81], v79 offset0:6 offset1:7
	v_dot4c_i32_i8_e32 v82, v86, v2
	v_dot4c_i32_i8_e32 v82, v87, v3
	;; [unrolled: 1-line block ×4, first 2 shown]
	s_waitcnt lgkmcnt(0)
	v_ashrrev_i32_e32 v80, s3, v80
	v_and_b32_e32 v80, 0x3030303, v80
	v_dot4c_i32_i8_e32 v82, v80, v4
	ds_read_u16 v80, v88 offset:16880
	v_ashrrev_i32_e32 v81, s3, v81
	v_and_b32_e32 v81, 0x3030303, v81
	v_dot4c_i32_i8_e32 v82, v81, v5
	v_mov_b32_e32 v84, 0
	s_waitcnt lgkmcnt(0)
	v_bfe_u32 v81, v80, 4, 4
	v_mul_lo_u32 v81, v81, s23
	v_dot4c_i32_i8_e32 v84, v81, v6
	v_dot4c_i32_i8_e32 v84, v81, v7
	;; [unrolled: 1-line block ×4, first 2 shown]
	v_lshrrev_b32_sdwa v81, v77, v80 dst_sel:DWORD dst_unused:UNUSED_PAD src0_sel:DWORD src1_sel:BYTE_1
	v_mul_lo_u32 v81, v81, s23
	v_dot4c_i32_i8_e32 v84, v81, v2
	v_dot4c_i32_i8_e32 v84, v81, v3
	;; [unrolled: 1-line block ×4, first 2 shown]
	v_and_b32_e32 v81, 15, v80
	v_and_b32_sdwa v80, v80, v78 dst_sel:DWORD dst_unused:UNUSED_PAD src0_sel:BYTE_1 src1_sel:DWORD
	v_dot4c_i32_i8_e32 v90, v85, v9
	v_and_b32_e32 v83, 0xffff, v80
	v_and_b32_e32 v80, 0xffff, v81
                                        ; kill: def $vgpr81 killed $sgpr0 killed $exec
	v_mov_b32_e32 v92, 0
	v_mul_lo_u32 v80, v90, v80
	v_mad_u64_u32 v[80:81], s[24:25], v82, v83, v[80:81]
	v_cvt_f32_f16_e32 v82, v89
	v_cvt_f32_f16_sdwa v83, v89 dst_sel:DWORD dst_unused:UNUSED_PAD src0_sel:WORD_1
	v_cvt_f32_i32_e32 v80, v80
	v_cvt_f32_i32_e32 v81, v84
	v_add_u32_e32 v90, s16, v47
	v_add_u32_e32 v72, 4, v72
	v_pk_mul_f32 v[80:81], v[82:83], v[80:81]
	v_add_u32_e32 v82, 0x1080, v79
	ds_read2_b32 v[82:83], v82 offset1:1
	s_waitcnt lgkmcnt(0)
	v_ashrrev_i32_e32 v82, s3, v82
	v_and_b32_e32 v84, 0x3030303, v82
	v_ashrrev_i32_e32 v82, s3, v83
	v_and_b32_e32 v85, 0x3030303, v82
	v_add_u32_e32 v82, 0x1088, v79
	ds_read2_b32 v[82:83], v82 offset1:1
	v_dot4c_i32_i8_e32 v92, v84, v6
	v_mov_b32_e32 v84, 0
	v_dot4c_i32_i8_e32 v92, v85, v7
	v_mov_b32_e32 v85, 0
	s_waitcnt lgkmcnt(0)
	v_ashrrev_i32_e32 v82, s3, v82
	v_and_b32_e32 v86, 0x3030303, v82
	v_ashrrev_i32_e32 v82, s3, v83
	v_and_b32_e32 v87, 0x3030303, v82
	v_add_u32_e32 v82, 0x1090, v79
	ds_read2_b32 v[82:83], v82 offset1:1
	v_dot4c_i32_i8_e32 v92, v86, v8
	v_dot4c_i32_i8_e32 v92, v87, v9
	s_waitcnt lgkmcnt(0)
	v_ashrrev_i32_e32 v82, s3, v82
	v_and_b32_e32 v88, 0x3030303, v82
	v_ashrrev_i32_e32 v82, s3, v83
	v_and_b32_e32 v89, 0x3030303, v82
	v_add_u32_e32 v82, 0x1098, v79
	ds_read2_b32 v[82:83], v82 offset1:1
	v_dot4c_i32_i8_e32 v84, v88, v2
	v_dot4c_i32_i8_e32 v84, v89, v3
	v_add3_u32 v89, s17, v69, v73
	v_add_u32_e32 v88, s16, v49
	s_waitcnt lgkmcnt(0)
	v_ashrrev_i32_e32 v82, s3, v82
	v_and_b32_e32 v82, 0x3030303, v82
	v_dot4c_i32_i8_e32 v84, v82, v4
	ds_read_u16 v82, v90 offset:17904
	v_ashrrev_i32_e32 v83, s3, v83
	v_and_b32_e32 v83, 0x3030303, v83
	v_dot4c_i32_i8_e32 v84, v83, v5
	ds_read_b32 v89, v89
	s_waitcnt lgkmcnt(1)
	v_bfe_u32 v83, v82, 4, 4
	v_mul_lo_u32 v83, v83, s23
	v_dot4c_i32_i8_e32 v85, v83, v6
	v_dot4c_i32_i8_e32 v85, v83, v7
	;; [unrolled: 1-line block ×4, first 2 shown]
	v_lshrrev_b32_sdwa v83, v77, v82 dst_sel:DWORD dst_unused:UNUSED_PAD src0_sel:DWORD src1_sel:BYTE_1
	v_mul_lo_u32 v83, v83, s23
	v_dot4c_i32_i8_e32 v85, v83, v2
	v_dot4c_i32_i8_e32 v85, v83, v3
	;; [unrolled: 1-line block ×4, first 2 shown]
	v_and_b32_e32 v83, 15, v82
	v_and_b32_sdwa v82, v82, v78 dst_sel:DWORD dst_unused:UNUSED_PAD src0_sel:BYTE_1 src1_sel:DWORD
	v_and_b32_e32 v86, 0xffff, v82
	v_and_b32_e32 v82, 0xffff, v83
	v_mul_lo_u32 v82, v92, v82
                                        ; kill: def $vgpr83 killed $sgpr0 killed $exec
	v_mov_b32_e32 v90, 0
	v_mad_u64_u32 v[82:83], s[24:25], v84, v86, v[82:83]
	v_cvt_f32_f16_e32 v83, v91
	v_cvt_f32_i32_e32 v82, v82
	v_cvt_f32_f16_sdwa v84, v91 dst_sel:DWORD dst_unused:UNUSED_PAD src0_sel:WORD_1
	v_mov_b32_e32 v91, 0
	v_mul_f32_e32 v83, v83, v82
	v_cvt_f32_i32_e32 v82, v85
	v_mul_f32_e32 v85, v84, v82
	v_mov_b32_e32 v82, v80
	v_mov_b32_e32 v84, v81
	v_pk_add_f32 v[80:81], v[82:83], v[84:85] neg_lo:[0,1] neg_hi:[0,1]
	s_nop 0
	v_pk_fma_f32 v[28:29], v[70:71], v[80:81], v[28:29] op_sel_hi:[0,1,1]
	v_add_u32_e32 v80, 0x2100, v79
	ds_read2_b32 v[80:81], v80 offset1:1
	s_waitcnt lgkmcnt(0)
	v_ashrrev_i32_e32 v80, s3, v80
	v_and_b32_e32 v82, 0x3030303, v80
	v_ashrrev_i32_e32 v80, s3, v81
	v_and_b32_e32 v83, 0x3030303, v80
	v_add_u32_e32 v80, 0x2108, v79
	ds_read2_b32 v[80:81], v80 offset1:1
	v_dot4c_i32_i8_e32 v90, v82, v6
	v_mov_b32_e32 v82, 0
	v_dot4c_i32_i8_e32 v90, v83, v7
	s_waitcnt lgkmcnt(0)
	v_ashrrev_i32_e32 v80, s3, v80
	v_and_b32_e32 v84, 0x3030303, v80
	v_ashrrev_i32_e32 v80, s3, v81
	v_and_b32_e32 v85, 0x3030303, v80
	v_add_u32_e32 v80, 0x2110, v79
	ds_read2_b32 v[80:81], v80 offset1:1
	v_dot4c_i32_i8_e32 v90, v84, v8
	v_mov_b32_e32 v84, 0
	v_dot4c_i32_i8_e32 v90, v85, v9
	s_waitcnt lgkmcnt(0)
	v_ashrrev_i32_e32 v80, s3, v80
	v_and_b32_e32 v86, 0x3030303, v80
	v_ashrrev_i32_e32 v80, s3, v81
	v_and_b32_e32 v87, 0x3030303, v80
	v_add_u32_e32 v80, 0x2118, v79
	ds_read2_b32 v[80:81], v80 offset1:1
	v_dot4c_i32_i8_e32 v82, v86, v2
	v_dot4c_i32_i8_e32 v82, v87, v3
	s_waitcnt lgkmcnt(0)
	v_ashrrev_i32_e32 v80, s3, v80
	v_and_b32_e32 v80, 0x3030303, v80
	v_dot4c_i32_i8_e32 v82, v80, v4
	ds_read_u16 v80, v88 offset:18928
	v_ashrrev_i32_e32 v81, s3, v81
	v_and_b32_e32 v81, 0x3030303, v81
	v_dot4c_i32_i8_e32 v82, v81, v5
	s_waitcnt lgkmcnt(0)
	v_bfe_u32 v81, v80, 4, 4
	v_mul_lo_u32 v81, v81, s23
	v_dot4c_i32_i8_e32 v84, v81, v6
	v_dot4c_i32_i8_e32 v84, v81, v7
	;; [unrolled: 1-line block ×4, first 2 shown]
	v_lshrrev_b32_sdwa v81, v77, v80 dst_sel:DWORD dst_unused:UNUSED_PAD src0_sel:DWORD src1_sel:BYTE_1
	v_mul_lo_u32 v81, v81, s23
	v_dot4c_i32_i8_e32 v84, v81, v2
	v_dot4c_i32_i8_e32 v84, v81, v3
	;; [unrolled: 1-line block ×4, first 2 shown]
	v_and_b32_e32 v81, 15, v80
	v_and_b32_sdwa v80, v80, v78 dst_sel:DWORD dst_unused:UNUSED_PAD src0_sel:BYTE_1 src1_sel:DWORD
	v_and_b32_e32 v83, 0xffff, v80
	v_and_b32_e32 v80, 0xffff, v81
	v_mul_lo_u32 v80, v90, v80
                                        ; kill: def $vgpr81 killed $sgpr0 killed $exec
	v_add3_u32 v90, s17, v74, v75
	v_mad_u64_u32 v[80:81], s[24:25], v82, v83, v[80:81]
	v_cvt_f32_f16_e32 v82, v89
	v_cvt_f32_f16_sdwa v83, v89 dst_sel:DWORD dst_unused:UNUSED_PAD src0_sel:WORD_1
	v_cvt_f32_i32_e32 v80, v80
	v_cvt_f32_i32_e32 v81, v84
	ds_read_b32 v90, v90
	v_pk_mul_f32 v[80:81], v[82:83], v[80:81]
	v_add_u32_e32 v82, 0x3180, v79
	ds_read2_b32 v[82:83], v82 offset1:1
	s_waitcnt lgkmcnt(0)
	v_ashrrev_i32_e32 v82, s3, v82
	v_and_b32_e32 v84, 0x3030303, v82
	v_ashrrev_i32_e32 v82, s3, v83
	v_and_b32_e32 v85, 0x3030303, v82
	v_add_u32_e32 v82, 0x3188, v79
	ds_read2_b32 v[82:83], v82 offset1:1
	v_dot4c_i32_i8_e32 v91, v84, v6
	v_mov_b32_e32 v84, 0
	v_dot4c_i32_i8_e32 v91, v85, v7
	s_waitcnt lgkmcnt(0)
	v_ashrrev_i32_e32 v82, s3, v82
	v_and_b32_e32 v86, 0x3030303, v82
	v_ashrrev_i32_e32 v82, s3, v83
	v_and_b32_e32 v87, 0x3030303, v82
	v_add_u32_e32 v82, 0x3190, v79
	ds_read2_b32 v[82:83], v82 offset1:1
	v_add_u32_e32 v79, 0x3198, v79
	v_dot4c_i32_i8_e32 v91, v86, v8
	v_dot4c_i32_i8_e32 v91, v87, v9
	s_waitcnt lgkmcnt(0)
	v_ashrrev_i32_e32 v82, s3, v82
	v_and_b32_e32 v88, 0x3030303, v82
	v_ashrrev_i32_e32 v82, s3, v83
	v_and_b32_e32 v89, 0x3030303, v82
	ds_read2_b32 v[82:83], v79 offset1:1
	v_dot4c_i32_i8_e32 v84, v88, v2
	v_dot4c_i32_i8_e32 v84, v89, v3
	s_waitcnt lgkmcnt(0)
	v_ashrrev_i32_e32 v79, s3, v82
	v_and_b32_e32 v79, 0x3030303, v79
	v_ashrrev_i32_e32 v82, s3, v83
	v_add_u32_e32 v83, s16, v51
	v_dot4c_i32_i8_e32 v84, v79, v4
	ds_read_u16 v79, v83 offset:19952
	v_and_b32_e32 v82, 0x3030303, v82
	v_dot4c_i32_i8_e32 v84, v82, v5
	v_mov_b32_e32 v83, 0
	s_add_i32 s3, s2, 2
	s_waitcnt lgkmcnt(0)
	v_bfe_u32 v82, v79, 4, 4
	v_mul_lo_u32 v82, v82, s23
	v_dot4c_i32_i8_e32 v83, v82, v6
	v_dot4c_i32_i8_e32 v83, v82, v7
	;; [unrolled: 1-line block ×3, first 2 shown]
	v_lshrrev_b32_sdwa v6, v77, v79 dst_sel:DWORD dst_unused:UNUSED_PAD src0_sel:DWORD src1_sel:BYTE_1
	v_dot4c_i32_i8_e32 v83, v82, v9
	v_mul_lo_u32 v6, v6, s23
	v_dot4c_i32_i8_e32 v83, v6, v2
	v_and_b32_e32 v2, 15, v79
	v_dot4c_i32_i8_e32 v83, v6, v3
	v_and_b32_sdwa v3, v79, v78 dst_sel:DWORD dst_unused:UNUSED_PAD src0_sel:BYTE_1 src1_sel:DWORD
	v_and_b32_e32 v2, 0xffff, v2
	v_dot4c_i32_i8_e32 v83, v6, v4
	v_and_b32_e32 v3, 0xffff, v3
	v_mul_lo_u32 v2, v91, v2
	v_dot4c_i32_i8_e32 v83, v6, v5
	v_mad_u64_u32 v[2:3], s[16:17], v84, v3, v[2:3]
	v_cvt_f32_f16_e32 v4, v90
	v_cvt_f32_f16_sdwa v5, v90 dst_sel:DWORD dst_unused:UNUSED_PAD src0_sel:WORD_1
	v_cvt_f32_i32_e32 v2, v2
	v_cvt_f32_i32_e32 v3, v83
	s_cmp_lt_u32 s2, 30
	s_mov_b32 s2, s3
	v_pk_mul_f32 v[2:3], v[4:5], v[2:3]
	v_mov_b32_e32 v4, v80
	v_mov_b32_e32 v5, v2
	;; [unrolled: 1-line block ×3, first 2 shown]
	v_pk_add_f32 v[2:3], v[4:5], v[2:3] neg_lo:[0,1] neg_hi:[0,1]
	s_nop 0
	v_pk_fma_f32 v[26:27], v[70:71], v[2:3], v[26:27] op_sel_hi:[0,1,1]
	v_add_u32_e32 v71, 32, v71
	s_cbranch_scc1 .LBB187_35
; %bb.36:                               ;   in Loop: Header=BB187_5 Depth=1
	s_barrier
	s_branch .LBB187_4
.LBB187_37:
	s_mul_i32 s0, s7, s4
	s_waitcnt vmcnt(0)
	v_cmp_gt_i32_e32 vcc, s0, v1
	s_and_saveexec_b64 s[0:1], vcc
	s_cbranch_execz .LBB187_46
; %bb.38:
	v_and_b32_e32 v0, 0x3ff, v0
	v_add_u32_e32 v2, s18, v0
	v_mul_lo_u32 v0, v1, s6
	v_cmp_gt_u32_e32 vcc, s6, v2
	s_and_saveexec_b64 s[0:1], vcc
	s_cbranch_execz .LBB187_40
; %bb.39:
	v_add_u32_e32 v4, v0, v2
	v_mov_b32_e32 v5, 0
	v_lshl_add_u64 v[4:5], v[4:5], 2, s[12:13]
	global_store_dword v[4:5], v28, off
.LBB187_40:
	s_or_b64 exec, exec, s[0:1]
	v_add_u32_e32 v1, 32, v2
	v_cmp_gt_u32_e32 vcc, s6, v1
	s_and_saveexec_b64 s[0:1], vcc
	s_cbranch_execz .LBB187_42
; %bb.41:
	v_add_u32_e32 v4, v0, v1
	v_mov_b32_e32 v5, 0
	v_lshl_add_u64 v[4:5], v[4:5], 2, s[12:13]
	global_store_dword v[4:5], v29, off
.LBB187_42:
	s_or_b64 exec, exec, s[0:1]
	v_add_u32_e32 v1, 64, v2
	;; [unrolled: 11-line block ×3, first 2 shown]
	v_cmp_gt_u32_e32 vcc, s6, v1
	s_and_b64 exec, exec, vcc
	s_cbranch_execz .LBB187_46
; %bb.45:
	v_add_u32_e32 v0, v0, v1
	v_mov_b32_e32 v1, 0
	v_lshl_add_u64 v[0:1], v[0:1], 2, s[12:13]
	global_store_dword v[0:1], v27, off
.LBB187_46:
	s_endpgm
	.section	.rodata,"a",@progbits
	.p2align	6, 0x0
	.amdhsa_kernel _ZL8moe_q2_KIfLb0EEvPKvS1_PT_PKiS5_S5_iiiiiii
		.amdhsa_group_segment_fixed_size 23328
		.amdhsa_private_segment_fixed_size 0
		.amdhsa_kernarg_size 76
		.amdhsa_user_sgpr_count 2
		.amdhsa_user_sgpr_dispatch_ptr 0
		.amdhsa_user_sgpr_queue_ptr 0
		.amdhsa_user_sgpr_kernarg_segment_ptr 1
		.amdhsa_user_sgpr_dispatch_id 0
		.amdhsa_user_sgpr_kernarg_preload_length 0
		.amdhsa_user_sgpr_kernarg_preload_offset 0
		.amdhsa_user_sgpr_private_segment_size 0
		.amdhsa_uses_dynamic_stack 0
		.amdhsa_enable_private_segment 0
		.amdhsa_system_sgpr_workgroup_id_x 1
		.amdhsa_system_sgpr_workgroup_id_y 1
		.amdhsa_system_sgpr_workgroup_id_z 0
		.amdhsa_system_sgpr_workgroup_info 0
		.amdhsa_system_vgpr_workitem_id 1
		.amdhsa_next_free_vgpr 102
		.amdhsa_next_free_sgpr 75
		.amdhsa_accum_offset 104
		.amdhsa_reserve_vcc 1
		.amdhsa_float_round_mode_32 0
		.amdhsa_float_round_mode_16_64 0
		.amdhsa_float_denorm_mode_32 3
		.amdhsa_float_denorm_mode_16_64 3
		.amdhsa_dx10_clamp 1
		.amdhsa_ieee_mode 1
		.amdhsa_fp16_overflow 0
		.amdhsa_tg_split 0
		.amdhsa_exception_fp_ieee_invalid_op 0
		.amdhsa_exception_fp_denorm_src 0
		.amdhsa_exception_fp_ieee_div_zero 0
		.amdhsa_exception_fp_ieee_overflow 0
		.amdhsa_exception_fp_ieee_underflow 0
		.amdhsa_exception_fp_ieee_inexact 0
		.amdhsa_exception_int_div_zero 0
	.end_amdhsa_kernel
	.section	.text._ZL8moe_q2_KIfLb0EEvPKvS1_PT_PKiS5_S5_iiiiiii,"axG",@progbits,_ZL8moe_q2_KIfLb0EEvPKvS1_PT_PKiS5_S5_iiiiiii,comdat
.Lfunc_end187:
	.size	_ZL8moe_q2_KIfLb0EEvPKvS1_PT_PKiS5_S5_iiiiiii, .Lfunc_end187-_ZL8moe_q2_KIfLb0EEvPKvS1_PT_PKiS5_S5_iiiiiii
                                        ; -- End function
	.set _ZL8moe_q2_KIfLb0EEvPKvS1_PT_PKiS5_S5_iiiiiii.num_vgpr, 102
	.set _ZL8moe_q2_KIfLb0EEvPKvS1_PT_PKiS5_S5_iiiiiii.num_agpr, 0
	.set _ZL8moe_q2_KIfLb0EEvPKvS1_PT_PKiS5_S5_iiiiiii.numbered_sgpr, 28
	.set _ZL8moe_q2_KIfLb0EEvPKvS1_PT_PKiS5_S5_iiiiiii.num_named_barrier, 0
	.set _ZL8moe_q2_KIfLb0EEvPKvS1_PT_PKiS5_S5_iiiiiii.private_seg_size, 0
	.set _ZL8moe_q2_KIfLb0EEvPKvS1_PT_PKiS5_S5_iiiiiii.uses_vcc, 1
	.set _ZL8moe_q2_KIfLb0EEvPKvS1_PT_PKiS5_S5_iiiiiii.uses_flat_scratch, 0
	.set _ZL8moe_q2_KIfLb0EEvPKvS1_PT_PKiS5_S5_iiiiiii.has_dyn_sized_stack, 0
	.set _ZL8moe_q2_KIfLb0EEvPKvS1_PT_PKiS5_S5_iiiiiii.has_recursion, 0
	.set _ZL8moe_q2_KIfLb0EEvPKvS1_PT_PKiS5_S5_iiiiiii.has_indirect_call, 0
	.section	.AMDGPU.csdata,"",@progbits
; Kernel info:
; codeLenInByte = 9620
; TotalNumSgprs: 34
; NumVgprs: 102
; NumAgprs: 0
; TotalNumVgprs: 102
; ScratchSize: 0
; MemoryBound: 0
; FloatMode: 240
; IeeeMode: 1
; LDSByteSize: 23328 bytes/workgroup (compile time only)
; SGPRBlocks: 10
; VGPRBlocks: 12
; NumSGPRsForWavesPerEU: 81
; NumVGPRsForWavesPerEU: 102
; AccumOffset: 104
; Occupancy: 4
; WaveLimiterHint : 1
; COMPUTE_PGM_RSRC2:SCRATCH_EN: 0
; COMPUTE_PGM_RSRC2:USER_SGPR: 2
; COMPUTE_PGM_RSRC2:TRAP_HANDLER: 0
; COMPUTE_PGM_RSRC2:TGID_X_EN: 1
; COMPUTE_PGM_RSRC2:TGID_Y_EN: 1
; COMPUTE_PGM_RSRC2:TGID_Z_EN: 0
; COMPUTE_PGM_RSRC2:TIDIG_COMP_CNT: 1
; COMPUTE_PGM_RSRC3_GFX90A:ACCUM_OFFSET: 25
; COMPUTE_PGM_RSRC3_GFX90A:TG_SPLIT: 0
	.section	.text._ZL8moe_q2_KIfLb1EEvPKvS1_PT_PKiS5_S5_iiiiiii,"axG",@progbits,_ZL8moe_q2_KIfLb1EEvPKvS1_PT_PKiS5_S5_iiiiiii,comdat
	.globl	_ZL8moe_q2_KIfLb1EEvPKvS1_PT_PKiS5_S5_iiiiiii ; -- Begin function _ZL8moe_q2_KIfLb1EEvPKvS1_PT_PKiS5_S5_iiiiiii
	.p2align	8
	.type	_ZL8moe_q2_KIfLb1EEvPKvS1_PT_PKiS5_S5_iiiiiii,@function
_ZL8moe_q2_KIfLb1EEvPKvS1_PT_PKiS5_S5_iiiiiii: ; @_ZL8moe_q2_KIfLb1EEvPKvS1_PT_PKiS5_S5_iiiiiii
; %bb.0:
	s_load_dwordx4 s[4:7], s[0:1], 0x18
	s_mov_b32 s8, s3
	s_mov_b32 s9, 0
	s_lshl_b64 s[10:11], s[8:9], 2
	s_waitcnt lgkmcnt(0)
	s_add_u32 s6, s6, s10
	s_addc_u32 s7, s7, s11
	s_load_dword s3, s[6:7], 0x0
	s_waitcnt lgkmcnt(0)
	s_cmpk_gt_u32 s3, 0xff
	s_cbranch_scc1 .LBB188_46
; %bb.1:
	s_load_dwordx2 s[6:7], s[0:1], 0x28
	s_waitcnt lgkmcnt(0)
	s_load_dword s7, s[6:7], 0x0
	s_lshl_b32 s6, s8, 3
	s_waitcnt lgkmcnt(0)
	s_cmp_gt_u32 s6, s7
	s_cbranch_scc1 .LBB188_46
; %bb.2:
	v_bfe_u32 v2, v0, 10, 10
	v_mov_b32_e32 v4, s4
	v_mov_b32_e32 v5, s5
	v_add_u32_e32 v34, s6, v2
	v_mov_b32_e32 v35, 0
	v_lshl_add_u64 v[4:5], v[34:35], 2, v[4:5]
	global_load_dword v1, v[4:5], off
	s_load_dwordx8 s[4:11], s[0:1], 0x30
	s_load_dwordx2 s[16:17], s[0:1], 0x10
	s_waitcnt lgkmcnt(0)
	s_lshl_b32 s11, s2, 7
	v_mov_b32_e32 v34, v35
	v_mov_b32_e32 v37, v35
	s_cmpk_lt_i32 s5, 0x100
	v_mov_b32_e32 v36, v35
	s_cbranch_scc1 .LBB188_37
; %bb.3:
	s_load_dwordx4 s[12:15], s[0:1], 0x0
	s_ashr_i32 s0, s5, 31
	s_lshr_b32 s0, s0, 24
	s_add_i32 s0, s5, s0
	s_ashr_i32 s20, s0, 8
	s_ashr_i32 s0, s8, 31
	s_lshr_b32 s0, s0, 27
	s_add_i32 s0, s8, s0
	s_mul_i32 s3, s3, s4
	s_ashr_i32 s8, s0, 5
	s_ashr_i32 s0, s3, 31
	s_waitcnt lgkmcnt(0)
	s_add_u32 s1, s12, s3
	s_mul_i32 s2, s20, s11
	s_addc_u32 s0, s13, s0
	s_mul_hi_i32 s3, s2, 0x54
	s_mulk_i32 s2, 0x54
	s_add_u32 s21, s1, s2
	s_addc_u32 s22, s0, s3
	s_not_b32 s0, s11
	s_add_i32 s1, s6, s0
	v_add_u32_e32 v3, 8, v2
	v_min_i32_e32 v6, s1, v3
	v_add_u32_e32 v3, 16, v2
	v_min_i32_e32 v7, s1, v3
	;; [unrolled: 2-line block ×11, first 2 shown]
	v_add_u32_e32 v3, 0x60, v2
	v_and_b32_e32 v33, 0x3ff, v0
	v_min_i32_e32 v79, s1, v3
	v_add_u32_e32 v3, 0x68, v2
	v_lshlrev_b32_e32 v4, 2, v33
	v_min_i32_e32 v5, s1, v2
	s_movk_i32 s0, 0x84
	v_min_i32_e32 v81, s1, v3
	v_add_u32_e32 v3, 0x70, v2
	v_mad_u64_u32 v[12:13], s[2:3], v5, s0, v[4:5]
	v_min_i32_e32 v83, s1, v3
	v_add_u32_e32 v3, 0x78, v2
	v_min_i32_e32 v85, s1, v3
	v_lshlrev_b32_e32 v3, 4, v2
	v_bfe_u32 v13, v0, 1, 9
	v_add_u32_e32 v13, v13, v3
	v_and_b32_e32 v13, 0x7f, v13
	v_min_i32_e32 v87, s1, v13
	v_ashrrev_i32_e32 v13, 31, v87
	v_lshrrev_b32_e32 v13, 28, v13
	v_add_u32_e32 v13, v87, v13
	v_mad_u64_u32 v[14:15], s[2:3], v6, s0, v[4:5]
	v_mad_u64_u32 v[16:17], s[2:3], v7, s0, v[4:5]
	;; [unrolled: 1-line block ×9, first 2 shown]
	v_and_b32_e32 v32, 1, v0
	v_ashrrev_i32_e32 v13, 4, v13
	v_lshlrev_b32_e32 v13, 2, v13
	v_lshlrev_b32_e32 v15, 2, v32
	s_movk_i32 s2, 0x5280
	v_add3_u32 v25, v13, v15, s2
	v_bfe_u32 v13, v0, 3, 7
	v_lshl_add_u32 v15, v2, 2, v13
	v_min_i32_e32 v89, s1, v15
	v_ashrrev_i32_e32 v19, 31, v89
	v_lshrrev_b32_e32 v19, 30, v19
	v_and_b32_e32 v17, 7, v0
	v_add_u32_e32 v19, v89, v19
	v_cmp_lt_u32_e64 s[2:3], 3, v17
	v_and_b32_e32 v19, -4, v19
	v_lshlrev_b32_e32 v17, 2, v17
	s_movk_i32 s12, 0x4200
	v_add3_u32 v29, v19, v17, s12
	v_add_u32_e32 v19, 32, v15
	v_min_i32_e32 v91, s1, v19
	v_ashrrev_i32_e32 v19, 31, v91
	v_lshrrev_b32_e32 v19, 30, v19
	v_add_u32_e32 v19, v91, v19
	v_and_b32_e32 v19, -4, v19
	v_add3_u32 v31, v19, v17, s12
	v_add_u32_e32 v19, 64, v15
	v_add_u32_e32 v15, 0x60, v15
	v_min_i32_e32 v93, s1, v19
	v_min_i32_e32 v95, s1, v15
	v_ashrrev_i32_e32 v19, 31, v93
	v_ashrrev_i32_e32 v15, 31, v95
	v_lshrrev_b32_e32 v19, 30, v19
	v_lshrrev_b32_e32 v15, 30, v15
	v_add_u32_e32 v19, v93, v19
	v_add_u32_e32 v15, v95, v15
	v_and_b32_e32 v19, -4, v19
	v_and_b32_e32 v15, -4, v15
	s_abs_i32 s1, s10
	v_add3_u32 v34, v19, v17, s12
	v_add3_u32 v35, v15, v17, s12
	v_cvt_f32_u32_e32 v17, s1
	v_mov_b32_e32 v15, 0x56a0
	v_lshl_add_u32 v15, v2, 7, v15
	s_sub_i32 s12, 0, s1
	v_rcp_iflag_f32_e32 v2, v17
	s_waitcnt vmcnt(0)
	v_sub_u32_e32 v19, 0, v1
	v_max_i32_e32 v19, v1, v19
	v_xor_b32_e32 v17, s10, v1
	v_mul_f32_e32 v2, 0x4f7ffffe, v2
	v_cvt_u32_f32_e32 v2, v2
	v_ashrrev_i32_e32 v17, 31, v17
	v_add_u32_e32 v36, 32, v33
	v_add_u32_e32 v37, 64, v33
	v_mul_lo_u32 v21, s12, v2
	v_mul_hi_u32 v21, v2, v21
	v_add_u32_e32 v2, v2, v21
	v_mul_hi_u32 v2, v19, v2
	v_mul_lo_u32 v21, v2, s1
	v_sub_u32_e32 v19, v19, v21
	v_add_u32_e32 v21, 1, v2
	v_cmp_le_u32_e32 vcc, s1, v19
	v_add_u32_e32 v52, 0x60, v33
	v_and_b32_e32 v23, 0x1fc, v52
	v_cndmask_b32_e32 v2, v2, v21, vcc
	v_subrev_u32_e32 v21, s1, v19
	v_cndmask_b32_e32 v19, v19, v21, vcc
	v_add_u32_e32 v21, 1, v2
	v_cmp_le_u32_e32 vcc, s1, v19
	v_and_b32_e32 v19, 0x1fc, v36
	v_lshlrev_b32_e32 v27, 3, v87
	v_cndmask_b32_e32 v2, v2, v21, vcc
	v_xor_b32_e32 v2, v2, v17
	v_sub_u32_e32 v54, v2, v17
	v_lshlrev_b32_e32 v2, 5, v33
	v_and_b32_e32 v17, 0xfc, v0
	v_and_b32_e32 v21, 0x1fc, v37
	v_add_u32_e32 v17, v2, v17
	v_add_u32_e32 v19, v2, v19
	;; [unrolled: 1-line block ×4, first 2 shown]
	v_lshlrev_b32_e32 v2, 5, v89
	v_lshlrev_b32_e32 v38, 5, v91
	v_mov_b32_e32 v11, 0
	v_add_u32_e32 v25, v25, v27
	v_add_u32_e32 v27, v29, v2
	v_lshlrev_b32_e32 v2, 5, v93
	v_add_u32_e32 v29, v31, v38
	v_lshlrev_b32_e32 v38, 5, v95
	v_add_u32_e32 v59, 0x5aa0, v3
	v_and_b32_e32 v10, 60, v4
	v_add_u32_e32 v31, v34, v2
	v_add_u32_e32 v57, v35, v38
	v_and_b32_e32 v38, 12, v4
	v_add_u32_e32 v61, v59, v4
	v_mad_u64_u32 v[40:41], s[12:13], v75, s0, v[4:5]
	v_mad_u64_u32 v[42:43], s[12:13], v77, s0, v[4:5]
	v_mad_u64_u32 v[44:45], s[12:13], v79, s0, v[4:5]
	v_mad_u64_u32 v[46:47], s[12:13], v81, s0, v[4:5]
	v_mad_u64_u32 v[48:49], s[12:13], v83, s0, v[4:5]
	v_mad_u64_u32 v[50:51], s[0:1], v85, s0, v[4:5]
	v_and_b32_e32 v2, 28, v4
	v_mov_b32_e32 v3, v11
	v_and_b32_e32 v4, 31, v0
	v_lshl_add_u32 v41, v4, 2, v15
	v_lshlrev_b32_e32 v4, 1, v36
	v_lshrrev_b32_e32 v34, 4, v36
	v_lshrrev_b32_e32 v43, 3, v36
	v_lshlrev_b32_e32 v35, 1, v37
	v_lshrrev_b32_e32 v36, 4, v37
	v_lshrrev_b32_e32 v45, 3, v37
	;; [unrolled: 3-line block ×3, first 2 shown]
	v_lshl_add_u64 v[52:53], s[14:15], 0, v[2:3]
	v_mul_u32_u24_e32 v2, 33, v33
	v_cmp_gt_u32_e32 vcc, 4, v33
	v_cmp_gt_i32_e64 s[0:1], s7, v54
	v_lshlrev_b32_e32 v49, 2, v2
	v_mul_lo_u32 v54, v54, s8
	v_lshlrev_b32_e32 v2, 1, v33
	v_bfe_u32 v98, v0, 4, 6
	s_movk_i32 s4, 0x54
	s_mov_b32 s6, 0
	v_mov_b32_e32 v39, v11
	s_and_b64 s[12:13], vcc, s[0:1]
	v_ashrrev_i32_e32 v55, 31, v54
	v_lshlrev_b32_e32 v51, 2, v2
	s_mov_b32 s23, 0x1010101
	v_lshlrev_b32_e32 v63, 2, v34
	v_lshlrev_b32_e32 v65, 2, v4
	;; [unrolled: 1-line block ×6, first 2 shown]
	v_mov_b32_e32 v36, v11
	v_mov_b32_e32 v37, v11
	;; [unrolled: 1-line block ×4, first 2 shown]
	v_mul_lo_u32 v56, v5, s20
	v_mul_lo_u32 v58, v6, s20
	;; [unrolled: 1-line block ×21, first 2 shown]
	v_add_u32_e32 v75, 0x4200, v17
	v_add_u32_e32 v77, 0x4600, v19
	;; [unrolled: 1-line block ×4, first 2 shown]
	v_lshlrev_b32_e32 v83, 2, v98
	v_mov_b32_e32 v85, 4
	v_mov_b32_e32 v87, 15
	v_cndmask_b32_e64 v100, 0, 1, s[2:3]
	s_branch .LBB188_5
.LBB188_4:                              ;   in Loop: Header=BB188_5 Depth=1
	s_add_i32 s6, s6, 2
	s_cmp_ge_i32 s6, s20
	s_cbranch_scc1 .LBB188_37
.LBB188_5:                              ; =>This Loop Header: Depth=1
                                        ;     Child Loop BB188_11 Depth 2
                                        ;     Child Loop BB188_19 Depth 2
	;; [unrolled: 1-line block ×4, first 2 shown]
	s_mul_i32 s2, s6, 0x54
	s_mul_hi_u32 s3, s6, 0x54
	s_add_u32 s2, s21, s2
	s_addc_u32 s3, s22, s3
	v_mov_b64_e32 v[2:3], s[2:3]
	v_mad_u64_u32 v[4:5], s[2:3], v98, s4, v[2:3]
	v_mad_i64_i32 v[6:7], s[2:3], v56, s4, v[4:5]
	v_mad_i64_i32 v[8:9], s[2:3], v58, s4, v[4:5]
	;; [unrolled: 1-line block ×7, first 2 shown]
	v_lshl_add_u64 v[6:7], v[6:7], 0, v[10:11]
	v_lshl_add_u64 v[8:9], v[8:9], 0, v[10:11]
	;; [unrolled: 1-line block ×7, first 2 shown]
	v_mad_i64_i32 v[112:113], s[2:3], v70, s4, v[4:5]
	v_lshl_add_u64 v[112:113], v[112:113], 0, v[10:11]
	global_load_dword v89, v[6:7], off offset:16
	global_load_dword v91, v[8:9], off offset:16
	;; [unrolled: 1-line block ×8, first 2 shown]
	v_mad_i64_i32 v[6:7], s[2:3], v72, s4, v[4:5]
	v_mad_i64_i32 v[8:9], s[2:3], v74, s4, v[4:5]
	;; [unrolled: 1-line block ×8, first 2 shown]
	v_lshl_add_u64 v[6:7], v[6:7], 0, v[10:11]
	v_lshl_add_u64 v[4:5], v[4:5], 0, v[10:11]
	;; [unrolled: 1-line block ×8, first 2 shown]
	global_load_dword v112, v[6:7], off offset:16
	global_load_dword v113, v[8:9], off offset:16
	;; [unrolled: 1-line block ×8, first 2 shown]
	v_mad_i64_i32 v[4:5], s[2:3], v88, s4, v[2:3]
	v_mad_u64_u32 v[2:3], s[2:3], v100, s4, v[2:3]
	v_lshl_add_u64 v[2:3], v[2:3], 0, v[38:39]
	v_mad_u64_u32 v[4:5], s[2:3], v32, s4, v[4:5]
	v_mad_i64_i32 v[6:7], s[2:3], v90, s4, v[2:3]
	v_mad_i64_i32 v[8:9], s[2:3], v92, s4, v[2:3]
	;; [unrolled: 1-line block ×4, first 2 shown]
	global_load_dword v104, v[4:5], off offset:80
	global_load_dword v105, v[6:7], off
	global_load_dword v106, v[8:9], off
	;; [unrolled: 1-line block ×3, first 2 shown]
	s_lshl_b32 s24, s6, 8
	global_load_dword v2, v[2:3], off
	s_cmp_lt_i32 s24, s5
	s_waitcnt vmcnt(20)
	ds_write_b32 v12, v89
	s_waitcnt vmcnt(19)
	ds_write_b32 v14, v91
	;; [unrolled: 2-line block ×21, first 2 shown]
	s_cbranch_scc0 .LBB188_4
; %bb.6:                                ;   in Loop: Header=BB188_5 Depth=1
	s_lshl_b32 s25, s6, 3
	v_add_u32_e32 v2, s25, v13
	v_cmp_gt_i32_e64 s[2:3], s8, v2
	s_and_b64 s[18:19], s[0:1], s[2:3]
	s_and_saveexec_b64 s[2:3], s[18:19]
	s_cbranch_execz .LBB188_8
; %bb.7:                                ;   in Loop: Header=BB188_5 Depth=1
	v_add_u32_e32 v2, v54, v2
	v_mad_i64_i32 v[2:3], s[18:19], v2, 36, v[52:53]
	global_load_dword v2, v[2:3], off offset:4
	s_waitcnt vmcnt(0)
	ds_write_b32 v41, v2
.LBB188_8:                              ;   in Loop: Header=BB188_5 Depth=1
	s_or_b64 exec, exec, s[2:3]
	v_add_u32_e32 v102, s25, v33
	v_cmp_gt_i32_e64 s[2:3], s8, v102
	s_and_b64 s[18:19], s[12:13], s[2:3]
	s_and_saveexec_b64 s[2:3], s[18:19]
	s_cbranch_execz .LBB188_10
; %bb.9:                                ;   in Loop: Header=BB188_5 Depth=1
	v_add_u32_e32 v2, v54, v102
	v_mad_i64_i32 v[2:3], s[18:19], v2, 36, s[14:15]
	global_load_dword v2, v[2:3], off
	s_waitcnt vmcnt(0)
	v_cvt_f32_f16_e32 v2, v2
	ds_write_b32 v61, v2
.LBB188_10:                             ;   in Loop: Header=BB188_5 Depth=1
	s_or_b64 exec, exec, s[2:3]
	s_mov_b32 s2, 0
	v_mov_b32_e32 v89, v59
	v_mov_b32_e32 v91, v15
	s_waitcnt lgkmcnt(0)
	s_barrier
.LBB188_11:                             ;   Parent Loop BB188_5 Depth=1
                                        ; =>  This Inner Loop Header: Depth=2
	s_and_b32 s18, s2, 0x3ffffff8
	v_lshl_add_u32 v93, s18, 2, v49
	ds_read_b32 v104, v89
	ds_read_b128 v[6:9], v91
	ds_read_b128 v[2:5], v91 offset:16
	ds_read2_b32 v[106:107], v93 offset1:1
	s_lshr_b32 s18, s2, 2
	s_and_b32 s18, s18, 0x3ffffffc
	s_addk_i32 s18, 0x5280
	v_add3_u32 v109, s18, v83, v51
	s_and_b32 s3, s2, -16
	ds_read_b32 v109, v109
	s_waitcnt lgkmcnt(1)
	v_ashrrev_i32_e32 v95, s2, v106
	v_and_b32_e32 v95, 0x3030303, v95
	v_ashrrev_i32_e32 v97, s2, v107
	ds_read2_b32 v[106:107], v93 offset0:2 offset1:3
	s_add_i32 s3, s2, s3
	v_mov_b32_e32 v110, 0
	v_and_b32_e32 v97, 0x3030303, v97
	v_add_u32_e32 v108, s3, v75
	v_dot4c_i32_i8_e32 v110, v95, v6
	v_dot4c_i32_i8_e32 v110, v97, v7
	ds_read_u16 v97, v108
	s_waitcnt lgkmcnt(1)
	v_ashrrev_i32_e32 v99, s2, v106
	v_and_b32_e32 v99, 0x3030303, v99
	v_ashrrev_i32_e32 v101, s2, v107
	ds_read2_b32 v[106:107], v93 offset0:4 offset1:5
	v_and_b32_e32 v101, 0x3030303, v101
	v_dot4c_i32_i8_e32 v110, v99, v8
	s_waitcnt lgkmcnt(1)
	v_bfe_u32 v99, v97, 4, 4
	v_dot4c_i32_i8_e32 v110, v101, v9
	v_mul_lo_u32 v99, v99, s23
	v_mov_b32_e32 v101, 0
	v_dot4c_i32_i8_e32 v101, v99, v6
	v_dot4c_i32_i8_e32 v101, v99, v7
	v_add3_u32 v111, s18, v63, v65
	v_dot4c_i32_i8_e32 v101, v99, v8
	ds_read_b32 v111, v111
	s_waitcnt lgkmcnt(1)
	v_ashrrev_i32_e32 v103, s2, v106
	v_ashrrev_i32_e32 v105, s2, v107
	ds_read2_b32 v[106:107], v93 offset0:6 offset1:7
	v_dot4c_i32_i8_e32 v101, v99, v9
	v_lshrrev_b32_sdwa v99, v85, v97 dst_sel:DWORD dst_unused:UNUSED_PAD src0_sel:DWORD src1_sel:BYTE_1
	v_mul_lo_u32 v99, v99, s23
	v_dot4c_i32_i8_e32 v101, v99, v2
	v_and_b32_e32 v103, 0x3030303, v103
	v_mov_b32_e32 v95, 0
	v_dot4c_i32_i8_e32 v101, v99, v3
	v_and_b32_e32 v105, 0x3030303, v105
	s_waitcnt lgkmcnt(0)
	v_ashrrev_i32_e32 v106, s2, v106
	v_dot4c_i32_i8_e32 v95, v103, v2
	v_dot4c_i32_i8_e32 v101, v99, v4
	v_and_b32_e32 v106, 0x3030303, v106
	v_ashrrev_i32_e32 v107, s2, v107
	v_dot4c_i32_i8_e32 v95, v105, v3
	v_dot4c_i32_i8_e32 v101, v99, v5
	v_and_b32_e32 v99, 15, v97
	v_and_b32_e32 v107, 0x3030303, v107
	v_dot4c_i32_i8_e32 v95, v106, v4
	v_and_b32_sdwa v97, v97, v87 dst_sel:DWORD dst_unused:UNUSED_PAD src0_sel:BYTE_1 src1_sel:DWORD
	v_and_b32_e32 v99, 0xffff, v99
	v_dot4c_i32_i8_e32 v95, v107, v5
	v_and_b32_e32 v97, 0xffff, v97
	v_mul_lo_u32 v106, v110, v99
	v_cvt_f32_f16_e32 v108, v109
	v_mad_u64_u32 v[106:107], s[26:27], v95, v97, v[106:107]
	v_cvt_f32_f16_sdwa v109, v109 dst_sel:DWORD dst_unused:UNUSED_PAD src0_sel:WORD_1
	v_cvt_f32_i32_e32 v106, v106
	v_cvt_f32_i32_e32 v107, v101
	v_add_u32_e32 v95, 0x1080, v93
	v_add_u32_e32 v99, 0x1088, v93
	v_mov_b32_e32 v112, 0
	v_pk_mul_f32 v[106:107], v[108:109], v[106:107]
	ds_read2_b32 v[108:109], v95 offset1:1
	v_add_u32_e32 v110, s3, v77
	v_add_u32_e32 v103, 0x1090, v93
	;; [unrolled: 1-line block ×4, first 2 shown]
	s_waitcnt lgkmcnt(0)
	v_ashrrev_i32_e32 v95, s2, v108
	v_and_b32_e32 v95, 0x3030303, v95
	v_ashrrev_i32_e32 v97, s2, v109
	ds_read2_b32 v[108:109], v99 offset1:1
	v_and_b32_e32 v97, 0x3030303, v97
	v_dot4c_i32_i8_e32 v112, v95, v6
	v_dot4c_i32_i8_e32 v112, v97, v7
	ds_read_u16 v97, v110
	s_waitcnt lgkmcnt(1)
	v_ashrrev_i32_e32 v99, s2, v108
	v_ashrrev_i32_e32 v101, s2, v109
	ds_read2_b32 v[108:109], v103 offset1:1
	v_and_b32_e32 v99, 0x3030303, v99
	v_and_b32_e32 v101, 0x3030303, v101
	v_dot4c_i32_i8_e32 v112, v99, v8
	s_waitcnt lgkmcnt(1)
	v_bfe_u32 v99, v97, 4, 4
	v_dot4c_i32_i8_e32 v112, v101, v9
	v_mul_lo_u32 v99, v99, s23
	v_mov_b32_e32 v101, 0
	v_dot4c_i32_i8_e32 v101, v99, v6
	s_waitcnt lgkmcnt(0)
	v_ashrrev_i32_e32 v103, s2, v108
	v_add_u32_e32 v108, 0x1098, v93
	v_dot4c_i32_i8_e32 v101, v99, v7
	v_ashrrev_i32_e32 v105, s2, v109
	ds_read2_b32 v[108:109], v108 offset1:1
	v_dot4c_i32_i8_e32 v101, v99, v8
	v_dot4c_i32_i8_e32 v101, v99, v9
	v_lshrrev_b32_sdwa v99, v85, v97 dst_sel:DWORD dst_unused:UNUSED_PAD src0_sel:DWORD src1_sel:BYTE_1
	v_mul_lo_u32 v99, v99, s23
	v_dot4c_i32_i8_e32 v101, v99, v2
	v_and_b32_e32 v103, 0x3030303, v103
	v_mov_b32_e32 v95, 0
	v_dot4c_i32_i8_e32 v101, v99, v3
	v_and_b32_e32 v105, 0x3030303, v105
	s_waitcnt lgkmcnt(0)
	v_ashrrev_i32_e32 v108, s2, v108
	v_dot4c_i32_i8_e32 v95, v103, v2
	v_dot4c_i32_i8_e32 v101, v99, v4
	v_and_b32_e32 v108, 0x3030303, v108
	v_ashrrev_i32_e32 v109, s2, v109
	v_dot4c_i32_i8_e32 v95, v105, v3
	v_dot4c_i32_i8_e32 v101, v99, v5
	v_and_b32_e32 v99, 15, v97
	v_and_b32_e32 v109, 0x3030303, v109
	v_dot4c_i32_i8_e32 v95, v108, v4
	v_and_b32_sdwa v97, v97, v87 dst_sel:DWORD dst_unused:UNUSED_PAD src0_sel:BYTE_1 src1_sel:DWORD
	v_and_b32_e32 v99, 0xffff, v99
	v_dot4c_i32_i8_e32 v95, v109, v5
	v_and_b32_e32 v97, 0xffff, v97
	v_mul_lo_u32 v108, v112, v99
	v_mov_b32_e32 v110, v107
	v_mad_u64_u32 v[108:109], s[26:27], v95, v97, v[108:109]
	v_cvt_f32_f16_e32 v95, v111
	v_cvt_f32_i32_e32 v99, v108
	v_cvt_f32_f16_sdwa v97, v111 dst_sel:DWORD dst_unused:UNUSED_PAD src0_sel:WORD_1
	v_mov_b32_e32 v108, v106
	v_add_u32_e32 v103, 0x2110, v93
	v_mul_f32_e32 v109, v95, v99
	v_cvt_f32_i32_e32 v95, v101
	v_add_u32_e32 v99, 0x2108, v93
	v_mul_f32_e32 v111, v97, v95
	v_pk_add_f32 v[106:107], v[108:109], v[110:111] neg_lo:[0,1] neg_hi:[0,1]
	v_add_u32_e32 v95, 0x2100, v93
	v_pk_fma_f32 v[36:37], v[104:105], v[106:107], v[36:37] op_sel_hi:[0,1,1]
	ds_read2_b32 v[106:107], v95 offset1:1
	v_add3_u32 v109, s18, v67, v69
	ds_read_b32 v109, v109
	v_mov_b32_e32 v110, 0
	v_add_u32_e32 v108, s3, v79
	s_waitcnt lgkmcnt(1)
	v_ashrrev_i32_e32 v95, s2, v106
	v_and_b32_e32 v95, 0x3030303, v95
	v_ashrrev_i32_e32 v97, s2, v107
	ds_read2_b32 v[106:107], v99 offset1:1
	v_and_b32_e32 v97, 0x3030303, v97
	v_dot4c_i32_i8_e32 v110, v95, v6
	v_dot4c_i32_i8_e32 v110, v97, v7
	ds_read_u16 v97, v108
	s_waitcnt lgkmcnt(1)
	v_ashrrev_i32_e32 v99, s2, v106
	v_ashrrev_i32_e32 v101, s2, v107
	ds_read2_b32 v[106:107], v103 offset1:1
	v_and_b32_e32 v99, 0x3030303, v99
	v_and_b32_e32 v101, 0x3030303, v101
	v_dot4c_i32_i8_e32 v110, v99, v8
	s_waitcnt lgkmcnt(1)
	v_bfe_u32 v99, v97, 4, 4
	v_dot4c_i32_i8_e32 v110, v101, v9
	v_mul_lo_u32 v99, v99, s23
	v_mov_b32_e32 v101, 0
	v_dot4c_i32_i8_e32 v101, v99, v6
	s_waitcnt lgkmcnt(0)
	v_ashrrev_i32_e32 v103, s2, v106
	v_add_u32_e32 v106, 0x2118, v93
	v_dot4c_i32_i8_e32 v101, v99, v7
	v_ashrrev_i32_e32 v105, s2, v107
	ds_read2_b32 v[106:107], v106 offset1:1
	v_dot4c_i32_i8_e32 v101, v99, v8
	v_dot4c_i32_i8_e32 v101, v99, v9
	v_lshrrev_b32_sdwa v99, v85, v97 dst_sel:DWORD dst_unused:UNUSED_PAD src0_sel:DWORD src1_sel:BYTE_1
	v_mul_lo_u32 v99, v99, s23
	v_dot4c_i32_i8_e32 v101, v99, v2
	v_and_b32_e32 v103, 0x3030303, v103
	v_mov_b32_e32 v95, 0
	v_dot4c_i32_i8_e32 v101, v99, v3
	v_and_b32_e32 v105, 0x3030303, v105
	s_waitcnt lgkmcnt(0)
	v_ashrrev_i32_e32 v106, s2, v106
	v_dot4c_i32_i8_e32 v95, v103, v2
	v_dot4c_i32_i8_e32 v101, v99, v4
	v_and_b32_e32 v106, 0x3030303, v106
	v_ashrrev_i32_e32 v107, s2, v107
	v_dot4c_i32_i8_e32 v95, v105, v3
	v_dot4c_i32_i8_e32 v101, v99, v5
	v_and_b32_e32 v99, 15, v97
	v_and_b32_e32 v107, 0x3030303, v107
	v_dot4c_i32_i8_e32 v95, v106, v4
	v_and_b32_sdwa v97, v97, v87 dst_sel:DWORD dst_unused:UNUSED_PAD src0_sel:BYTE_1 src1_sel:DWORD
	v_and_b32_e32 v99, 0xffff, v99
	v_dot4c_i32_i8_e32 v95, v107, v5
	v_and_b32_e32 v97, 0xffff, v97
	v_mul_lo_u32 v106, v110, v99
	v_cvt_f32_f16_e32 v108, v109
	v_mad_u64_u32 v[106:107], s[26:27], v95, v97, v[106:107]
	v_cvt_f32_f16_sdwa v109, v109 dst_sel:DWORD dst_unused:UNUSED_PAD src0_sel:WORD_1
	v_cvt_f32_i32_e32 v106, v106
	v_cvt_f32_i32_e32 v107, v101
	v_add_u32_e32 v95, 0x3180, v93
	v_add_u32_e32 v99, 0x3188, v93
	;; [unrolled: 1-line block ×3, first 2 shown]
	v_pk_mul_f32 v[106:107], v[108:109], v[106:107]
	ds_read2_b32 v[108:109], v95 offset1:1
	v_add_u32_e32 v93, 0x3198, v93
	v_mov_b32_e32 v111, 0
	v_add3_u32 v110, s18, v71, v73
	ds_read_b32 v110, v110
	s_waitcnt lgkmcnt(1)
	v_ashrrev_i32_e32 v95, s2, v108
	v_ashrrev_i32_e32 v97, s2, v109
	ds_read2_b32 v[108:109], v99 offset1:1
	v_and_b32_e32 v95, 0x3030303, v95
	v_dot4c_i32_i8_e32 v111, v95, v6
	v_mov_b32_e32 v95, 0
	v_and_b32_e32 v97, 0x3030303, v97
	s_waitcnt lgkmcnt(0)
	v_ashrrev_i32_e32 v99, s2, v108
	v_ashrrev_i32_e32 v101, s2, v109
	ds_read2_b32 v[108:109], v103 offset1:1
	v_and_b32_e32 v99, 0x3030303, v99
	v_dot4c_i32_i8_e32 v111, v97, v7
	v_dot4c_i32_i8_e32 v111, v99, v8
	v_mov_b32_e32 v99, 0
	s_waitcnt lgkmcnt(0)
	v_ashrrev_i32_e32 v103, s2, v108
	v_ashrrev_i32_e32 v105, s2, v109
	ds_read2_b32 v[108:109], v93 offset1:1
	v_and_b32_e32 v103, 0x3030303, v103
	v_and_b32_e32 v105, 0x3030303, v105
	v_dot4c_i32_i8_e32 v95, v103, v2
	v_dot4c_i32_i8_e32 v95, v105, v3
	s_waitcnt lgkmcnt(0)
	v_ashrrev_i32_e32 v93, s2, v108
	v_and_b32_e32 v93, 0x3030303, v93
	v_ashrrev_i32_e32 v108, s2, v109
	v_add_u32_e32 v109, s3, v81
	v_dot4c_i32_i8_e32 v95, v93, v4
	ds_read_u16 v93, v109
	v_and_b32_e32 v101, 0x3030303, v101
	v_and_b32_e32 v108, 0x3030303, v108
	v_dot4c_i32_i8_e32 v111, v101, v9
	v_dot4c_i32_i8_e32 v95, v108, v5
	s_waitcnt lgkmcnt(0)
	v_bfe_u32 v97, v93, 4, 4
	v_mul_lo_u32 v97, v97, s23
	v_dot4c_i32_i8_e32 v99, v97, v6
	v_dot4c_i32_i8_e32 v99, v97, v7
	;; [unrolled: 1-line block ×3, first 2 shown]
	v_lshrrev_b32_sdwa v6, v85, v93 dst_sel:DWORD dst_unused:UNUSED_PAD src0_sel:DWORD src1_sel:BYTE_1
	v_dot4c_i32_i8_e32 v99, v97, v9
	v_mul_lo_u32 v6, v6, s23
	v_dot4c_i32_i8_e32 v99, v6, v2
	v_and_b32_e32 v2, 15, v93
	v_dot4c_i32_i8_e32 v99, v6, v3
	v_and_b32_sdwa v3, v93, v87 dst_sel:DWORD dst_unused:UNUSED_PAD src0_sel:BYTE_1 src1_sel:DWORD
	v_and_b32_e32 v2, 0xffff, v2
	v_dot4c_i32_i8_e32 v99, v6, v4
	v_and_b32_e32 v3, 0xffff, v3
	v_mul_lo_u32 v2, v111, v2
	v_dot4c_i32_i8_e32 v99, v6, v5
	v_mad_u64_u32 v[2:3], s[18:19], v95, v3, v[2:3]
	v_cvt_f32_f16_e32 v4, v110
	v_cvt_f32_f16_sdwa v5, v110 dst_sel:DWORD dst_unused:UNUSED_PAD src0_sel:WORD_1
	v_cvt_f32_i32_e32 v2, v2
	v_cvt_f32_i32_e32 v3, v99
	s_add_i32 s3, s2, 2
	s_cmp_lt_u32 s2, 6
	s_mov_b32 s2, s3
	v_pk_mul_f32 v[2:3], v[4:5], v[2:3]
	v_mov_b32_e32 v4, v106
	v_mov_b32_e32 v5, v2
	;; [unrolled: 1-line block ×3, first 2 shown]
	v_pk_add_f32 v[2:3], v[4:5], v[2:3] neg_lo:[0,1] neg_hi:[0,1]
	s_nop 0
	v_pk_fma_f32 v[34:35], v[104:105], v[2:3], v[34:35] op_sel_hi:[0,1,1]
	s_cbranch_scc1 .LBB188_11
; %bb.12:                               ;   in Loop: Header=BB188_5 Depth=1
	s_or_b32 s2, s24, 0x80
	s_cmp_ge_i32 s2, s5
	s_barrier
	s_cbranch_scc1 .LBB188_4
; %bb.13:                               ;   in Loop: Header=BB188_5 Depth=1
	v_add_u32_e32 v2, s25, v43
	v_cmp_gt_i32_e64 s[2:3], s8, v2
	s_and_b64 s[18:19], s[0:1], s[2:3]
	s_and_saveexec_b64 s[2:3], s[18:19]
	s_cbranch_execz .LBB188_15
; %bb.14:                               ;   in Loop: Header=BB188_5 Depth=1
	v_add_u32_e32 v2, v54, v2
	v_mad_i64_i32 v[2:3], s[18:19], v2, 36, v[52:53]
	global_load_dword v2, v[2:3], off offset:4
	s_waitcnt vmcnt(0)
	ds_write_b32 v41, v2
.LBB188_15:                             ;   in Loop: Header=BB188_5 Depth=1
	s_or_b64 exec, exec, s[2:3]
	s_and_saveexec_b64 s[18:19], vcc
	s_cbranch_execz .LBB188_18
; %bb.16:                               ;   in Loop: Header=BB188_5 Depth=1
	v_or_b32_e32 v2, 4, v102
	v_cmp_gt_i32_e64 s[2:3], s8, v2
	s_and_b64 s[2:3], s[0:1], s[2:3]
	s_and_b64 exec, exec, s[2:3]
	s_cbranch_execz .LBB188_18
; %bb.17:                               ;   in Loop: Header=BB188_5 Depth=1
	v_ashrrev_i32_e32 v103, 31, v102
	v_lshl_add_u64 v[2:3], v[54:55], 0, v[102:103]
	v_mad_u64_u32 v[4:5], s[2:3], v2, 36, s[14:15]
	v_mad_i32_i24 v5, v3, 36, v5
	global_load_dword v2, v[4:5], off offset:144
	s_waitcnt vmcnt(0)
	v_cvt_f32_f16_e32 v2, v2
	ds_write_b32 v61, v2
.LBB188_18:                             ;   in Loop: Header=BB188_5 Depth=1
	s_or_b64 exec, exec, s[18:19]
	s_mov_b32 s2, 8
	v_mov_b32_e32 v89, v15
	v_mov_b32_e32 v91, v59
	s_waitcnt lgkmcnt(0)
	s_barrier
.LBB188_19:                             ;   Parent Loop BB188_5 Depth=1
                                        ; =>  This Inner Loop Header: Depth=2
	s_and_b32 s19, s2, 0x3ffffff8
	v_lshl_add_u32 v93, s19, 2, v49
	ds_read_b32 v104, v91
	ds_read_b128 v[6:9], v89
	ds_read_b128 v[2:5], v89 offset:16
	ds_read2_b32 v[106:107], v93 offset1:1
	s_lshr_b32 s19, s2, 2
	s_and_b32 s19, s19, 0x3ffffffc
	s_addk_i32 s19, 0x5280
	s_add_i32 s3, s2, -8
	v_add3_u32 v109, s19, v83, v51
	s_and_b32 s18, s2, -16
	ds_read_b32 v109, v109
	s_waitcnt lgkmcnt(1)
	v_ashrrev_i32_e32 v95, s3, v106
	v_and_b32_e32 v95, 0x3030303, v95
	v_ashrrev_i32_e32 v97, s3, v107
	ds_read2_b32 v[106:107], v93 offset0:2 offset1:3
	s_add_i32 s18, s2, s18
	v_mov_b32_e32 v110, 0
	v_and_b32_e32 v97, 0x3030303, v97
	v_add_u32_e32 v108, s18, v17
	v_dot4c_i32_i8_e32 v110, v95, v6
	v_dot4c_i32_i8_e32 v110, v97, v7
	ds_read_u16 v97, v108 offset:16896
	s_waitcnt lgkmcnt(1)
	v_ashrrev_i32_e32 v99, s3, v106
	v_and_b32_e32 v99, 0x3030303, v99
	v_ashrrev_i32_e32 v101, s3, v107
	ds_read2_b32 v[106:107], v93 offset0:4 offset1:5
	v_and_b32_e32 v101, 0x3030303, v101
	v_dot4c_i32_i8_e32 v110, v99, v8
	s_waitcnt lgkmcnt(1)
	v_bfe_u32 v99, v97, 4, 4
	v_dot4c_i32_i8_e32 v110, v101, v9
	v_mul_lo_u32 v99, v99, s23
	v_mov_b32_e32 v101, 0
	v_dot4c_i32_i8_e32 v101, v99, v6
	v_dot4c_i32_i8_e32 v101, v99, v7
	v_add3_u32 v111, s19, v63, v65
	v_dot4c_i32_i8_e32 v101, v99, v8
	ds_read_b32 v111, v111
	s_waitcnt lgkmcnt(1)
	v_ashrrev_i32_e32 v103, s3, v106
	v_ashrrev_i32_e32 v105, s3, v107
	ds_read2_b32 v[106:107], v93 offset0:6 offset1:7
	v_dot4c_i32_i8_e32 v101, v99, v9
	v_lshrrev_b32_sdwa v99, v85, v97 dst_sel:DWORD dst_unused:UNUSED_PAD src0_sel:DWORD src1_sel:BYTE_1
	v_mul_lo_u32 v99, v99, s23
	v_dot4c_i32_i8_e32 v101, v99, v2
	v_and_b32_e32 v103, 0x3030303, v103
	v_mov_b32_e32 v95, 0
	v_dot4c_i32_i8_e32 v101, v99, v3
	v_and_b32_e32 v105, 0x3030303, v105
	s_waitcnt lgkmcnt(0)
	v_ashrrev_i32_e32 v106, s3, v106
	v_dot4c_i32_i8_e32 v95, v103, v2
	v_dot4c_i32_i8_e32 v101, v99, v4
	v_and_b32_e32 v106, 0x3030303, v106
	v_ashrrev_i32_e32 v107, s3, v107
	v_dot4c_i32_i8_e32 v95, v105, v3
	v_dot4c_i32_i8_e32 v101, v99, v5
	v_and_b32_e32 v99, 15, v97
	v_and_b32_e32 v107, 0x3030303, v107
	v_dot4c_i32_i8_e32 v95, v106, v4
	v_and_b32_sdwa v97, v97, v87 dst_sel:DWORD dst_unused:UNUSED_PAD src0_sel:BYTE_1 src1_sel:DWORD
	v_and_b32_e32 v99, 0xffff, v99
	v_dot4c_i32_i8_e32 v95, v107, v5
	v_and_b32_e32 v97, 0xffff, v97
	v_mul_lo_u32 v106, v110, v99
	v_cvt_f32_f16_e32 v108, v109
	v_mad_u64_u32 v[106:107], s[26:27], v95, v97, v[106:107]
	v_cvt_f32_f16_sdwa v109, v109 dst_sel:DWORD dst_unused:UNUSED_PAD src0_sel:WORD_1
	v_cvt_f32_i32_e32 v106, v106
	v_cvt_f32_i32_e32 v107, v101
	v_add_u32_e32 v95, 0x1080, v93
	v_add_u32_e32 v99, 0x1088, v93
	v_mov_b32_e32 v112, 0
	v_pk_mul_f32 v[106:107], v[108:109], v[106:107]
	ds_read2_b32 v[108:109], v95 offset1:1
	v_add_u32_e32 v110, s18, v19
	v_add_u32_e32 v103, 0x1090, v93
	;; [unrolled: 1-line block ×4, first 2 shown]
	s_waitcnt lgkmcnt(0)
	v_ashrrev_i32_e32 v95, s3, v108
	v_and_b32_e32 v95, 0x3030303, v95
	v_ashrrev_i32_e32 v97, s3, v109
	ds_read2_b32 v[108:109], v99 offset1:1
	v_and_b32_e32 v97, 0x3030303, v97
	v_dot4c_i32_i8_e32 v112, v95, v6
	v_dot4c_i32_i8_e32 v112, v97, v7
	ds_read_u16 v97, v110 offset:17920
	s_waitcnt lgkmcnt(1)
	v_ashrrev_i32_e32 v99, s3, v108
	v_ashrrev_i32_e32 v101, s3, v109
	ds_read2_b32 v[108:109], v103 offset1:1
	v_and_b32_e32 v99, 0x3030303, v99
	v_and_b32_e32 v101, 0x3030303, v101
	v_dot4c_i32_i8_e32 v112, v99, v8
	s_waitcnt lgkmcnt(1)
	v_bfe_u32 v99, v97, 4, 4
	v_dot4c_i32_i8_e32 v112, v101, v9
	v_mul_lo_u32 v99, v99, s23
	v_mov_b32_e32 v101, 0
	v_dot4c_i32_i8_e32 v101, v99, v6
	s_waitcnt lgkmcnt(0)
	v_ashrrev_i32_e32 v103, s3, v108
	v_add_u32_e32 v108, 0x1098, v93
	v_dot4c_i32_i8_e32 v101, v99, v7
	v_ashrrev_i32_e32 v105, s3, v109
	ds_read2_b32 v[108:109], v108 offset1:1
	v_dot4c_i32_i8_e32 v101, v99, v8
	v_dot4c_i32_i8_e32 v101, v99, v9
	v_lshrrev_b32_sdwa v99, v85, v97 dst_sel:DWORD dst_unused:UNUSED_PAD src0_sel:DWORD src1_sel:BYTE_1
	v_mul_lo_u32 v99, v99, s23
	v_dot4c_i32_i8_e32 v101, v99, v2
	v_and_b32_e32 v103, 0x3030303, v103
	v_mov_b32_e32 v95, 0
	v_dot4c_i32_i8_e32 v101, v99, v3
	v_and_b32_e32 v105, 0x3030303, v105
	s_waitcnt lgkmcnt(0)
	v_ashrrev_i32_e32 v108, s3, v108
	v_dot4c_i32_i8_e32 v95, v103, v2
	v_dot4c_i32_i8_e32 v101, v99, v4
	v_and_b32_e32 v108, 0x3030303, v108
	v_ashrrev_i32_e32 v109, s3, v109
	v_dot4c_i32_i8_e32 v95, v105, v3
	v_dot4c_i32_i8_e32 v101, v99, v5
	v_and_b32_e32 v99, 15, v97
	v_and_b32_e32 v109, 0x3030303, v109
	v_dot4c_i32_i8_e32 v95, v108, v4
	v_and_b32_sdwa v97, v97, v87 dst_sel:DWORD dst_unused:UNUSED_PAD src0_sel:BYTE_1 src1_sel:DWORD
	v_and_b32_e32 v99, 0xffff, v99
	v_dot4c_i32_i8_e32 v95, v109, v5
	v_and_b32_e32 v97, 0xffff, v97
	v_mul_lo_u32 v108, v112, v99
	v_mov_b32_e32 v110, v107
	v_mad_u64_u32 v[108:109], s[26:27], v95, v97, v[108:109]
	v_cvt_f32_f16_e32 v95, v111
	v_cvt_f32_i32_e32 v99, v108
	v_cvt_f32_f16_sdwa v97, v111 dst_sel:DWORD dst_unused:UNUSED_PAD src0_sel:WORD_1
	v_mov_b32_e32 v108, v106
	v_add_u32_e32 v103, 0x2110, v93
	v_mul_f32_e32 v109, v95, v99
	v_cvt_f32_i32_e32 v95, v101
	v_add_u32_e32 v99, 0x2108, v93
	v_mul_f32_e32 v111, v97, v95
	v_pk_add_f32 v[106:107], v[108:109], v[110:111] neg_lo:[0,1] neg_hi:[0,1]
	v_add_u32_e32 v95, 0x2100, v93
	v_pk_fma_f32 v[36:37], v[104:105], v[106:107], v[36:37] op_sel_hi:[0,1,1]
	ds_read2_b32 v[106:107], v95 offset1:1
	v_add3_u32 v109, s19, v67, v69
	ds_read_b32 v109, v109
	v_mov_b32_e32 v110, 0
	v_add_u32_e32 v108, s18, v21
	s_waitcnt lgkmcnt(1)
	v_ashrrev_i32_e32 v95, s3, v106
	v_and_b32_e32 v95, 0x3030303, v95
	v_ashrrev_i32_e32 v97, s3, v107
	ds_read2_b32 v[106:107], v99 offset1:1
	v_and_b32_e32 v97, 0x3030303, v97
	v_dot4c_i32_i8_e32 v110, v95, v6
	v_dot4c_i32_i8_e32 v110, v97, v7
	ds_read_u16 v97, v108 offset:18944
	s_waitcnt lgkmcnt(1)
	v_ashrrev_i32_e32 v99, s3, v106
	v_ashrrev_i32_e32 v101, s3, v107
	ds_read2_b32 v[106:107], v103 offset1:1
	v_and_b32_e32 v99, 0x3030303, v99
	v_and_b32_e32 v101, 0x3030303, v101
	v_dot4c_i32_i8_e32 v110, v99, v8
	s_waitcnt lgkmcnt(1)
	v_bfe_u32 v99, v97, 4, 4
	v_dot4c_i32_i8_e32 v110, v101, v9
	v_mul_lo_u32 v99, v99, s23
	v_mov_b32_e32 v101, 0
	v_dot4c_i32_i8_e32 v101, v99, v6
	s_waitcnt lgkmcnt(0)
	v_ashrrev_i32_e32 v103, s3, v106
	v_add_u32_e32 v106, 0x2118, v93
	v_dot4c_i32_i8_e32 v101, v99, v7
	v_ashrrev_i32_e32 v105, s3, v107
	ds_read2_b32 v[106:107], v106 offset1:1
	v_dot4c_i32_i8_e32 v101, v99, v8
	v_dot4c_i32_i8_e32 v101, v99, v9
	v_lshrrev_b32_sdwa v99, v85, v97 dst_sel:DWORD dst_unused:UNUSED_PAD src0_sel:DWORD src1_sel:BYTE_1
	v_mul_lo_u32 v99, v99, s23
	v_dot4c_i32_i8_e32 v101, v99, v2
	v_and_b32_e32 v103, 0x3030303, v103
	v_mov_b32_e32 v95, 0
	v_dot4c_i32_i8_e32 v101, v99, v3
	v_and_b32_e32 v105, 0x3030303, v105
	s_waitcnt lgkmcnt(0)
	v_ashrrev_i32_e32 v106, s3, v106
	v_dot4c_i32_i8_e32 v95, v103, v2
	v_dot4c_i32_i8_e32 v101, v99, v4
	v_and_b32_e32 v106, 0x3030303, v106
	v_ashrrev_i32_e32 v107, s3, v107
	v_dot4c_i32_i8_e32 v95, v105, v3
	v_dot4c_i32_i8_e32 v101, v99, v5
	v_and_b32_e32 v99, 15, v97
	v_and_b32_e32 v107, 0x3030303, v107
	v_dot4c_i32_i8_e32 v95, v106, v4
	v_and_b32_sdwa v97, v97, v87 dst_sel:DWORD dst_unused:UNUSED_PAD src0_sel:BYTE_1 src1_sel:DWORD
	v_and_b32_e32 v99, 0xffff, v99
	v_dot4c_i32_i8_e32 v95, v107, v5
	v_and_b32_e32 v97, 0xffff, v97
	v_mul_lo_u32 v106, v110, v99
	v_cvt_f32_f16_e32 v108, v109
	v_mad_u64_u32 v[106:107], s[26:27], v95, v97, v[106:107]
	v_cvt_f32_f16_sdwa v109, v109 dst_sel:DWORD dst_unused:UNUSED_PAD src0_sel:WORD_1
	v_cvt_f32_i32_e32 v106, v106
	v_cvt_f32_i32_e32 v107, v101
	v_add_u32_e32 v95, 0x3180, v93
	v_add_u32_e32 v99, 0x3188, v93
	;; [unrolled: 1-line block ×3, first 2 shown]
	v_pk_mul_f32 v[106:107], v[108:109], v[106:107]
	ds_read2_b32 v[108:109], v95 offset1:1
	v_add_u32_e32 v93, 0x3198, v93
	v_mov_b32_e32 v111, 0
	v_add3_u32 v110, s19, v71, v73
	ds_read_b32 v110, v110
	s_waitcnt lgkmcnt(1)
	v_ashrrev_i32_e32 v95, s3, v108
	v_ashrrev_i32_e32 v97, s3, v109
	ds_read2_b32 v[108:109], v99 offset1:1
	v_and_b32_e32 v95, 0x3030303, v95
	v_dot4c_i32_i8_e32 v111, v95, v6
	v_mov_b32_e32 v95, 0
	v_and_b32_e32 v97, 0x3030303, v97
	s_waitcnt lgkmcnt(0)
	v_ashrrev_i32_e32 v99, s3, v108
	v_ashrrev_i32_e32 v101, s3, v109
	ds_read2_b32 v[108:109], v103 offset1:1
	v_and_b32_e32 v99, 0x3030303, v99
	v_dot4c_i32_i8_e32 v111, v97, v7
	v_dot4c_i32_i8_e32 v111, v99, v8
	v_mov_b32_e32 v99, 0
	s_waitcnt lgkmcnt(0)
	v_ashrrev_i32_e32 v103, s3, v108
	v_ashrrev_i32_e32 v105, s3, v109
	ds_read2_b32 v[108:109], v93 offset1:1
	v_and_b32_e32 v103, 0x3030303, v103
	v_and_b32_e32 v105, 0x3030303, v105
	v_dot4c_i32_i8_e32 v95, v103, v2
	v_dot4c_i32_i8_e32 v95, v105, v3
	s_waitcnt lgkmcnt(0)
	v_ashrrev_i32_e32 v93, s3, v108
	v_and_b32_e32 v93, 0x3030303, v93
	v_ashrrev_i32_e32 v108, s3, v109
	v_add_u32_e32 v109, s18, v23
	v_dot4c_i32_i8_e32 v95, v93, v4
	ds_read_u16 v93, v109 offset:19968
	v_and_b32_e32 v101, 0x3030303, v101
	v_and_b32_e32 v108, 0x3030303, v108
	v_dot4c_i32_i8_e32 v111, v101, v9
	v_dot4c_i32_i8_e32 v95, v108, v5
	s_waitcnt lgkmcnt(0)
	v_bfe_u32 v97, v93, 4, 4
	v_mul_lo_u32 v97, v97, s23
	v_dot4c_i32_i8_e32 v99, v97, v6
	v_dot4c_i32_i8_e32 v99, v97, v7
	;; [unrolled: 1-line block ×3, first 2 shown]
	v_lshrrev_b32_sdwa v6, v85, v93 dst_sel:DWORD dst_unused:UNUSED_PAD src0_sel:DWORD src1_sel:BYTE_1
	v_dot4c_i32_i8_e32 v99, v97, v9
	v_mul_lo_u32 v6, v6, s23
	v_dot4c_i32_i8_e32 v99, v6, v2
	v_and_b32_e32 v2, 15, v93
	v_dot4c_i32_i8_e32 v99, v6, v3
	v_and_b32_sdwa v3, v93, v87 dst_sel:DWORD dst_unused:UNUSED_PAD src0_sel:BYTE_1 src1_sel:DWORD
	v_and_b32_e32 v2, 0xffff, v2
	v_dot4c_i32_i8_e32 v99, v6, v4
	v_and_b32_e32 v3, 0xffff, v3
	v_mul_lo_u32 v2, v111, v2
	v_dot4c_i32_i8_e32 v99, v6, v5
	v_mad_u64_u32 v[2:3], s[18:19], v95, v3, v[2:3]
	v_cvt_f32_f16_e32 v4, v110
	v_cvt_f32_f16_sdwa v5, v110 dst_sel:DWORD dst_unused:UNUSED_PAD src0_sel:WORD_1
	v_cvt_f32_i32_e32 v2, v2
	v_cvt_f32_i32_e32 v3, v99
	s_add_i32 s3, s2, 2
	s_cmp_lt_u32 s2, 14
	s_mov_b32 s2, s3
	v_pk_mul_f32 v[2:3], v[4:5], v[2:3]
	v_mov_b32_e32 v4, v106
	v_mov_b32_e32 v5, v2
	;; [unrolled: 1-line block ×3, first 2 shown]
	v_pk_add_f32 v[2:3], v[4:5], v[2:3] neg_lo:[0,1] neg_hi:[0,1]
	s_nop 0
	v_pk_fma_f32 v[34:35], v[104:105], v[2:3], v[34:35] op_sel_hi:[0,1,1]
	s_cbranch_scc1 .LBB188_19
; %bb.20:                               ;   in Loop: Header=BB188_5 Depth=1
	s_or_b32 s2, s24, 0x100
	s_cmp_ge_i32 s2, s5
	s_barrier
	s_cbranch_scc1 .LBB188_4
; %bb.21:                               ;   in Loop: Header=BB188_5 Depth=1
	v_add_u32_e32 v2, s25, v45
	v_cmp_gt_i32_e64 s[2:3], s8, v2
	s_and_b64 s[18:19], s[0:1], s[2:3]
	s_and_saveexec_b64 s[2:3], s[18:19]
	s_cbranch_execz .LBB188_23
; %bb.22:                               ;   in Loop: Header=BB188_5 Depth=1
	v_add_u32_e32 v2, v54, v2
	v_mad_i64_i32 v[2:3], s[18:19], v2, 36, v[52:53]
	global_load_dword v2, v[2:3], off offset:4
	s_waitcnt vmcnt(0)
	ds_write_b32 v41, v2
.LBB188_23:                             ;   in Loop: Header=BB188_5 Depth=1
	s_or_b64 exec, exec, s[2:3]
	s_and_saveexec_b64 s[18:19], vcc
	s_cbranch_execz .LBB188_26
; %bb.24:                               ;   in Loop: Header=BB188_5 Depth=1
	v_or_b32_e32 v2, 8, v102
	v_cmp_gt_i32_e64 s[2:3], s8, v2
	s_and_b64 s[2:3], s[0:1], s[2:3]
	s_and_b64 exec, exec, s[2:3]
	s_cbranch_execz .LBB188_26
; %bb.25:                               ;   in Loop: Header=BB188_5 Depth=1
	v_ashrrev_i32_e32 v103, 31, v102
	v_lshl_add_u64 v[2:3], v[54:55], 0, v[102:103]
	v_mad_u64_u32 v[4:5], s[2:3], v2, 36, s[14:15]
	v_mad_i32_i24 v5, v3, 36, v5
	global_load_dword v2, v[4:5], off offset:288
	s_waitcnt vmcnt(0)
	v_cvt_f32_f16_e32 v2, v2
	ds_write_b32 v61, v2
.LBB188_26:                             ;   in Loop: Header=BB188_5 Depth=1
	s_or_b64 exec, exec, s[18:19]
	s_mov_b32 s2, 16
	v_mov_b32_e32 v89, v15
	v_mov_b32_e32 v91, v59
	s_waitcnt lgkmcnt(0)
	s_barrier
.LBB188_27:                             ;   Parent Loop BB188_5 Depth=1
                                        ; =>  This Inner Loop Header: Depth=2
	s_and_b32 s19, s2, 0x3ffffff8
	v_lshl_add_u32 v93, s19, 2, v49
	ds_read_b32 v104, v91
	ds_read_b128 v[6:9], v89
	ds_read_b128 v[2:5], v89 offset:16
	ds_read2_b32 v[106:107], v93 offset1:1
	s_lshr_b32 s19, s2, 2
	s_and_b32 s19, s19, 0x3ffffffc
	s_addk_i32 s19, 0x5280
	s_add_i32 s3, s2, -16
	v_add3_u32 v109, s19, v83, v51
	s_and_b32 s18, s2, -16
	ds_read_b32 v109, v109
	s_waitcnt lgkmcnt(1)
	v_ashrrev_i32_e32 v95, s3, v106
	v_and_b32_e32 v95, 0x3030303, v95
	v_ashrrev_i32_e32 v97, s3, v107
	ds_read2_b32 v[106:107], v93 offset0:2 offset1:3
	s_add_i32 s18, s2, s18
	v_mov_b32_e32 v110, 0
	v_and_b32_e32 v97, 0x3030303, v97
	v_add_u32_e32 v108, s18, v17
	v_dot4c_i32_i8_e32 v110, v95, v6
	v_dot4c_i32_i8_e32 v110, v97, v7
	ds_read_u16 v97, v108 offset:16880
	s_waitcnt lgkmcnt(1)
	v_ashrrev_i32_e32 v99, s3, v106
	v_and_b32_e32 v99, 0x3030303, v99
	v_ashrrev_i32_e32 v101, s3, v107
	ds_read2_b32 v[106:107], v93 offset0:4 offset1:5
	v_and_b32_e32 v101, 0x3030303, v101
	v_dot4c_i32_i8_e32 v110, v99, v8
	s_waitcnt lgkmcnt(1)
	v_bfe_u32 v99, v97, 4, 4
	v_dot4c_i32_i8_e32 v110, v101, v9
	v_mul_lo_u32 v99, v99, s23
	v_mov_b32_e32 v101, 0
	v_dot4c_i32_i8_e32 v101, v99, v6
	v_dot4c_i32_i8_e32 v101, v99, v7
	v_add3_u32 v111, s19, v63, v65
	v_dot4c_i32_i8_e32 v101, v99, v8
	ds_read_b32 v111, v111
	s_waitcnt lgkmcnt(1)
	v_ashrrev_i32_e32 v103, s3, v106
	v_ashrrev_i32_e32 v105, s3, v107
	ds_read2_b32 v[106:107], v93 offset0:6 offset1:7
	v_dot4c_i32_i8_e32 v101, v99, v9
	v_lshrrev_b32_sdwa v99, v85, v97 dst_sel:DWORD dst_unused:UNUSED_PAD src0_sel:DWORD src1_sel:BYTE_1
	v_mul_lo_u32 v99, v99, s23
	v_dot4c_i32_i8_e32 v101, v99, v2
	v_and_b32_e32 v103, 0x3030303, v103
	v_mov_b32_e32 v95, 0
	v_dot4c_i32_i8_e32 v101, v99, v3
	v_and_b32_e32 v105, 0x3030303, v105
	s_waitcnt lgkmcnt(0)
	v_ashrrev_i32_e32 v106, s3, v106
	v_dot4c_i32_i8_e32 v95, v103, v2
	v_dot4c_i32_i8_e32 v101, v99, v4
	v_and_b32_e32 v106, 0x3030303, v106
	v_ashrrev_i32_e32 v107, s3, v107
	v_dot4c_i32_i8_e32 v95, v105, v3
	v_dot4c_i32_i8_e32 v101, v99, v5
	v_and_b32_e32 v99, 15, v97
	v_and_b32_e32 v107, 0x3030303, v107
	v_dot4c_i32_i8_e32 v95, v106, v4
	v_and_b32_sdwa v97, v97, v87 dst_sel:DWORD dst_unused:UNUSED_PAD src0_sel:BYTE_1 src1_sel:DWORD
	v_and_b32_e32 v99, 0xffff, v99
	v_dot4c_i32_i8_e32 v95, v107, v5
	v_and_b32_e32 v97, 0xffff, v97
	v_mul_lo_u32 v106, v110, v99
	v_cvt_f32_f16_e32 v108, v109
	v_mad_u64_u32 v[106:107], s[26:27], v95, v97, v[106:107]
	v_cvt_f32_f16_sdwa v109, v109 dst_sel:DWORD dst_unused:UNUSED_PAD src0_sel:WORD_1
	v_cvt_f32_i32_e32 v106, v106
	v_cvt_f32_i32_e32 v107, v101
	v_add_u32_e32 v95, 0x1080, v93
	v_add_u32_e32 v99, 0x1088, v93
	v_mov_b32_e32 v112, 0
	v_pk_mul_f32 v[106:107], v[108:109], v[106:107]
	ds_read2_b32 v[108:109], v95 offset1:1
	v_add_u32_e32 v110, s18, v19
	v_add_u32_e32 v103, 0x1090, v93
	;; [unrolled: 1-line block ×4, first 2 shown]
	s_waitcnt lgkmcnt(0)
	v_ashrrev_i32_e32 v95, s3, v108
	v_and_b32_e32 v95, 0x3030303, v95
	v_ashrrev_i32_e32 v97, s3, v109
	ds_read2_b32 v[108:109], v99 offset1:1
	v_and_b32_e32 v97, 0x3030303, v97
	v_dot4c_i32_i8_e32 v112, v95, v6
	v_dot4c_i32_i8_e32 v112, v97, v7
	ds_read_u16 v97, v110 offset:17904
	s_waitcnt lgkmcnt(1)
	v_ashrrev_i32_e32 v99, s3, v108
	v_ashrrev_i32_e32 v101, s3, v109
	ds_read2_b32 v[108:109], v103 offset1:1
	v_and_b32_e32 v99, 0x3030303, v99
	v_and_b32_e32 v101, 0x3030303, v101
	v_dot4c_i32_i8_e32 v112, v99, v8
	s_waitcnt lgkmcnt(1)
	v_bfe_u32 v99, v97, 4, 4
	v_dot4c_i32_i8_e32 v112, v101, v9
	v_mul_lo_u32 v99, v99, s23
	v_mov_b32_e32 v101, 0
	v_dot4c_i32_i8_e32 v101, v99, v6
	s_waitcnt lgkmcnt(0)
	v_ashrrev_i32_e32 v103, s3, v108
	v_add_u32_e32 v108, 0x1098, v93
	v_dot4c_i32_i8_e32 v101, v99, v7
	v_ashrrev_i32_e32 v105, s3, v109
	ds_read2_b32 v[108:109], v108 offset1:1
	v_dot4c_i32_i8_e32 v101, v99, v8
	v_dot4c_i32_i8_e32 v101, v99, v9
	v_lshrrev_b32_sdwa v99, v85, v97 dst_sel:DWORD dst_unused:UNUSED_PAD src0_sel:DWORD src1_sel:BYTE_1
	v_mul_lo_u32 v99, v99, s23
	v_dot4c_i32_i8_e32 v101, v99, v2
	v_and_b32_e32 v103, 0x3030303, v103
	v_mov_b32_e32 v95, 0
	v_dot4c_i32_i8_e32 v101, v99, v3
	v_and_b32_e32 v105, 0x3030303, v105
	s_waitcnt lgkmcnt(0)
	v_ashrrev_i32_e32 v108, s3, v108
	v_dot4c_i32_i8_e32 v95, v103, v2
	v_dot4c_i32_i8_e32 v101, v99, v4
	v_and_b32_e32 v108, 0x3030303, v108
	v_ashrrev_i32_e32 v109, s3, v109
	v_dot4c_i32_i8_e32 v95, v105, v3
	v_dot4c_i32_i8_e32 v101, v99, v5
	v_and_b32_e32 v99, 15, v97
	v_and_b32_e32 v109, 0x3030303, v109
	v_dot4c_i32_i8_e32 v95, v108, v4
	v_and_b32_sdwa v97, v97, v87 dst_sel:DWORD dst_unused:UNUSED_PAD src0_sel:BYTE_1 src1_sel:DWORD
	v_and_b32_e32 v99, 0xffff, v99
	v_dot4c_i32_i8_e32 v95, v109, v5
	v_and_b32_e32 v97, 0xffff, v97
	v_mul_lo_u32 v108, v112, v99
	v_mov_b32_e32 v110, v107
	v_mad_u64_u32 v[108:109], s[26:27], v95, v97, v[108:109]
	v_cvt_f32_f16_e32 v95, v111
	v_cvt_f32_i32_e32 v99, v108
	v_cvt_f32_f16_sdwa v97, v111 dst_sel:DWORD dst_unused:UNUSED_PAD src0_sel:WORD_1
	v_mov_b32_e32 v108, v106
	v_add_u32_e32 v103, 0x2110, v93
	v_mul_f32_e32 v109, v95, v99
	v_cvt_f32_i32_e32 v95, v101
	v_add_u32_e32 v99, 0x2108, v93
	v_mul_f32_e32 v111, v97, v95
	v_pk_add_f32 v[106:107], v[108:109], v[110:111] neg_lo:[0,1] neg_hi:[0,1]
	v_add_u32_e32 v95, 0x2100, v93
	v_pk_fma_f32 v[36:37], v[104:105], v[106:107], v[36:37] op_sel_hi:[0,1,1]
	ds_read2_b32 v[106:107], v95 offset1:1
	v_add3_u32 v109, s19, v67, v69
	ds_read_b32 v109, v109
	v_mov_b32_e32 v110, 0
	v_add_u32_e32 v108, s18, v21
	s_waitcnt lgkmcnt(1)
	v_ashrrev_i32_e32 v95, s3, v106
	v_and_b32_e32 v95, 0x3030303, v95
	v_ashrrev_i32_e32 v97, s3, v107
	ds_read2_b32 v[106:107], v99 offset1:1
	v_and_b32_e32 v97, 0x3030303, v97
	v_dot4c_i32_i8_e32 v110, v95, v6
	v_dot4c_i32_i8_e32 v110, v97, v7
	ds_read_u16 v97, v108 offset:18928
	s_waitcnt lgkmcnt(1)
	v_ashrrev_i32_e32 v99, s3, v106
	v_ashrrev_i32_e32 v101, s3, v107
	ds_read2_b32 v[106:107], v103 offset1:1
	v_and_b32_e32 v99, 0x3030303, v99
	v_and_b32_e32 v101, 0x3030303, v101
	v_dot4c_i32_i8_e32 v110, v99, v8
	s_waitcnt lgkmcnt(1)
	v_bfe_u32 v99, v97, 4, 4
	v_dot4c_i32_i8_e32 v110, v101, v9
	v_mul_lo_u32 v99, v99, s23
	v_mov_b32_e32 v101, 0
	v_dot4c_i32_i8_e32 v101, v99, v6
	s_waitcnt lgkmcnt(0)
	v_ashrrev_i32_e32 v103, s3, v106
	v_add_u32_e32 v106, 0x2118, v93
	v_dot4c_i32_i8_e32 v101, v99, v7
	v_ashrrev_i32_e32 v105, s3, v107
	ds_read2_b32 v[106:107], v106 offset1:1
	v_dot4c_i32_i8_e32 v101, v99, v8
	v_dot4c_i32_i8_e32 v101, v99, v9
	v_lshrrev_b32_sdwa v99, v85, v97 dst_sel:DWORD dst_unused:UNUSED_PAD src0_sel:DWORD src1_sel:BYTE_1
	v_mul_lo_u32 v99, v99, s23
	v_dot4c_i32_i8_e32 v101, v99, v2
	v_and_b32_e32 v103, 0x3030303, v103
	v_mov_b32_e32 v95, 0
	v_dot4c_i32_i8_e32 v101, v99, v3
	v_and_b32_e32 v105, 0x3030303, v105
	s_waitcnt lgkmcnt(0)
	v_ashrrev_i32_e32 v106, s3, v106
	v_dot4c_i32_i8_e32 v95, v103, v2
	v_dot4c_i32_i8_e32 v101, v99, v4
	v_and_b32_e32 v106, 0x3030303, v106
	v_ashrrev_i32_e32 v107, s3, v107
	v_dot4c_i32_i8_e32 v95, v105, v3
	v_dot4c_i32_i8_e32 v101, v99, v5
	v_and_b32_e32 v99, 15, v97
	v_and_b32_e32 v107, 0x3030303, v107
	v_dot4c_i32_i8_e32 v95, v106, v4
	v_and_b32_sdwa v97, v97, v87 dst_sel:DWORD dst_unused:UNUSED_PAD src0_sel:BYTE_1 src1_sel:DWORD
	v_and_b32_e32 v99, 0xffff, v99
	v_dot4c_i32_i8_e32 v95, v107, v5
	v_and_b32_e32 v97, 0xffff, v97
	v_mul_lo_u32 v106, v110, v99
	v_cvt_f32_f16_e32 v108, v109
	v_mad_u64_u32 v[106:107], s[26:27], v95, v97, v[106:107]
	v_cvt_f32_f16_sdwa v109, v109 dst_sel:DWORD dst_unused:UNUSED_PAD src0_sel:WORD_1
	v_cvt_f32_i32_e32 v106, v106
	v_cvt_f32_i32_e32 v107, v101
	v_add_u32_e32 v95, 0x3180, v93
	v_add_u32_e32 v99, 0x3188, v93
	;; [unrolled: 1-line block ×3, first 2 shown]
	v_pk_mul_f32 v[106:107], v[108:109], v[106:107]
	ds_read2_b32 v[108:109], v95 offset1:1
	v_add_u32_e32 v93, 0x3198, v93
	v_mov_b32_e32 v111, 0
	v_add3_u32 v110, s19, v71, v73
	ds_read_b32 v110, v110
	s_waitcnt lgkmcnt(1)
	v_ashrrev_i32_e32 v95, s3, v108
	v_ashrrev_i32_e32 v97, s3, v109
	ds_read2_b32 v[108:109], v99 offset1:1
	v_and_b32_e32 v95, 0x3030303, v95
	v_dot4c_i32_i8_e32 v111, v95, v6
	v_mov_b32_e32 v95, 0
	v_and_b32_e32 v97, 0x3030303, v97
	s_waitcnt lgkmcnt(0)
	v_ashrrev_i32_e32 v99, s3, v108
	v_ashrrev_i32_e32 v101, s3, v109
	ds_read2_b32 v[108:109], v103 offset1:1
	v_and_b32_e32 v99, 0x3030303, v99
	v_dot4c_i32_i8_e32 v111, v97, v7
	v_dot4c_i32_i8_e32 v111, v99, v8
	v_mov_b32_e32 v99, 0
	s_waitcnt lgkmcnt(0)
	v_ashrrev_i32_e32 v103, s3, v108
	v_ashrrev_i32_e32 v105, s3, v109
	ds_read2_b32 v[108:109], v93 offset1:1
	v_and_b32_e32 v103, 0x3030303, v103
	v_and_b32_e32 v105, 0x3030303, v105
	v_dot4c_i32_i8_e32 v95, v103, v2
	v_dot4c_i32_i8_e32 v95, v105, v3
	s_waitcnt lgkmcnt(0)
	v_ashrrev_i32_e32 v93, s3, v108
	v_and_b32_e32 v93, 0x3030303, v93
	v_ashrrev_i32_e32 v108, s3, v109
	v_add_u32_e32 v109, s18, v23
	v_dot4c_i32_i8_e32 v95, v93, v4
	ds_read_u16 v93, v109 offset:19952
	v_and_b32_e32 v101, 0x3030303, v101
	v_and_b32_e32 v108, 0x3030303, v108
	v_dot4c_i32_i8_e32 v111, v101, v9
	v_dot4c_i32_i8_e32 v95, v108, v5
	s_waitcnt lgkmcnt(0)
	v_bfe_u32 v97, v93, 4, 4
	v_mul_lo_u32 v97, v97, s23
	v_dot4c_i32_i8_e32 v99, v97, v6
	v_dot4c_i32_i8_e32 v99, v97, v7
	;; [unrolled: 1-line block ×3, first 2 shown]
	v_lshrrev_b32_sdwa v6, v85, v93 dst_sel:DWORD dst_unused:UNUSED_PAD src0_sel:DWORD src1_sel:BYTE_1
	v_dot4c_i32_i8_e32 v99, v97, v9
	v_mul_lo_u32 v6, v6, s23
	v_dot4c_i32_i8_e32 v99, v6, v2
	v_and_b32_e32 v2, 15, v93
	v_dot4c_i32_i8_e32 v99, v6, v3
	v_and_b32_sdwa v3, v93, v87 dst_sel:DWORD dst_unused:UNUSED_PAD src0_sel:BYTE_1 src1_sel:DWORD
	v_and_b32_e32 v2, 0xffff, v2
	v_dot4c_i32_i8_e32 v99, v6, v4
	v_and_b32_e32 v3, 0xffff, v3
	v_mul_lo_u32 v2, v111, v2
	v_dot4c_i32_i8_e32 v99, v6, v5
	v_mad_u64_u32 v[2:3], s[18:19], v95, v3, v[2:3]
	v_cvt_f32_f16_e32 v4, v110
	v_cvt_f32_f16_sdwa v5, v110 dst_sel:DWORD dst_unused:UNUSED_PAD src0_sel:WORD_1
	v_cvt_f32_i32_e32 v2, v2
	v_cvt_f32_i32_e32 v3, v99
	s_add_i32 s3, s2, 2
	s_cmp_lt_u32 s2, 22
	s_mov_b32 s2, s3
	v_pk_mul_f32 v[2:3], v[4:5], v[2:3]
	v_mov_b32_e32 v4, v106
	v_mov_b32_e32 v5, v2
	;; [unrolled: 1-line block ×3, first 2 shown]
	v_pk_add_f32 v[2:3], v[4:5], v[2:3] neg_lo:[0,1] neg_hi:[0,1]
	s_nop 0
	v_pk_fma_f32 v[34:35], v[104:105], v[2:3], v[34:35] op_sel_hi:[0,1,1]
	s_cbranch_scc1 .LBB188_27
; %bb.28:                               ;   in Loop: Header=BB188_5 Depth=1
	s_or_b32 s2, s24, 0x180
	s_cmp_ge_i32 s2, s5
	s_barrier
	s_cbranch_scc1 .LBB188_4
; %bb.29:                               ;   in Loop: Header=BB188_5 Depth=1
	v_add_u32_e32 v2, s25, v47
	v_cmp_gt_i32_e64 s[2:3], s8, v2
	s_and_b64 s[18:19], s[0:1], s[2:3]
	s_and_saveexec_b64 s[2:3], s[18:19]
	s_cbranch_execz .LBB188_31
; %bb.30:                               ;   in Loop: Header=BB188_5 Depth=1
	v_add_u32_e32 v2, v54, v2
	v_mad_i64_i32 v[2:3], s[18:19], v2, 36, v[52:53]
	global_load_dword v2, v[2:3], off offset:4
	s_waitcnt vmcnt(0)
	ds_write_b32 v41, v2
.LBB188_31:                             ;   in Loop: Header=BB188_5 Depth=1
	s_or_b64 exec, exec, s[2:3]
	s_and_saveexec_b64 s[18:19], vcc
	s_cbranch_execz .LBB188_34
; %bb.32:                               ;   in Loop: Header=BB188_5 Depth=1
	v_or_b32_e32 v2, 12, v102
	v_cmp_gt_i32_e64 s[2:3], s8, v2
	s_and_b64 s[2:3], s[0:1], s[2:3]
	s_and_b64 exec, exec, s[2:3]
	s_cbranch_execz .LBB188_34
; %bb.33:                               ;   in Loop: Header=BB188_5 Depth=1
	v_ashrrev_i32_e32 v103, 31, v102
	v_lshl_add_u64 v[2:3], v[54:55], 0, v[102:103]
	v_mad_u64_u32 v[4:5], s[2:3], v2, 36, s[14:15]
	v_mad_i32_i24 v5, v3, 36, v5
	global_load_dword v2, v[4:5], off offset:432
	s_waitcnt vmcnt(0)
	v_cvt_f32_f16_e32 v2, v2
	ds_write_b32 v61, v2
.LBB188_34:                             ;   in Loop: Header=BB188_5 Depth=1
	s_or_b64 exec, exec, s[18:19]
	s_mov_b32 s2, 24
	v_mov_b32_e32 v89, v15
	v_mov_b32_e32 v91, v59
	s_waitcnt lgkmcnt(0)
	s_barrier
.LBB188_35:                             ;   Parent Loop BB188_5 Depth=1
                                        ; =>  This Inner Loop Header: Depth=2
	s_and_b32 s19, s2, 0x3ffffff8
	v_lshl_add_u32 v93, s19, 2, v49
	ds_read_b32 v102, v91
	ds_read_b128 v[6:9], v89
	ds_read_b128 v[2:5], v89 offset:16
	ds_read2_b32 v[104:105], v93 offset1:1
	s_lshr_b32 s19, s2, 2
	s_and_b32 s19, s19, 0x3ffffffc
	s_addk_i32 s19, 0x5280
	s_sub_i32 s3, s2, 24
	v_add3_u32 v108, s19, v83, v51
	s_and_b32 s18, s2, -16
	ds_read_b32 v108, v108
	s_waitcnt lgkmcnt(1)
	v_ashrrev_i32_e32 v95, s3, v104
	v_and_b32_e32 v95, 0x3030303, v95
	v_ashrrev_i32_e32 v97, s3, v105
	ds_read2_b32 v[104:105], v93 offset0:2 offset1:3
	s_add_i32 s18, s2, s18
	v_mov_b32_e32 v109, 0
	v_and_b32_e32 v97, 0x3030303, v97
	v_add_u32_e32 v107, s18, v17
	v_dot4c_i32_i8_e32 v109, v95, v6
	v_dot4c_i32_i8_e32 v109, v97, v7
	ds_read_u16 v97, v107 offset:16880
	s_waitcnt lgkmcnt(1)
	v_ashrrev_i32_e32 v99, s3, v104
	v_ashrrev_i32_e32 v101, s3, v105
	ds_read2_b32 v[104:105], v93 offset0:4 offset1:5
	v_and_b32_e32 v99, 0x3030303, v99
	v_and_b32_e32 v101, 0x3030303, v101
	v_dot4c_i32_i8_e32 v109, v99, v8
	s_waitcnt lgkmcnt(1)
	v_bfe_u32 v99, v97, 4, 4
	v_dot4c_i32_i8_e32 v109, v101, v9
	v_mul_lo_u32 v99, v99, s23
	v_mov_b32_e32 v101, 0
	v_dot4c_i32_i8_e32 v101, v99, v6
	v_add3_u32 v110, s19, v63, v65
	v_dot4c_i32_i8_e32 v101, v99, v7
	ds_read_b32 v110, v110
	s_waitcnt lgkmcnt(1)
	v_ashrrev_i32_e32 v103, s3, v104
	v_ashrrev_i32_e32 v104, s3, v105
	v_and_b32_e32 v106, 0x3030303, v104
	ds_read2_b32 v[104:105], v93 offset0:6 offset1:7
	v_dot4c_i32_i8_e32 v101, v99, v8
	v_dot4c_i32_i8_e32 v101, v99, v9
	v_lshrrev_b32_sdwa v99, v85, v97 dst_sel:DWORD dst_unused:UNUSED_PAD src0_sel:DWORD src1_sel:BYTE_1
	v_mul_lo_u32 v99, v99, s23
	v_dot4c_i32_i8_e32 v101, v99, v2
	v_and_b32_e32 v103, 0x3030303, v103
	v_mov_b32_e32 v95, 0
	v_dot4c_i32_i8_e32 v101, v99, v3
	s_waitcnt lgkmcnt(0)
	v_ashrrev_i32_e32 v104, s3, v104
	v_dot4c_i32_i8_e32 v95, v103, v2
	v_dot4c_i32_i8_e32 v101, v99, v4
	v_and_b32_e32 v104, 0x3030303, v104
	v_ashrrev_i32_e32 v105, s3, v105
	v_dot4c_i32_i8_e32 v95, v106, v3
	v_dot4c_i32_i8_e32 v101, v99, v5
	v_and_b32_e32 v99, 15, v97
	v_and_b32_e32 v105, 0x3030303, v105
	v_dot4c_i32_i8_e32 v95, v104, v4
	v_and_b32_sdwa v97, v97, v87 dst_sel:DWORD dst_unused:UNUSED_PAD src0_sel:BYTE_1 src1_sel:DWORD
	v_and_b32_e32 v99, 0xffff, v99
	v_dot4c_i32_i8_e32 v95, v105, v5
	v_and_b32_e32 v97, 0xffff, v97
	v_mul_lo_u32 v104, v109, v99
	v_cvt_f32_f16_e32 v106, v108
	v_mad_u64_u32 v[104:105], s[24:25], v95, v97, v[104:105]
	v_cvt_f32_f16_sdwa v107, v108 dst_sel:DWORD dst_unused:UNUSED_PAD src0_sel:WORD_1
	v_cvt_f32_i32_e32 v104, v104
	v_cvt_f32_i32_e32 v105, v101
	v_add_u32_e32 v95, 0x1080, v93
	v_add_u32_e32 v99, 0x1088, v93
	v_mov_b32_e32 v111, 0
	v_pk_mul_f32 v[104:105], v[106:107], v[104:105]
	ds_read2_b32 v[106:107], v95 offset1:1
	v_add_u32_e32 v109, s18, v19
	v_add_u32_e32 v103, 0x1090, v93
	;; [unrolled: 1-line block ×4, first 2 shown]
	s_waitcnt lgkmcnt(0)
	v_ashrrev_i32_e32 v95, s3, v106
	v_ashrrev_i32_e32 v97, s3, v107
	ds_read2_b32 v[106:107], v99 offset1:1
	v_and_b32_e32 v95, 0x3030303, v95
	v_and_b32_e32 v97, 0x3030303, v97
	v_dot4c_i32_i8_e32 v111, v95, v6
	v_dot4c_i32_i8_e32 v111, v97, v7
	ds_read_u16 v97, v109 offset:17904
	s_waitcnt lgkmcnt(1)
	v_ashrrev_i32_e32 v99, s3, v106
	v_ashrrev_i32_e32 v101, s3, v107
	ds_read2_b32 v[106:107], v103 offset1:1
	v_and_b32_e32 v99, 0x3030303, v99
	v_and_b32_e32 v101, 0x3030303, v101
	v_dot4c_i32_i8_e32 v111, v99, v8
	s_waitcnt lgkmcnt(1)
	v_bfe_u32 v99, v97, 4, 4
	v_dot4c_i32_i8_e32 v111, v101, v9
	v_mul_lo_u32 v99, v99, s23
	v_mov_b32_e32 v101, 0
	s_waitcnt lgkmcnt(0)
	v_ashrrev_i32_e32 v103, s3, v106
	v_ashrrev_i32_e32 v106, s3, v107
	v_dot4c_i32_i8_e32 v101, v99, v6
	v_and_b32_e32 v108, 0x3030303, v106
	v_add_u32_e32 v106, 0x1098, v93
	v_dot4c_i32_i8_e32 v101, v99, v7
	ds_read2_b32 v[106:107], v106 offset1:1
	v_dot4c_i32_i8_e32 v101, v99, v8
	v_dot4c_i32_i8_e32 v101, v99, v9
	v_lshrrev_b32_sdwa v99, v85, v97 dst_sel:DWORD dst_unused:UNUSED_PAD src0_sel:DWORD src1_sel:BYTE_1
	v_mul_lo_u32 v99, v99, s23
	v_dot4c_i32_i8_e32 v101, v99, v2
	v_and_b32_e32 v103, 0x3030303, v103
	v_mov_b32_e32 v95, 0
	v_dot4c_i32_i8_e32 v101, v99, v3
	s_waitcnt lgkmcnt(0)
	v_ashrrev_i32_e32 v106, s3, v106
	v_dot4c_i32_i8_e32 v95, v103, v2
	v_dot4c_i32_i8_e32 v101, v99, v4
	v_and_b32_e32 v106, 0x3030303, v106
	v_ashrrev_i32_e32 v107, s3, v107
	v_dot4c_i32_i8_e32 v95, v108, v3
	v_dot4c_i32_i8_e32 v101, v99, v5
	v_and_b32_e32 v99, 15, v97
	v_and_b32_e32 v107, 0x3030303, v107
	v_dot4c_i32_i8_e32 v95, v106, v4
	v_and_b32_sdwa v97, v97, v87 dst_sel:DWORD dst_unused:UNUSED_PAD src0_sel:BYTE_1 src1_sel:DWORD
	v_and_b32_e32 v99, 0xffff, v99
	v_dot4c_i32_i8_e32 v95, v107, v5
	v_and_b32_e32 v97, 0xffff, v97
	v_mul_lo_u32 v106, v111, v99
	v_mov_b32_e32 v108, v105
	v_mad_u64_u32 v[106:107], s[24:25], v95, v97, v[106:107]
	v_cvt_f32_f16_e32 v95, v110
	v_cvt_f32_i32_e32 v99, v106
	v_cvt_f32_f16_sdwa v97, v110 dst_sel:DWORD dst_unused:UNUSED_PAD src0_sel:WORD_1
	v_mov_b32_e32 v106, v104
	v_mov_b32_e32 v110, 0
	v_mul_f32_e32 v107, v95, v99
	v_cvt_f32_i32_e32 v95, v101
	v_add_u32_e32 v99, 0x2108, v93
	v_mul_f32_e32 v109, v97, v95
	v_pk_add_f32 v[104:105], v[106:107], v[108:109] neg_lo:[0,1] neg_hi:[0,1]
	v_add_u32_e32 v95, 0x2100, v93
	v_pk_fma_f32 v[36:37], v[102:103], v[104:105], v[36:37] op_sel_hi:[0,1,1]
	ds_read2_b32 v[104:105], v95 offset1:1
	v_add3_u32 v108, s19, v67, v69
	ds_read_b32 v108, v108
	v_mov_b32_e32 v109, 0
	v_add_u32_e32 v107, s18, v21
	s_waitcnt lgkmcnt(1)
	v_ashrrev_i32_e32 v95, s3, v104
	v_ashrrev_i32_e32 v97, s3, v105
	ds_read2_b32 v[104:105], v99 offset1:1
	v_and_b32_e32 v95, 0x3030303, v95
	v_and_b32_e32 v97, 0x3030303, v97
	v_dot4c_i32_i8_e32 v109, v95, v6
	v_dot4c_i32_i8_e32 v109, v97, v7
	ds_read_u16 v97, v107 offset:18928
	v_add_u32_e32 v103, 0x2110, v93
	s_waitcnt lgkmcnt(1)
	v_ashrrev_i32_e32 v99, s3, v104
	v_ashrrev_i32_e32 v101, s3, v105
	ds_read2_b32 v[104:105], v103 offset1:1
	v_and_b32_e32 v99, 0x3030303, v99
	v_and_b32_e32 v101, 0x3030303, v101
	v_dot4c_i32_i8_e32 v109, v99, v8
	s_waitcnt lgkmcnt(1)
	v_bfe_u32 v99, v97, 4, 4
	v_dot4c_i32_i8_e32 v109, v101, v9
	v_mul_lo_u32 v99, v99, s23
	v_mov_b32_e32 v101, 0
	s_waitcnt lgkmcnt(0)
	v_ashrrev_i32_e32 v103, s3, v104
	v_ashrrev_i32_e32 v104, s3, v105
	v_dot4c_i32_i8_e32 v101, v99, v6
	v_and_b32_e32 v106, 0x3030303, v104
	v_add_u32_e32 v104, 0x2118, v93
	v_dot4c_i32_i8_e32 v101, v99, v7
	ds_read2_b32 v[104:105], v104 offset1:1
	v_dot4c_i32_i8_e32 v101, v99, v8
	v_dot4c_i32_i8_e32 v101, v99, v9
	v_lshrrev_b32_sdwa v99, v85, v97 dst_sel:DWORD dst_unused:UNUSED_PAD src0_sel:DWORD src1_sel:BYTE_1
	v_mul_lo_u32 v99, v99, s23
	v_dot4c_i32_i8_e32 v101, v99, v2
	v_and_b32_e32 v103, 0x3030303, v103
	v_mov_b32_e32 v95, 0
	v_dot4c_i32_i8_e32 v101, v99, v3
	s_waitcnt lgkmcnt(0)
	v_ashrrev_i32_e32 v104, s3, v104
	v_dot4c_i32_i8_e32 v95, v103, v2
	v_dot4c_i32_i8_e32 v101, v99, v4
	v_and_b32_e32 v104, 0x3030303, v104
	v_ashrrev_i32_e32 v105, s3, v105
	v_dot4c_i32_i8_e32 v95, v106, v3
	v_dot4c_i32_i8_e32 v101, v99, v5
	v_and_b32_e32 v99, 15, v97
	v_and_b32_e32 v105, 0x3030303, v105
	v_dot4c_i32_i8_e32 v95, v104, v4
	v_and_b32_sdwa v97, v97, v87 dst_sel:DWORD dst_unused:UNUSED_PAD src0_sel:BYTE_1 src1_sel:DWORD
	v_and_b32_e32 v99, 0xffff, v99
	v_dot4c_i32_i8_e32 v95, v105, v5
	v_and_b32_e32 v97, 0xffff, v97
	v_mul_lo_u32 v104, v109, v99
	v_cvt_f32_f16_e32 v106, v108
	v_mad_u64_u32 v[104:105], s[24:25], v95, v97, v[104:105]
	v_cvt_f32_f16_sdwa v107, v108 dst_sel:DWORD dst_unused:UNUSED_PAD src0_sel:WORD_1
	v_cvt_f32_i32_e32 v104, v104
	v_cvt_f32_i32_e32 v105, v101
	v_add_u32_e32 v95, 0x3180, v93
	v_add_u32_e32 v99, 0x3188, v93
	v_add_u32_e32 v103, 0x3190, v93
	v_pk_mul_f32 v[104:105], v[106:107], v[104:105]
	ds_read2_b32 v[106:107], v95 offset1:1
	v_add_u32_e32 v93, 0x3198, v93
	v_add3_u32 v109, s19, v71, v73
	ds_read_b32 v109, v109
	s_waitcnt lgkmcnt(1)
	v_ashrrev_i32_e32 v95, s3, v106
	v_ashrrev_i32_e32 v97, s3, v107
	ds_read2_b32 v[106:107], v99 offset1:1
	v_and_b32_e32 v95, 0x3030303, v95
	v_dot4c_i32_i8_e32 v110, v95, v6
	v_mov_b32_e32 v95, 0
	v_and_b32_e32 v97, 0x3030303, v97
	s_waitcnt lgkmcnt(0)
	v_ashrrev_i32_e32 v99, s3, v106
	v_ashrrev_i32_e32 v101, s3, v107
	ds_read2_b32 v[106:107], v103 offset1:1
	v_and_b32_e32 v99, 0x3030303, v99
	v_dot4c_i32_i8_e32 v110, v97, v7
	v_dot4c_i32_i8_e32 v110, v99, v8
	v_mov_b32_e32 v99, 0
	s_waitcnt lgkmcnt(0)
	v_ashrrev_i32_e32 v103, s3, v106
	v_ashrrev_i32_e32 v106, s3, v107
	v_and_b32_e32 v108, 0x3030303, v106
	ds_read2_b32 v[106:107], v93 offset1:1
	v_and_b32_e32 v103, 0x3030303, v103
	v_dot4c_i32_i8_e32 v95, v103, v2
	v_dot4c_i32_i8_e32 v95, v108, v3
	v_and_b32_e32 v101, 0x3030303, v101
	s_waitcnt lgkmcnt(0)
	v_ashrrev_i32_e32 v93, s3, v106
	v_and_b32_e32 v93, 0x3030303, v93
	v_ashrrev_i32_e32 v106, s3, v107
	v_add_u32_e32 v107, s18, v23
	v_dot4c_i32_i8_e32 v95, v93, v4
	ds_read_u16 v93, v107 offset:19952
	v_and_b32_e32 v106, 0x3030303, v106
	v_dot4c_i32_i8_e32 v110, v101, v9
	v_dot4c_i32_i8_e32 v95, v106, v5
	s_add_i32 s3, s2, 2
	s_waitcnt lgkmcnt(0)
	v_bfe_u32 v97, v93, 4, 4
	v_mul_lo_u32 v97, v97, s23
	v_dot4c_i32_i8_e32 v99, v97, v6
	v_dot4c_i32_i8_e32 v99, v97, v7
	;; [unrolled: 1-line block ×3, first 2 shown]
	v_lshrrev_b32_sdwa v6, v85, v93 dst_sel:DWORD dst_unused:UNUSED_PAD src0_sel:DWORD src1_sel:BYTE_1
	v_dot4c_i32_i8_e32 v99, v97, v9
	v_mul_lo_u32 v6, v6, s23
	v_dot4c_i32_i8_e32 v99, v6, v2
	v_and_b32_e32 v2, 15, v93
	v_dot4c_i32_i8_e32 v99, v6, v3
	v_and_b32_sdwa v3, v93, v87 dst_sel:DWORD dst_unused:UNUSED_PAD src0_sel:BYTE_1 src1_sel:DWORD
	v_and_b32_e32 v2, 0xffff, v2
	v_dot4c_i32_i8_e32 v99, v6, v4
	v_and_b32_e32 v3, 0xffff, v3
	v_mul_lo_u32 v2, v110, v2
	v_dot4c_i32_i8_e32 v99, v6, v5
	v_mad_u64_u32 v[2:3], s[18:19], v95, v3, v[2:3]
	v_cvt_f32_f16_e32 v4, v109
	v_cvt_f32_f16_sdwa v5, v109 dst_sel:DWORD dst_unused:UNUSED_PAD src0_sel:WORD_1
	v_cvt_f32_i32_e32 v2, v2
	v_cvt_f32_i32_e32 v3, v99
	s_cmp_lt_u32 s2, 30
	s_mov_b32 s2, s3
	v_pk_mul_f32 v[2:3], v[4:5], v[2:3]
	v_mov_b32_e32 v4, v104
	v_mov_b32_e32 v5, v2
	;; [unrolled: 1-line block ×3, first 2 shown]
	v_pk_add_f32 v[2:3], v[4:5], v[2:3] neg_lo:[0,1] neg_hi:[0,1]
	s_nop 0
	v_pk_fma_f32 v[34:35], v[102:103], v[2:3], v[34:35] op_sel_hi:[0,1,1]
	s_cbranch_scc1 .LBB188_35
; %bb.36:                               ;   in Loop: Header=BB188_5 Depth=1
	s_barrier
	s_branch .LBB188_4
.LBB188_37:
	s_mul_i32 s0, s10, s7
	s_waitcnt vmcnt(0)
	v_cmp_gt_i32_e32 vcc, s0, v1
	s_and_saveexec_b64 s[0:1], vcc
	s_cbranch_execz .LBB188_46
; %bb.38:
	v_and_b32_e32 v0, 0x3ff, v0
	v_add_u32_e32 v2, s11, v0
	v_mul_lo_u32 v0, v1, s9
	v_cmp_gt_u32_e32 vcc, s9, v2
	s_and_saveexec_b64 s[0:1], vcc
	s_cbranch_execz .LBB188_40
; %bb.39:
	v_add_u32_e32 v4, v0, v2
	v_mov_b32_e32 v5, 0
	v_lshl_add_u64 v[4:5], v[4:5], 2, s[16:17]
	global_store_dword v[4:5], v36, off
.LBB188_40:
	s_or_b64 exec, exec, s[0:1]
	v_add_u32_e32 v1, 32, v2
	v_cmp_gt_u32_e32 vcc, s9, v1
	s_and_saveexec_b64 s[0:1], vcc
	s_cbranch_execz .LBB188_42
; %bb.41:
	v_add_u32_e32 v4, v0, v1
	v_mov_b32_e32 v5, 0
	v_lshl_add_u64 v[4:5], v[4:5], 2, s[16:17]
	global_store_dword v[4:5], v37, off
.LBB188_42:
	s_or_b64 exec, exec, s[0:1]
	v_add_u32_e32 v1, 64, v2
	;; [unrolled: 11-line block ×3, first 2 shown]
	v_cmp_gt_u32_e32 vcc, s9, v1
	s_and_b64 exec, exec, vcc
	s_cbranch_execz .LBB188_46
; %bb.45:
	v_add_u32_e32 v0, v0, v1
	v_mov_b32_e32 v1, 0
	v_lshl_add_u64 v[0:1], v[0:1], 2, s[16:17]
	global_store_dword v[0:1], v35, off
.LBB188_46:
	s_endpgm
	.section	.rodata,"a",@progbits
	.p2align	6, 0x0
	.amdhsa_kernel _ZL8moe_q2_KIfLb1EEvPKvS1_PT_PKiS5_S5_iiiiiii
		.amdhsa_group_segment_fixed_size 23328
		.amdhsa_private_segment_fixed_size 0
		.amdhsa_kernarg_size 76
		.amdhsa_user_sgpr_count 2
		.amdhsa_user_sgpr_dispatch_ptr 0
		.amdhsa_user_sgpr_queue_ptr 0
		.amdhsa_user_sgpr_kernarg_segment_ptr 1
		.amdhsa_user_sgpr_dispatch_id 0
		.amdhsa_user_sgpr_kernarg_preload_length 0
		.amdhsa_user_sgpr_kernarg_preload_offset 0
		.amdhsa_user_sgpr_private_segment_size 0
		.amdhsa_uses_dynamic_stack 0
		.amdhsa_enable_private_segment 0
		.amdhsa_system_sgpr_workgroup_id_x 1
		.amdhsa_system_sgpr_workgroup_id_y 1
		.amdhsa_system_sgpr_workgroup_id_z 0
		.amdhsa_system_sgpr_workgroup_info 0
		.amdhsa_system_vgpr_workitem_id 1
		.amdhsa_next_free_vgpr 121
		.amdhsa_next_free_sgpr 75
		.amdhsa_accum_offset 124
		.amdhsa_reserve_vcc 1
		.amdhsa_float_round_mode_32 0
		.amdhsa_float_round_mode_16_64 0
		.amdhsa_float_denorm_mode_32 3
		.amdhsa_float_denorm_mode_16_64 3
		.amdhsa_dx10_clamp 1
		.amdhsa_ieee_mode 1
		.amdhsa_fp16_overflow 0
		.amdhsa_tg_split 0
		.amdhsa_exception_fp_ieee_invalid_op 0
		.amdhsa_exception_fp_denorm_src 0
		.amdhsa_exception_fp_ieee_div_zero 0
		.amdhsa_exception_fp_ieee_overflow 0
		.amdhsa_exception_fp_ieee_underflow 0
		.amdhsa_exception_fp_ieee_inexact 0
		.amdhsa_exception_int_div_zero 0
	.end_amdhsa_kernel
	.section	.text._ZL8moe_q2_KIfLb1EEvPKvS1_PT_PKiS5_S5_iiiiiii,"axG",@progbits,_ZL8moe_q2_KIfLb1EEvPKvS1_PT_PKiS5_S5_iiiiiii,comdat
.Lfunc_end188:
	.size	_ZL8moe_q2_KIfLb1EEvPKvS1_PT_PKiS5_S5_iiiiiii, .Lfunc_end188-_ZL8moe_q2_KIfLb1EEvPKvS1_PT_PKiS5_S5_iiiiiii
                                        ; -- End function
	.set _ZL8moe_q2_KIfLb1EEvPKvS1_PT_PKiS5_S5_iiiiiii.num_vgpr, 121
	.set _ZL8moe_q2_KIfLb1EEvPKvS1_PT_PKiS5_S5_iiiiiii.num_agpr, 0
	.set _ZL8moe_q2_KIfLb1EEvPKvS1_PT_PKiS5_S5_iiiiiii.numbered_sgpr, 28
	.set _ZL8moe_q2_KIfLb1EEvPKvS1_PT_PKiS5_S5_iiiiiii.num_named_barrier, 0
	.set _ZL8moe_q2_KIfLb1EEvPKvS1_PT_PKiS5_S5_iiiiiii.private_seg_size, 0
	.set _ZL8moe_q2_KIfLb1EEvPKvS1_PT_PKiS5_S5_iiiiiii.uses_vcc, 1
	.set _ZL8moe_q2_KIfLb1EEvPKvS1_PT_PKiS5_S5_iiiiiii.uses_flat_scratch, 0
	.set _ZL8moe_q2_KIfLb1EEvPKvS1_PT_PKiS5_S5_iiiiiii.has_dyn_sized_stack, 0
	.set _ZL8moe_q2_KIfLb1EEvPKvS1_PT_PKiS5_S5_iiiiiii.has_recursion, 0
	.set _ZL8moe_q2_KIfLb1EEvPKvS1_PT_PKiS5_S5_iiiiiii.has_indirect_call, 0
	.section	.AMDGPU.csdata,"",@progbits
; Kernel info:
; codeLenInByte = 9872
; TotalNumSgprs: 34
; NumVgprs: 121
; NumAgprs: 0
; TotalNumVgprs: 121
; ScratchSize: 0
; MemoryBound: 0
; FloatMode: 240
; IeeeMode: 1
; LDSByteSize: 23328 bytes/workgroup (compile time only)
; SGPRBlocks: 10
; VGPRBlocks: 15
; NumSGPRsForWavesPerEU: 81
; NumVGPRsForWavesPerEU: 121
; AccumOffset: 124
; Occupancy: 4
; WaveLimiterHint : 1
; COMPUTE_PGM_RSRC2:SCRATCH_EN: 0
; COMPUTE_PGM_RSRC2:USER_SGPR: 2
; COMPUTE_PGM_RSRC2:TRAP_HANDLER: 0
; COMPUTE_PGM_RSRC2:TGID_X_EN: 1
; COMPUTE_PGM_RSRC2:TGID_Y_EN: 1
; COMPUTE_PGM_RSRC2:TGID_Z_EN: 0
; COMPUTE_PGM_RSRC2:TIDIG_COMP_CNT: 1
; COMPUTE_PGM_RSRC3_GFX90A:ACCUM_OFFSET: 30
; COMPUTE_PGM_RSRC3_GFX90A:TG_SPLIT: 0
	.section	.text._ZL8moe_q3_KIfLb0EEvPKvS1_PT_PKiS5_S5_iiiiiii,"axG",@progbits,_ZL8moe_q3_KIfLb0EEvPKvS1_PT_PKiS5_S5_iiiiiii,comdat
	.globl	_ZL8moe_q3_KIfLb0EEvPKvS1_PT_PKiS5_S5_iiiiiii ; -- Begin function _ZL8moe_q3_KIfLb0EEvPKvS1_PT_PKiS5_S5_iiiiiii
	.p2align	8
	.type	_ZL8moe_q3_KIfLb0EEvPKvS1_PT_PKiS5_S5_iiiiiii,@function
_ZL8moe_q3_KIfLb0EEvPKvS1_PT_PKiS5_S5_iiiiiii: ; @_ZL8moe_q3_KIfLb0EEvPKvS1_PT_PKiS5_S5_iiiiiii
; %bb.0:
	s_load_dwordx4 s[4:7], s[0:1], 0x18
	s_mov_b32 s8, s3
	s_mov_b32 s9, 0
	s_lshl_b64 s[10:11], s[8:9], 2
	s_waitcnt lgkmcnt(0)
	s_add_u32 s6, s6, s10
	s_addc_u32 s7, s7, s11
	s_load_dword s3, s[6:7], 0x0
	s_waitcnt lgkmcnt(0)
	s_cmpk_gt_u32 s3, 0xff
	s_cbranch_scc1 .LBB189_46
; %bb.1:
	s_load_dwordx2 s[6:7], s[0:1], 0x28
	s_waitcnt lgkmcnt(0)
	s_load_dword s7, s[6:7], 0x0
	s_lshl_b32 s6, s8, 3
	s_waitcnt lgkmcnt(0)
	s_cmp_gt_u32 s6, s7
	s_cbranch_scc1 .LBB189_46
; %bb.2:
	v_bfe_u32 v2, v0, 10, 10
	v_mov_b32_e32 v4, s4
	v_mov_b32_e32 v5, s5
	v_add_u32_e32 v30, s6, v2
	v_mov_b32_e32 v31, 0
	v_lshl_add_u64 v[4:5], v[30:31], 2, v[4:5]
	global_load_dword v1, v[4:5], off
	s_load_dwordx2 s[14:15], s[0:1], 0x30
	s_load_dwordx2 s[12:13], s[0:1], 0x10
	s_load_dwordx4 s[4:7], s[0:1], 0x3c
	s_lshl_b32 s18, s2, 7
	v_mov_b32_e32 v30, v31
	s_waitcnt lgkmcnt(0)
	s_cmpk_lt_i32 s15, 0x100
	v_mov_b32_e32 v33, v31
	v_mov_b32_e32 v32, v31
	s_cbranch_scc1 .LBB189_37
; %bb.3:
	s_load_dwordx4 s[8:11], s[0:1], 0x0
	s_ashr_i32 s0, s15, 31
	s_lshr_b32 s0, s0, 24
	s_add_i32 s0, s15, s0
	s_ashr_i32 s19, s0, 8
	s_ashr_i32 s0, s5, 31
	s_lshr_b32 s0, s0, 27
	s_add_i32 s0, s5, s0
	s_mul_i32 s3, s3, s14
	s_ashr_i32 s5, s0, 5
	s_ashr_i32 s0, s3, 31
	s_waitcnt lgkmcnt(0)
	s_add_u32 s1, s8, s3
	s_mul_i32 s2, s19, s18
	s_addc_u32 s0, s9, s0
	s_mul_hi_i32 s3, s2, 0x6e
	s_mulk_i32 s2, 0x6e
	s_add_u32 s20, s1, s2
	s_addc_u32 s21, s0, s3
	s_lshl_b32 s2, s19, 3
	v_mov_b32_e32 v4, s2
	v_lshlrev_b32_e32 v7, 4, v2
	v_bfe_u32 v8, v0, 1, 9
	v_and_b32_e32 v11, 0x3ff, v0
	v_mad_i32_i24 v16, s19, v2, v4
	v_and_b32_e32 v18, 1, v0
	v_add_u32_e32 v4, v8, v7
	v_lshlrev_b32_e32 v6, 2, v11
	s_movk_i32 s0, 0x84
	v_and_b32_e32 v5, 0x7f, v4
	v_lshlrev_b32_e32 v9, 2, v18
	v_lshrrev_b32_e32 v4, 2, v4
	v_mad_u32_u24 v15, v2, s0, v6
	v_mul_i32_i24_e32 v20, s19, v5
	v_lshl_or_b32 v5, v5, 3, v9
	v_and_b32_e32 v4, 28, v4
	s_movk_i32 s0, 0x7380
	v_bfe_u32 v10, v0, 4, 6
	v_add3_u32 v59, v5, v4, s0
	v_lshlrev_b32_e32 v4, 1, v2
	v_add_u32_e32 v5, v10, v4
	v_add_u16_e32 v4, v10, v4
	v_and_b32_e32 v3, 15, v0
	v_lshrrev_b16_e32 v4, 1, v4
	v_lshlrev_b32_e32 v12, 2, v3
	v_lshlrev_b32_e32 v4, 2, v4
	s_movk_i32 s0, 0x4200
	v_add3_u32 v30, v4, v12, s0
	v_add_u32_e32 v4, 16, v5
	v_lshlrev_b32_e32 v28, 1, v4
	v_and_b32_e32 v28, 0x3ffc, v28
	v_lshlrev_b32_e32 v33, 6, v4
	v_add_u32_e32 v4, 32, v5
	v_add3_u32 v32, v28, v12, s0
	v_lshlrev_b32_e32 v28, 1, v4
	v_and_b32_e32 v28, 0x3ffc, v28
	v_lshlrev_b32_e32 v35, 6, v4
	v_add_u32_e32 v4, 48, v5
	v_add3_u32 v34, v28, v12, s0
	v_lshlrev_b32_e32 v28, 1, v4
	v_and_b32_e32 v28, 0x3ffc, v28
	v_lshlrev_b32_e32 v37, 6, v4
	v_add_u32_e32 v4, 64, v5
	v_add3_u32 v36, v28, v12, s0
	v_lshlrev_b32_e32 v28, 1, v4
	s_abs_i32 s3, s7
	v_and_b32_e32 v28, 0x3ffc, v28
	v_lshlrev_b32_e32 v40, 6, v4
	v_add_u32_e32 v4, 0x50, v5
	v_cvt_f32_u32_e32 v75, s3
	v_add3_u32 v38, v28, v12, s0
	v_lshlrev_b32_e32 v28, 1, v4
	s_lshl_b32 s16, s19, 4
	v_and_b32_e32 v28, 0x3ffc, v28
	v_lshlrev_b32_e32 v44, 6, v4
	v_add_u32_e32 v4, 0x60, v5
	v_mov_b32_e32 v26, s16
	v_add3_u32 v42, v28, v12, s0
	v_lshlrev_b32_e32 v28, 1, v4
	v_lshlrev_b32_e32 v48, 6, v4
	v_add_u32_e32 v4, 0x70, v5
	v_mul_i32_i24_e32 v24, s19, v5
	v_lshlrev_b32_e32 v31, 6, v5
	v_mad_i32_i24 v26, s19, v5, v26
	v_lshlrev_b32_e32 v5, 1, v4
	v_rcp_iflag_f32_e32 v75, v75
	v_and_b32_e32 v5, 0x3ffc, v5
	v_lshlrev_b32_e32 v52, 6, v4
	v_bfe_u32 v61, v0, 3, 7
	v_and_b32_e32 v4, 3, v0
	v_and_b32_e32 v9, 7, v0
	;; [unrolled: 1-line block ×3, first 2 shown]
	v_add3_u32 v50, v5, v12, s0
	v_lshl_add_u32 v54, v2, 2, v61
	v_add_u16_e32 v5, -2, v4
	v_cmp_gt_u32_e32 vcc, 2, v4
	v_lshlrev_b32_e32 v22, 2, v9
	v_add3_u32 v46, v28, v12, s0
	v_cndmask_b32_e32 v5, v5, v4, vcc
	v_lshlrev_b32_e32 v65, 1, v4
	v_and_b32_e32 v4, 0x1ffc, v54
	s_movk_i32 s0, 0x6300
	v_mov_b32_e32 v28, 2
	v_add3_u32 v58, v4, v22, s0
	v_add_u32_e32 v4, 32, v54
	v_mul_f32_e32 v75, 0x4f7ffffe, v75
	v_lshlrev_b32_sdwa v28, v28, v5 dst_sel:DWORD dst_unused:UNUSED_PAD src0_sel:DWORD src1_sel:BYTE_0
	v_and_b32_e32 v5, 0x3ffc, v4
	v_lshlrev_b32_e32 v66, 5, v4
	v_add_u32_e32 v4, 64, v54
	v_cvt_u32_f32_e32 v75, v75
	v_add3_u32 v64, v5, v22, s0
	v_and_b32_e32 v5, 0x3ffc, v4
	v_lshlrev_b32_e32 v70, 5, v4
	v_add_u32_e32 v4, 0x60, v54
	v_add_u32_e32 v88, 0x60, v11
	v_add3_u32 v68, v5, v22, s0
	v_and_b32_e32 v5, 0x3ffc, v4
	v_add_u32_e32 v98, v42, v44
	v_lshrrev_b32_e32 v42, 4, v88
	v_add3_u32 v72, v5, v22, s0
	s_sub_i32 s0, 0, s3
	v_lshlrev_b32_e32 v122, 2, v42
	v_add_u32_e32 v42, s2, v16
	v_mul_lo_u32 v81, s0, v75
	v_add_u32_e32 v44, s2, v42
	s_waitcnt vmcnt(0)
	v_sub_u32_e32 v79, 0, v1
	v_mul_hi_u32 v81, v75, v81
	v_add_u32_e32 v99, v46, v48
	v_add_u32_e32 v46, s2, v44
	v_max_i32_e32 v79, v1, v79
	v_add_u32_e32 v75, v75, v81
	v_add_u32_e32 v48, s2, v46
	s_lshl_b32 s17, s19, 5
	v_mul_hi_u32 v75, v79, v75
	v_add_u32_e32 v103, v50, v52
	v_add_u32_e32 v50, s2, v48
	v_mov_b32_e32 v62, s17
	v_mul_lo_u32 v81, v75, s3
	v_add_u32_e32 v97, v38, v40
	v_lshrrev_b32_e32 v38, 1, v88
	v_lshlrev_b32_e32 v40, 1, v88
	v_add_u32_e32 v52, s2, v50
	v_lshlrev_b32_e32 v56, 1, v11
	v_lshlrev_b32_e32 v60, 5, v54
	v_sub_u32_e32 v79, v79, v81
	v_lshlrev_b32_e32 v120, 2, v38
	v_lshlrev_b32_e32 v123, 2, v40
	v_mad_i32_i24 v38, s19, v54, v62
	v_mul_i32_i24_e32 v40, s19, v54
	v_add_u32_e32 v54, s2, v52
	v_and_b32_e32 v63, 4, v56
	v_add_u32_e32 v81, 1, v75
	v_cmp_le_u32_e64 s[0:1], s3, v79
	v_lshlrev_b32_e32 v111, 2, v56
	v_add_u32_e32 v56, s2, v54
	v_cndmask_b32_e64 v75, v75, v81, s[0:1]
	v_subrev_u32_e32 v81, s3, v79
	v_add_u32_e32 v105, v58, v60
	v_add_u32_e32 v58, s2, v56
	v_lshlrev_b32_e32 v74, 5, v4
	v_cndmask_b32_e64 v79, v79, v81, s[0:1]
	v_add_u32_e32 v60, s2, v58
	v_xor_b32_e32 v77, s7, v1
	v_add_u32_e32 v81, 1, v75
	v_cmp_le_u32_e64 s[0:1], s3, v79
	v_add_u32_e32 v108, v72, v74
	v_add_u32_e32 v62, s2, v60
	;; [unrolled: 1-line block ×4, first 2 shown]
	v_ashrrev_i32_e32 v77, 31, v77
	v_cndmask_b32_e64 v75, v75, v81, s[0:1]
	v_add_u32_e32 v106, v64, v66
	v_add_u32_e32 v64, s2, v62
	;; [unrolled: 1-line block ×3, first 2 shown]
	v_lshlrev_b32_e32 v78, 4, v76
	v_lshrrev_b32_e32 v80, 1, v76
	v_lshlrev_b32_e32 v82, 1, v76
	v_lshrrev_b32_e32 v84, 4, v76
	v_add_u32_e32 v86, 64, v11
	v_xor_b32_e32 v75, v75, v77
	v_and_b32_e32 v79, 0x1fc, v76
	v_lshrrev_b32_e32 v100, 3, v76
	v_add_u32_e32 v66, s2, v64
	v_add_u32_e32 v76, s16, v74
	v_mov_b32_e32 v13, 0
	v_mov_b32_e32 v67, 0x77a0
	v_add_u32_e32 v71, 0x7ba0, v7
	v_lshlrev_b32_e32 v7, 5, v11
	v_sub_u32_e32 v90, v75, v77
	v_and_b32_e32 v75, 0x1fc, v88
	v_and_b32_e32 v77, 0x1fc, v86
	;; [unrolled: 1-line block ×3, first 2 shown]
	v_add_u32_e32 v107, v68, v70
	v_lshlrev_b32_e32 v113, 2, v78
	v_add_u32_e32 v68, s2, v66
	v_cmp_lt_u32_e64 s[2:3], 7, v3
	v_add_u32_e32 v78, s16, v76
	v_mul_i32_i24_e32 v14, s19, v2
	v_and_b32_e32 v69, 31, v0
	v_and_b32_e32 v4, 28, v6
	v_mov_b32_e32 v5, v13
	v_lshl_add_u32 v67, v2, 7, v67
	v_cmp_gt_u32_e32 vcc, 4, v11
	v_add_u32_e32 v73, v71, v6
	v_mul_u32_u24_e32 v2, 33, v11
	v_lshlrev_b32_e32 v6, 4, v11
	v_add_u32_e32 v75, v7, v75
	v_add_u32_e32 v77, v7, v77
	v_add_u32_e32 v79, v7, v79
	v_add_u32_e32 v81, v7, v81
	v_lshlrev_b32_e32 v7, 4, v86
	v_add_u32_e32 v83, v30, v31
	v_lshrrev_b32_e32 v30, 1, v86
	v_add_u32_e32 v85, v32, v33
	v_lshlrev_b32_e32 v31, 1, v86
	v_add_u32_e32 v87, v34, v35
	v_lshrrev_b32_e32 v32, 4, v86
	v_lshlrev_b32_e32 v33, 4, v88
	v_lshrrev_b32_e32 v101, 3, v86
	v_cmp_gt_i32_e64 s[0:1], s4, v90
	v_mul_lo_u32 v34, v90, s5
	v_lshlrev_b32_e32 v112, 2, v80
	v_cndmask_b32_e64 v70, 0, 1, s[2:3]
	v_add_u32_e32 v80, s16, v78
	v_cmp_lt_u32_e64 s[2:3], 3, v9
	v_add_u32_e32 v86, s17, v38
	s_movk_i32 s14, 0x6e
	s_mov_b32 s22, 0
	v_add_u32_e32 v17, 0x420, v15
	v_add_u32_e32 v19, 0x840, v15
	;; [unrolled: 1-line block ×15, first 2 shown]
	v_mov_b32_e32 v23, v13
	s_movk_i32 s23, 0xff
	v_mov_b32_e32 v29, v13
	v_lshl_add_u32 v69, v69, 2, v67
	v_add_u32_e32 v89, v36, v37
	v_lshrrev_b32_e32 v102, 3, v88
	v_lshl_add_u64 v[36:37], s[10:11], 0, v[4:5]
	s_and_b64 s[8:9], vcc, s[0:1]
	v_lshlrev_b32_e32 v104, 2, v2
	v_ashrrev_i32_e32 v35, 31, v34
	s_mov_b32 s24, 0x30303030
	s_movk_i32 s25, 0xe000
	s_movk_i32 s26, 0x3f00
	v_lshlrev_b32_e32 v109, 2, v8
	v_lshlrev_b32_e32 v110, 2, v6
	;; [unrolled: 1-line block ×9, first 2 shown]
	v_mov_b32_e32 v32, v13
	v_mov_b32_e32 v33, v13
	;; [unrolled: 1-line block ×4, first 2 shown]
	v_add_u32_e32 v124, 0x6f00, v75
	v_add_u32_e32 v125, 0x6b00, v77
	;; [unrolled: 1-line block ×3, first 2 shown]
	v_lshlrev_b32_e32 v127, 2, v10
	v_add_u32_e32 v82, s16, v80
	v_cndmask_b32_e64 v84, 0, 1, s[2:3]
	v_add_u32_e32 v88, s17, v86
	s_branch .LBB189_5
.LBB189_4:                              ;   in Loop: Header=BB189_5 Depth=1
	s_add_i32 s22, s22, 2
	s_cmp_ge_i32 s22, s19
	s_cbranch_scc1 .LBB189_37
.LBB189_5:                              ; =>This Loop Header: Depth=1
                                        ;     Child Loop BB189_11 Depth 2
                                        ;     Child Loop BB189_19 Depth 2
	;; [unrolled: 1-line block ×4, first 2 shown]
	s_mul_i32 s2, s22, 0x6e
	s_mul_hi_u32 s3, s22, 0x6e
	s_add_u32 s2, s20, s2
	s_addc_u32 s3, s21, s3
	v_mov_b64_e32 v[2:3], s[2:3]
	v_mad_u64_u32 v[4:5], s[2:3], v10, s14, v[2:3]
	v_mad_u64_u32 v[6:7], s[2:3], v14, s14, v[4:5]
	v_lshl_add_u64 v[6:7], v[6:7], 0, v[12:13]
	v_mad_u64_u32 v[8:9], s[2:3], v16, s14, v[4:5]
	v_mad_u64_u32 v[90:91], s[2:3], v42, s14, v[4:5]
	;; [unrolled: 1-line block ×7, first 2 shown]
	v_lshl_add_u64 v[8:9], v[8:9], 0, v[12:13]
	v_lshl_add_u64 v[90:91], v[90:91], 0, v[12:13]
	;; [unrolled: 1-line block ×7, first 2 shown]
	global_load_dword v96, v[6:7], off offset:32
	global_load_dword v134, v[8:9], off offset:32
	global_load_dword v135, v[90:91], off offset:32
	global_load_dword v136, v[92:93], off offset:32
	global_load_dword v137, v[94:95], off offset:32
	global_load_dword v138, v[128:129], off offset:32
	global_load_dword v139, v[130:131], off offset:32
	global_load_dword v140, v[132:133], off offset:32
	v_mad_u64_u32 v[6:7], s[2:3], v54, s14, v[4:5]
	v_lshl_add_u64 v[6:7], v[6:7], 0, v[12:13]
	v_mad_u64_u32 v[8:9], s[2:3], v56, s14, v[4:5]
	v_mad_u64_u32 v[90:91], s[2:3], v58, s14, v[4:5]
	;; [unrolled: 1-line block ×7, first 2 shown]
	v_lshl_add_u64 v[8:9], v[8:9], 0, v[12:13]
	v_lshl_add_u64 v[90:91], v[90:91], 0, v[12:13]
	;; [unrolled: 1-line block ×7, first 2 shown]
	global_load_dword v141, v[6:7], off offset:32
	global_load_dword v142, v[8:9], off offset:32
	;; [unrolled: 1-line block ×8, first 2 shown]
	v_mad_u64_u32 v[6:7], s[2:3], v70, s14, v[2:3]
	v_mad_u64_u32 v[4:5], s[2:3], v20, s14, v[2:3]
	v_lshl_add_u64 v[6:7], v[6:7], 0, v[22:23]
	v_mad_u64_u32 v[4:5], s[2:3], v18, s14, v[4:5]
	v_mad_u64_u32 v[94:95], s[2:3], v74, s14, v[6:7]
	;; [unrolled: 1-line block ×9, first 2 shown]
	global_load_ushort v149, v[4:5], off offset:108
	global_load_dword v150, v[8:9], off
	global_load_dword v151, v[90:91], off
	;; [unrolled: 1-line block ×3, first 2 shown]
	s_nop 0
	global_load_dword v94, v[94:95], off
	s_nop 0
	global_load_dword v95, v[128:129], off
	;; [unrolled: 2-line block ×3, first 2 shown]
	global_load_dword v129, v[132:133], off
	v_mad_u64_u32 v[4:5], s[2:3], v82, s14, v[6:7]
	v_mad_u64_u32 v[6:7], s[2:3], v40, s14, v[2:3]
	v_lshl_add_u64 v[8:9], v[6:7], 0, v[28:29]
	v_mad_u64_u32 v[90:91], s[2:3], v38, s14, v[2:3]
	v_mad_u64_u32 v[92:93], s[2:3], v86, s14, v[2:3]
	;; [unrolled: 1-line block ×3, first 2 shown]
	global_load_dword v130, v[4:5], off
	s_nop 0
	global_load_dword v8, v[8:9], off offset:96
	s_nop 0
	global_load_dword v9, v[2:3], off offset:104
	global_load_dword v131, v[92:93], off offset:104
	;; [unrolled: 1-line block ×3, first 2 shown]
	s_nop 0
	global_load_dword v6, v[6:7], off offset:104
	v_lshl_add_u64 v[4:5], v[90:91], 0, v[28:29]
	global_load_dword v7, v[4:5], off offset:96
	v_lshl_add_u64 v[4:5], v[92:93], 0, v[28:29]
	global_load_dword v4, v[4:5], off offset:96
	s_waitcnt vmcnt(31)
	ds_write_b32 v15, v96
	s_waitcnt vmcnt(30)
	ds_write_b32 v17, v134
	;; [unrolled: 2-line block ×9, first 2 shown]
	v_lshl_add_u64 v[2:3], v[2:3], 0, v[28:29]
	global_load_dword v2, v[2:3], off offset:96
	s_waitcnt vmcnt(23)
	ds_write_b32 v45, v142
	s_waitcnt vmcnt(22)
	ds_write_b32 v47, v143
	;; [unrolled: 2-line block ×4, first 2 shown]
	s_lshl_b32 s27, s22, 8
	s_cmp_lt_i32 s27, s15
	s_waitcnt vmcnt(16)
	v_cvt_f32_f16_e32 v3, v149
	ds_write_b32 v53, v146
	ds_write_b32 v55, v147
	;; [unrolled: 1-line block ×4, first 2 shown]
	s_waitcnt vmcnt(15)
	v_not_b32_e32 v3, v150
	ds_write_b32 v83, v3
	s_waitcnt vmcnt(14)
	v_not_b32_e32 v3, v151
	ds_write_b32 v85, v3
	;; [unrolled: 3-line block ×8, first 2 shown]
	s_waitcnt vmcnt(7)
	v_ashrrev_i32_e32 v3, v63, v8
	s_waitcnt vmcnt(3)
	v_ashrrev_i32_e32 v5, v65, v6
	v_and_b32_e32 v3, 0xf0f0f0f, v3
	v_lshlrev_b32_e32 v5, 4, v5
	v_and_or_b32 v3, v5, s24, v3
	v_lshlrev_b16_e32 v6, 8, v3
	v_add_u16_e32 v6, 0xe000, v6
	v_lshrrev_b32_e32 v5, 16, v3
	v_lshrrev_b16_e32 v6, 8, v6
	v_bitop3_b16 v3, v3, v6, s26 bitop3:0xec
	v_lshlrev_b16_e32 v6, 8, v5
	v_add_u16_e32 v6, 0xe000, v6
	v_lshrrev_b16_e32 v6, 8, v6
	v_bitop3_b16 v5, v5, v6, s26 bitop3:0xec
	v_add_u16_e32 v3, 0xe000, v3
	v_add_u16_sdwa v5, v5, s25 dst_sel:WORD_1 dst_unused:UNUSED_PAD src0_sel:DWORD src1_sel:DWORD
	s_waitcnt vmcnt(0)
	v_ashrrev_i32_e32 v2, v63, v2
	v_or_b32_e32 v3, v3, v5
	ds_write_b32 v105, v3
	v_ashrrev_i32_e32 v3, v63, v7
	v_ashrrev_i32_e32 v5, v65, v132
	v_and_b32_e32 v3, 0xf0f0f0f, v3
	v_lshlrev_b32_e32 v5, 4, v5
	v_and_or_b32 v3, v5, s24, v3
	v_lshlrev_b16_e32 v6, 8, v3
	v_add_u16_e32 v6, 0xe000, v6
	v_lshrrev_b32_e32 v5, 16, v3
	v_lshrrev_b16_e32 v6, 8, v6
	v_bitop3_b16 v3, v3, v6, s26 bitop3:0xec
	v_lshlrev_b16_e32 v6, 8, v5
	v_add_u16_e32 v6, 0xe000, v6
	v_lshrrev_b16_e32 v6, 8, v6
	v_bitop3_b16 v5, v5, v6, s26 bitop3:0xec
	v_add_u16_e32 v3, 0xe000, v3
	v_add_u16_sdwa v5, v5, s25 dst_sel:WORD_1 dst_unused:UNUSED_PAD src0_sel:DWORD src1_sel:DWORD
	v_and_b32_e32 v2, 0xf0f0f0f, v2
	v_or_b32_e32 v3, v3, v5
	ds_write_b32 v106, v3
	v_ashrrev_i32_e32 v3, v63, v4
	v_ashrrev_i32_e32 v4, v65, v131
	v_and_b32_e32 v3, 0xf0f0f0f, v3
	v_lshlrev_b32_e32 v4, 4, v4
	v_and_or_b32 v3, v4, s24, v3
	v_lshlrev_b16_e32 v5, 8, v3
	v_add_u16_e32 v5, 0xe000, v5
	v_lshrrev_b32_e32 v4, 16, v3
	v_lshrrev_b16_e32 v5, 8, v5
	v_bitop3_b16 v3, v3, v5, s26 bitop3:0xec
	v_lshlrev_b16_e32 v5, 8, v4
	v_add_u16_e32 v5, 0xe000, v5
	v_lshrrev_b16_e32 v5, 8, v5
	v_bitop3_b16 v4, v4, v5, s26 bitop3:0xec
	v_add_u16_e32 v3, 0xe000, v3
	v_add_u16_sdwa v4, v4, s25 dst_sel:WORD_1 dst_unused:UNUSED_PAD src0_sel:DWORD src1_sel:DWORD
	s_nop 0
	v_or_b32_e32 v3, v3, v4
	ds_write_b32 v107, v3
	v_ashrrev_i32_e32 v3, v65, v9
	v_lshlrev_b32_e32 v3, 4, v3
	v_and_or_b32 v2, v3, s24, v2
	v_lshlrev_b16_e32 v4, 8, v2
	v_add_u16_e32 v4, 0xe000, v4
	v_lshrrev_b32_e32 v3, 16, v2
	v_lshrrev_b16_e32 v4, 8, v4
	v_bitop3_b16 v2, v2, v4, s26 bitop3:0xec
	v_lshlrev_b16_e32 v4, 8, v3
	v_add_u16_e32 v4, 0xe000, v4
	v_lshrrev_b16_e32 v4, 8, v4
	v_bitop3_b16 v3, v3, v4, s26 bitop3:0xec
	v_add_u16_e32 v2, 0xe000, v2
	v_add_u16_sdwa v3, v3, s25 dst_sel:WORD_1 dst_unused:UNUSED_PAD src0_sel:DWORD src1_sel:DWORD
	s_nop 0
	v_or_b32_e32 v2, v2, v3
	ds_write_b32 v108, v2
	s_cbranch_scc0 .LBB189_4
; %bb.6:                                ;   in Loop: Header=BB189_5 Depth=1
	s_lshl_b32 s28, s22, 3
	v_add_u32_e32 v2, s28, v61
	v_cmp_gt_i32_e64 s[2:3], s5, v2
	s_and_b64 s[16:17], s[0:1], s[2:3]
	s_and_saveexec_b64 s[2:3], s[16:17]
	s_cbranch_execz .LBB189_8
; %bb.7:                                ;   in Loop: Header=BB189_5 Depth=1
	v_add_u32_e32 v2, v34, v2
	v_mad_i64_i32 v[2:3], s[16:17], v2, 36, v[36:37]
	global_load_dword v2, v[2:3], off offset:4
	s_waitcnt vmcnt(0)
	ds_write_b32 v69, v2
.LBB189_8:                              ;   in Loop: Header=BB189_5 Depth=1
	s_or_b64 exec, exec, s[2:3]
	v_add_u32_e32 v90, s28, v11
	v_cmp_gt_i32_e64 s[2:3], s5, v90
	s_and_b64 s[16:17], s[8:9], s[2:3]
	s_and_saveexec_b64 s[2:3], s[16:17]
	s_cbranch_execz .LBB189_10
; %bb.9:                                ;   in Loop: Header=BB189_5 Depth=1
	v_add_u32_e32 v2, v34, v90
	v_mad_i64_i32 v[2:3], s[16:17], v2, 36, s[10:11]
	global_load_dword v2, v[2:3], off
	s_waitcnt vmcnt(0)
	v_cvt_f32_f16_e32 v2, v2
	ds_write_b32 v73, v2
.LBB189_10:                             ;   in Loop: Header=BB189_5 Depth=1
	s_or_b64 exec, exec, s[2:3]
	s_mov_b32 s17, -2
	s_mov_b32 s2, 0
	v_mov_b32_e32 v91, v71
	v_mov_b32_e32 v93, v67
	s_mov_b32 s3, 0
	s_waitcnt lgkmcnt(0)
	s_barrier
.LBB189_11:                             ;   Parent Loop BB189_5 Depth=1
                                        ; =>  This Inner Loop Header: Depth=2
	s_add_i32 s16, s17, 2
	s_lshr_b32 s29, s16, 4
	s_and_b32 s30, s16, 0x3ffffff8
	v_lshl_add_u32 v128, s30, 2, v104
	s_lshl_b32 s30, s29, 5
	s_addk_i32 s30, 0x4200
	v_add3_u32 v129, s30, v109, v110
	ds_read_b32 v92, v91
	ds_read_b128 v[6:9], v93
	ds_read_b128 v[2:5], v93 offset:16
	ds_read2_b32 v[94:95], v128 offset1:1
	ds_read2_b32 v[130:131], v129 offset1:1
	s_and_b32 s31, s3, -16
	s_add_i32 s17, s17, s31
	s_lshl_b32 s29, s29, 2
	s_waitcnt lgkmcnt(1)
	v_ashrrev_i32_e32 v94, s16, v94
	s_waitcnt lgkmcnt(0)
	v_ashrrev_i32_e32 v130, s2, v130
	v_lshlrev_b32_e32 v130, 2, v130
	v_bfe_u32 v96, v94, 24, 2
	v_and_b32_e32 v94, 0x3030303, v94
	v_and_b32_e32 v130, 0x4040404, v130
	v_sub_u16_e32 v132, v94, v130
	v_sub_u16_sdwa v133, v94, v130 dst_sel:BYTE_1 dst_unused:UNUSED_PAD src0_sel:BYTE_1 src1_sel:BYTE_1
	v_sub_u16_sdwa v94, v94, v130 dst_sel:DWORD dst_unused:UNUSED_PAD src0_sel:WORD_1 src1_sel:WORD_1
	v_sub_u16_sdwa v96, v96, v130 dst_sel:BYTE_1 dst_unused:UNUSED_PAD src0_sel:DWORD src1_sel:BYTE_3
	v_bitop3_b16 v132, v132, v133, s23 bitop3:0xec
	v_bitop3_b16 v94, v94, v96, s23 bitop3:0xec
	v_lshlrev_b32_e32 v94, 16, v94
	v_ashrrev_i32_e32 v130, s2, v131
	v_or_b32_sdwa v96, v132, v94 dst_sel:DWORD dst_unused:UNUSED_PAD src0_sel:WORD_0 src1_sel:DWORD
	v_ashrrev_i32_e32 v94, s16, v95
	v_lshlrev_b32_e32 v130, 2, v130
	v_bfe_u32 v95, v94, 24, 2
	v_and_b32_e32 v94, 0x3030303, v94
	v_and_b32_e32 v130, 0x4040404, v130
	v_sub_u16_e32 v131, v94, v130
	v_sub_u16_sdwa v132, v94, v130 dst_sel:BYTE_1 dst_unused:UNUSED_PAD src0_sel:BYTE_1 src1_sel:BYTE_1
	v_sub_u16_sdwa v94, v94, v130 dst_sel:DWORD dst_unused:UNUSED_PAD src0_sel:WORD_1 src1_sel:WORD_1
	v_sub_u16_sdwa v95, v95, v130 dst_sel:BYTE_1 dst_unused:UNUSED_PAD src0_sel:DWORD src1_sel:BYTE_3
	v_bitop3_b16 v131, v131, v132, s23 bitop3:0xec
	v_bitop3_b16 v94, v94, v95, s23 bitop3:0xec
	v_lshlrev_b32_e32 v94, 16, v94
	v_or_b32_sdwa v132, v131, v94 dst_sel:DWORD dst_unused:UNUSED_PAD src0_sel:WORD_0 src1_sel:DWORD
	ds_read2_b32 v[94:95], v128 offset0:2 offset1:3
	ds_read2_b32 v[130:131], v129 offset0:2 offset1:3
	s_addk_i32 s29, 0x7380
	s_add_i32 s3, s3, 2
	v_add_u32_e32 v91, 4, v91
	s_waitcnt lgkmcnt(1)
	v_ashrrev_i32_e32 v94, s16, v94
	s_waitcnt lgkmcnt(0)
	v_ashrrev_i32_e32 v130, s2, v130
	v_lshlrev_b32_e32 v130, 2, v130
	v_bfe_u32 v133, v94, 24, 2
	v_and_b32_e32 v94, 0x3030303, v94
	v_and_b32_e32 v130, 0x4040404, v130
	v_sub_u16_e32 v134, v94, v130
	v_sub_u16_sdwa v135, v94, v130 dst_sel:BYTE_1 dst_unused:UNUSED_PAD src0_sel:BYTE_1 src1_sel:BYTE_1
	v_sub_u16_sdwa v94, v94, v130 dst_sel:DWORD dst_unused:UNUSED_PAD src0_sel:WORD_1 src1_sel:WORD_1
	v_sub_u16_sdwa v130, v133, v130 dst_sel:BYTE_1 dst_unused:UNUSED_PAD src0_sel:DWORD src1_sel:BYTE_3
	v_bitop3_b16 v134, v134, v135, s23 bitop3:0xec
	v_bitop3_b16 v94, v94, v130, s23 bitop3:0xec
	v_lshlrev_b32_e32 v94, 16, v94
	v_ashrrev_i32_e32 v130, s2, v131
	v_or_b32_sdwa v133, v134, v94 dst_sel:DWORD dst_unused:UNUSED_PAD src0_sel:WORD_0 src1_sel:DWORD
	v_ashrrev_i32_e32 v94, s16, v95
	v_lshlrev_b32_e32 v130, 2, v130
	v_bfe_u32 v95, v94, 24, 2
	v_and_b32_e32 v94, 0x3030303, v94
	v_and_b32_e32 v130, 0x4040404, v130
	v_sub_u16_e32 v131, v94, v130
	v_sub_u16_sdwa v134, v94, v130 dst_sel:BYTE_1 dst_unused:UNUSED_PAD src0_sel:BYTE_1 src1_sel:BYTE_1
	v_sub_u16_sdwa v94, v94, v130 dst_sel:DWORD dst_unused:UNUSED_PAD src0_sel:WORD_1 src1_sel:WORD_1
	v_sub_u16_sdwa v95, v95, v130 dst_sel:BYTE_1 dst_unused:UNUSED_PAD src0_sel:DWORD src1_sel:BYTE_3
	v_bitop3_b16 v131, v131, v134, s23 bitop3:0xec
	v_bitop3_b16 v94, v94, v95, s23 bitop3:0xec
	v_lshlrev_b32_e32 v94, 16, v94
	v_or_b32_sdwa v134, v131, v94 dst_sel:DWORD dst_unused:UNUSED_PAD src0_sel:WORD_0 src1_sel:DWORD
	ds_read2_b32 v[94:95], v128 offset0:4 offset1:5
	ds_read2_b32 v[130:131], v129 offset0:4 offset1:5
	s_waitcnt lgkmcnt(1)
	v_ashrrev_i32_e32 v94, s16, v94
	s_waitcnt lgkmcnt(0)
	v_ashrrev_i32_e32 v130, s2, v130
	v_lshlrev_b32_e32 v130, 2, v130
	v_bfe_u32 v135, v94, 24, 2
	v_and_b32_e32 v94, 0x3030303, v94
	v_and_b32_e32 v130, 0x4040404, v130
	v_sub_u16_e32 v136, v94, v130
	v_sub_u16_sdwa v137, v94, v130 dst_sel:BYTE_1 dst_unused:UNUSED_PAD src0_sel:BYTE_1 src1_sel:BYTE_1
	v_sub_u16_sdwa v94, v94, v130 dst_sel:DWORD dst_unused:UNUSED_PAD src0_sel:WORD_1 src1_sel:WORD_1
	v_sub_u16_sdwa v130, v135, v130 dst_sel:BYTE_1 dst_unused:UNUSED_PAD src0_sel:DWORD src1_sel:BYTE_3
	v_bitop3_b16 v136, v136, v137, s23 bitop3:0xec
	v_bitop3_b16 v94, v94, v130, s23 bitop3:0xec
	v_lshlrev_b32_e32 v94, 16, v94
	v_ashrrev_i32_e32 v130, s2, v131
	v_or_b32_sdwa v135, v136, v94 dst_sel:DWORD dst_unused:UNUSED_PAD src0_sel:WORD_0 src1_sel:DWORD
	v_ashrrev_i32_e32 v94, s16, v95
	v_lshlrev_b32_e32 v130, 2, v130
	v_bfe_u32 v95, v94, 24, 2
	v_and_b32_e32 v94, 0x3030303, v94
	v_and_b32_e32 v130, 0x4040404, v130
	v_sub_u16_e32 v131, v94, v130
	v_sub_u16_sdwa v136, v94, v130 dst_sel:BYTE_1 dst_unused:UNUSED_PAD src0_sel:BYTE_1 src1_sel:BYTE_1
	v_sub_u16_sdwa v94, v94, v130 dst_sel:DWORD dst_unused:UNUSED_PAD src0_sel:WORD_1 src1_sel:WORD_1
	v_sub_u16_sdwa v95, v95, v130 dst_sel:BYTE_1 dst_unused:UNUSED_PAD src0_sel:DWORD src1_sel:BYTE_3
	v_bitop3_b16 v131, v131, v136, s23 bitop3:0xec
	v_bitop3_b16 v94, v94, v95, s23 bitop3:0xec
	v_lshlrev_b32_e32 v94, 16, v94
	v_or_b32_sdwa v136, v131, v94 dst_sel:DWORD dst_unused:UNUSED_PAD src0_sel:WORD_0 src1_sel:DWORD
	ds_read2_b32 v[94:95], v128 offset0:6 offset1:7
	ds_read2_b32 v[130:131], v129 offset0:6 offset1:7
	s_waitcnt lgkmcnt(1)
	v_ashrrev_i32_e32 v94, s16, v94
	s_waitcnt lgkmcnt(0)
	v_ashrrev_i32_e32 v129, s2, v130
	v_lshlrev_b32_e32 v129, 2, v129
	v_bfe_u32 v137, v94, 24, 2
	v_and_b32_e32 v94, 0x3030303, v94
	v_and_b32_e32 v129, 0x4040404, v129
	v_sub_u16_e32 v130, v94, v129
	v_sub_u16_sdwa v138, v94, v129 dst_sel:BYTE_1 dst_unused:UNUSED_PAD src0_sel:BYTE_1 src1_sel:BYTE_1
	v_sub_u16_sdwa v94, v94, v129 dst_sel:DWORD dst_unused:UNUSED_PAD src0_sel:WORD_1 src1_sel:WORD_1
	v_sub_u16_sdwa v129, v137, v129 dst_sel:BYTE_1 dst_unused:UNUSED_PAD src0_sel:DWORD src1_sel:BYTE_3
	v_bitop3_b16 v130, v130, v138, s23 bitop3:0xec
	v_bitop3_b16 v94, v94, v129, s23 bitop3:0xec
	v_lshlrev_b32_e32 v94, 16, v94
	v_or_b32_sdwa v129, v130, v94 dst_sel:DWORD dst_unused:UNUSED_PAD src0_sel:WORD_0 src1_sel:DWORD
	v_ashrrev_i32_e32 v130, s2, v131
	v_ashrrev_i32_e32 v94, s16, v95
	v_lshlrev_b32_e32 v130, 2, v130
	v_bfe_u32 v95, v94, 24, 2
	v_and_b32_e32 v94, 0x3030303, v94
	v_and_b32_e32 v130, 0x4040404, v130
	v_sub_u16_e32 v131, v94, v130
	v_sub_u16_sdwa v137, v94, v130 dst_sel:BYTE_1 dst_unused:UNUSED_PAD src0_sel:BYTE_1 src1_sel:BYTE_1
	v_sub_u16_sdwa v94, v94, v130 dst_sel:DWORD dst_unused:UNUSED_PAD src0_sel:WORD_1 src1_sel:WORD_1
	v_sub_u16_sdwa v95, v95, v130 dst_sel:BYTE_1 dst_unused:UNUSED_PAD src0_sel:DWORD src1_sel:BYTE_3
	v_bitop3_b16 v131, v131, v137, s23 bitop3:0xec
	v_bitop3_b16 v94, v94, v95, s23 bitop3:0xec
	v_lshlrev_b32_e32 v94, 16, v94
	v_or_b32_sdwa v95, v131, v94 dst_sel:DWORD dst_unused:UNUSED_PAD src0_sel:WORD_0 src1_sel:DWORD
	v_mov_b32_e32 v131, 0
	v_dot4c_i32_i8_e32 v131, v96, v6
	v_dot4c_i32_i8_e32 v131, v132, v7
	;; [unrolled: 1-line block ×4, first 2 shown]
	v_mov_b32_e32 v134, 0
	v_dot4c_i32_i8_e32 v134, v135, v2
	v_dot4c_i32_i8_e32 v134, v136, v3
	v_add_u32_e32 v130, s17, v126
	v_dot4c_i32_i8_e32 v134, v129, v4
	v_dot4c_i32_i8_e32 v134, v95, v5
	ds_read_u16 v95, v130 offset:2
	v_add3_u32 v94, s29, v127, v111
	v_add3_u32 v135, s30, v112, v113
	ds_read_b32 v94, v94
	ds_read2_b32 v[132:133], v135 offset1:1
	s_waitcnt lgkmcnt(2)
	v_lshrrev_b16_e32 v96, 8, v95
	v_bfe_i32 v95, v95, 0, 8
	v_bfe_i32 v129, v96, 0, 8
	v_mul_lo_u32 v96, v131, v95
	v_add_u32_e32 v95, 0x1080, v128
	ds_read2_b32 v[130:131], v95 offset1:1
	s_waitcnt lgkmcnt(1)
	v_ashrrev_i32_e32 v132, s2, v132
	v_lshlrev_b32_e32 v132, 2, v132
	v_and_b32_e32 v132, 0x4040404, v132
	s_waitcnt lgkmcnt(0)
	v_ashrrev_i32_e32 v95, s16, v130
	v_bfe_u32 v130, v95, 24, 2
	v_and_b32_e32 v95, 0x3030303, v95
	v_sub_u16_e32 v136, v95, v132
	v_sub_u16_sdwa v137, v95, v132 dst_sel:BYTE_1 dst_unused:UNUSED_PAD src0_sel:BYTE_1 src1_sel:BYTE_1
	v_sub_u16_sdwa v95, v95, v132 dst_sel:DWORD dst_unused:UNUSED_PAD src0_sel:WORD_1 src1_sel:WORD_1
	v_sub_u16_sdwa v130, v130, v132 dst_sel:BYTE_1 dst_unused:UNUSED_PAD src0_sel:DWORD src1_sel:BYTE_3
	v_bitop3_b16 v136, v136, v137, s23 bitop3:0xec
	v_bitop3_b16 v95, v95, v130, s23 bitop3:0xec
	v_lshlrev_b32_e32 v95, 16, v95
	v_or_b32_sdwa v136, v136, v95 dst_sel:DWORD dst_unused:UNUSED_PAD src0_sel:WORD_0 src1_sel:DWORD
	v_ashrrev_i32_e32 v95, s16, v131
	v_ashrrev_i32_e32 v131, s2, v133
	v_lshlrev_b32_e32 v131, 2, v131
	v_bfe_u32 v130, v95, 24, 2
	v_and_b32_e32 v95, 0x3030303, v95
	v_and_b32_e32 v131, 0x4040404, v131
	v_sub_u16_e32 v132, v95, v131
	v_sub_u16_sdwa v133, v95, v131 dst_sel:BYTE_1 dst_unused:UNUSED_PAD src0_sel:BYTE_1 src1_sel:BYTE_1
	v_sub_u16_sdwa v95, v95, v131 dst_sel:DWORD dst_unused:UNUSED_PAD src0_sel:WORD_1 src1_sel:WORD_1
	v_sub_u16_sdwa v130, v130, v131 dst_sel:BYTE_1 dst_unused:UNUSED_PAD src0_sel:DWORD src1_sel:BYTE_3
	v_bitop3_b16 v132, v132, v133, s23 bitop3:0xec
	v_bitop3_b16 v95, v95, v130, s23 bitop3:0xec
	v_lshlrev_b32_e32 v95, 16, v95
	v_or_b32_sdwa v137, v132, v95 dst_sel:DWORD dst_unused:UNUSED_PAD src0_sel:WORD_0 src1_sel:DWORD
	v_add_u32_e32 v95, 0x1088, v128
	ds_read2_b32 v[130:131], v95 offset1:1
	ds_read2_b32 v[132:133], v135 offset0:2 offset1:3
	s_waitcnt lgkmcnt(1)
	v_ashrrev_i32_e32 v95, s16, v130
	s_waitcnt lgkmcnt(0)
	v_ashrrev_i32_e32 v132, s2, v132
	v_lshlrev_b32_e32 v132, 2, v132
	v_bfe_u32 v130, v95, 24, 2
	v_and_b32_e32 v95, 0x3030303, v95
	v_and_b32_e32 v132, 0x4040404, v132
	v_sub_u16_e32 v138, v95, v132
	v_sub_u16_sdwa v139, v95, v132 dst_sel:BYTE_1 dst_unused:UNUSED_PAD src0_sel:BYTE_1 src1_sel:BYTE_1
	v_sub_u16_sdwa v95, v95, v132 dst_sel:DWORD dst_unused:UNUSED_PAD src0_sel:WORD_1 src1_sel:WORD_1
	v_sub_u16_sdwa v130, v130, v132 dst_sel:BYTE_1 dst_unused:UNUSED_PAD src0_sel:DWORD src1_sel:BYTE_3
	v_bitop3_b16 v138, v138, v139, s23 bitop3:0xec
	v_bitop3_b16 v95, v95, v130, s23 bitop3:0xec
	v_lshlrev_b32_e32 v95, 16, v95
	v_or_b32_sdwa v138, v138, v95 dst_sel:DWORD dst_unused:UNUSED_PAD src0_sel:WORD_0 src1_sel:DWORD
	v_ashrrev_i32_e32 v95, s16, v131
	v_ashrrev_i32_e32 v131, s2, v133
	v_lshlrev_b32_e32 v131, 2, v131
	v_bfe_u32 v130, v95, 24, 2
	v_and_b32_e32 v95, 0x3030303, v95
	v_and_b32_e32 v131, 0x4040404, v131
	v_sub_u16_e32 v132, v95, v131
	v_sub_u16_sdwa v133, v95, v131 dst_sel:BYTE_1 dst_unused:UNUSED_PAD src0_sel:BYTE_1 src1_sel:BYTE_1
	v_sub_u16_sdwa v95, v95, v131 dst_sel:DWORD dst_unused:UNUSED_PAD src0_sel:WORD_1 src1_sel:WORD_1
	v_sub_u16_sdwa v130, v130, v131 dst_sel:BYTE_1 dst_unused:UNUSED_PAD src0_sel:DWORD src1_sel:BYTE_3
	v_bitop3_b16 v132, v132, v133, s23 bitop3:0xec
	v_bitop3_b16 v95, v95, v130, s23 bitop3:0xec
	v_lshlrev_b32_e32 v95, 16, v95
	v_or_b32_sdwa v139, v132, v95 dst_sel:DWORD dst_unused:UNUSED_PAD src0_sel:WORD_0 src1_sel:DWORD
	v_add_u32_e32 v95, 0x1090, v128
	ds_read2_b32 v[130:131], v95 offset1:1
	ds_read2_b32 v[132:133], v135 offset0:4 offset1:5
	s_waitcnt lgkmcnt(1)
	v_ashrrev_i32_e32 v95, s16, v130
	s_waitcnt lgkmcnt(0)
	v_ashrrev_i32_e32 v132, s2, v132
	v_lshlrev_b32_e32 v132, 2, v132
	v_bfe_u32 v130, v95, 24, 2
	v_and_b32_e32 v95, 0x3030303, v95
	v_and_b32_e32 v132, 0x4040404, v132
	v_sub_u16_e32 v140, v95, v132
	v_sub_u16_sdwa v141, v95, v132 dst_sel:BYTE_1 dst_unused:UNUSED_PAD src0_sel:BYTE_1 src1_sel:BYTE_1
	v_sub_u16_sdwa v95, v95, v132 dst_sel:DWORD dst_unused:UNUSED_PAD src0_sel:WORD_1 src1_sel:WORD_1
	v_sub_u16_sdwa v130, v130, v132 dst_sel:BYTE_1 dst_unused:UNUSED_PAD src0_sel:DWORD src1_sel:BYTE_3
	v_bitop3_b16 v140, v140, v141, s23 bitop3:0xec
	v_bitop3_b16 v95, v95, v130, s23 bitop3:0xec
	v_lshlrev_b32_e32 v95, 16, v95
	v_or_b32_sdwa v140, v140, v95 dst_sel:DWORD dst_unused:UNUSED_PAD src0_sel:WORD_0 src1_sel:DWORD
	v_ashrrev_i32_e32 v95, s16, v131
	v_ashrrev_i32_e32 v131, s2, v133
	v_lshlrev_b32_e32 v131, 2, v131
	v_bfe_u32 v130, v95, 24, 2
	v_and_b32_e32 v95, 0x3030303, v95
	v_and_b32_e32 v131, 0x4040404, v131
	v_sub_u16_e32 v132, v95, v131
	v_sub_u16_sdwa v133, v95, v131 dst_sel:BYTE_1 dst_unused:UNUSED_PAD src0_sel:BYTE_1 src1_sel:BYTE_1
	v_sub_u16_sdwa v95, v95, v131 dst_sel:DWORD dst_unused:UNUSED_PAD src0_sel:WORD_1 src1_sel:WORD_1
	v_sub_u16_sdwa v130, v130, v131 dst_sel:BYTE_1 dst_unused:UNUSED_PAD src0_sel:DWORD src1_sel:BYTE_3
	v_bitop3_b16 v132, v132, v133, s23 bitop3:0xec
	v_bitop3_b16 v95, v95, v130, s23 bitop3:0xec
	v_lshlrev_b32_e32 v95, 16, v95
	v_or_b32_sdwa v141, v132, v95 dst_sel:DWORD dst_unused:UNUSED_PAD src0_sel:WORD_0 src1_sel:DWORD
	v_add_u32_e32 v95, 0x1098, v128
	ds_read2_b32 v[130:131], v95 offset1:1
	ds_read2_b32 v[132:133], v135 offset0:6 offset1:7
	s_waitcnt lgkmcnt(1)
	v_ashrrev_i32_e32 v95, s16, v130
	s_waitcnt lgkmcnt(0)
	v_ashrrev_i32_e32 v132, s2, v132
	v_lshlrev_b32_e32 v132, 2, v132
	v_bfe_u32 v130, v95, 24, 2
	v_and_b32_e32 v95, 0x3030303, v95
	v_and_b32_e32 v132, 0x4040404, v132
	v_sub_u16_e32 v135, v95, v132
	v_sub_u16_sdwa v142, v95, v132 dst_sel:BYTE_1 dst_unused:UNUSED_PAD src0_sel:BYTE_1 src1_sel:BYTE_1
	v_sub_u16_sdwa v95, v95, v132 dst_sel:DWORD dst_unused:UNUSED_PAD src0_sel:WORD_1 src1_sel:WORD_1
	v_sub_u16_sdwa v130, v130, v132 dst_sel:BYTE_1 dst_unused:UNUSED_PAD src0_sel:DWORD src1_sel:BYTE_3
	v_bitop3_b16 v135, v135, v142, s23 bitop3:0xec
	v_bitop3_b16 v95, v95, v130, s23 bitop3:0xec
	v_lshlrev_b32_e32 v95, 16, v95
	v_or_b32_sdwa v132, v135, v95 dst_sel:DWORD dst_unused:UNUSED_PAD src0_sel:WORD_0 src1_sel:DWORD
	v_ashrrev_i32_e32 v95, s16, v131
	v_ashrrev_i32_e32 v131, s2, v133
	v_lshlrev_b32_e32 v131, 2, v131
	v_bfe_u32 v130, v95, 24, 2
	v_and_b32_e32 v95, 0x3030303, v95
	v_and_b32_e32 v131, 0x4040404, v131
	v_sub_u16_e32 v133, v95, v131
	v_sub_u16_sdwa v135, v95, v131 dst_sel:BYTE_1 dst_unused:UNUSED_PAD src0_sel:BYTE_1 src1_sel:BYTE_1
	v_sub_u16_sdwa v95, v95, v131 dst_sel:DWORD dst_unused:UNUSED_PAD src0_sel:WORD_1 src1_sel:WORD_1
	v_sub_u16_sdwa v130, v130, v131 dst_sel:BYTE_1 dst_unused:UNUSED_PAD src0_sel:DWORD src1_sel:BYTE_3
	v_bitop3_b16 v133, v133, v135, s23 bitop3:0xec
	v_bitop3_b16 v95, v95, v130, s23 bitop3:0xec
	v_lshlrev_b32_e32 v95, 16, v95
	v_or_b32_sdwa v131, v133, v95 dst_sel:DWORD dst_unused:UNUSED_PAD src0_sel:WORD_0 src1_sel:DWORD
	v_add_u32_e32 v130, s17, v79
	v_add3_u32 v95, s29, v114, v115
	ds_read_b32 v95, v95
	ds_read_u16 v130, v130 offset:26370
	v_mov_b32_e32 v133, 0
	v_dot4c_i32_i8_e32 v133, v136, v6
	v_mov_b32_e32 v136, 0
	v_dot4c_i32_i8_e32 v133, v137, v7
	v_dot4c_i32_i8_e32 v136, v140, v2
	;; [unrolled: 1-line block ×5, first 2 shown]
	s_waitcnt lgkmcnt(0)
	v_lshrrev_b16_e32 v135, 8, v130
	v_bfe_i32 v130, v130, 0, 8
	v_dot4c_i32_i8_e32 v136, v132, v4
	v_mul_lo_u32 v130, v133, v130
	v_dot4c_i32_i8_e32 v136, v131, v5
	v_bfe_i32 v131, v135, 0, 8
	v_mad_u64_u32 v[132:133], s[34:35], v134, v129, v[96:97]
	s_nop 0
	v_mad_u64_u32 v[130:131], s[34:35], v136, v131, v[130:131]
	v_cvt_f32_i32_e32 v131, v130
	v_cvt_f32_i32_e32 v130, v132
	v_pk_mul_f32 v[94:95], v[92:93], v[94:95] op_sel_hi:[0,1]
	v_add3_u32 v134, s30, v116, v117
	ds_read2_b32 v[132:133], v134 offset1:1
	v_pk_fma_f32 v[32:33], v[94:95], v[130:131], v[32:33]
	v_add_u32_e32 v94, 0x2100, v128
	ds_read2_b32 v[130:131], v94 offset1:1
	v_add3_u32 v140, s30, v120, v121
	s_waitcnt lgkmcnt(1)
	v_ashrrev_i32_e32 v96, s2, v132
	v_lshlrev_b32_e32 v96, 2, v96
	v_and_b32_e32 v96, 0x4040404, v96
	s_waitcnt lgkmcnt(0)
	v_ashrrev_i32_e32 v94, s16, v130
	v_bfe_u32 v95, v94, 24, 2
	v_and_b32_e32 v94, 0x3030303, v94
	v_sub_u16_e32 v129, v94, v96
	v_sub_u16_sdwa v130, v94, v96 dst_sel:BYTE_1 dst_unused:UNUSED_PAD src0_sel:BYTE_1 src1_sel:BYTE_1
	v_sub_u16_sdwa v94, v94, v96 dst_sel:DWORD dst_unused:UNUSED_PAD src0_sel:WORD_1 src1_sel:WORD_1
	v_sub_u16_sdwa v95, v95, v96 dst_sel:BYTE_1 dst_unused:UNUSED_PAD src0_sel:DWORD src1_sel:BYTE_3
	v_bitop3_b16 v129, v129, v130, s23 bitop3:0xec
	v_bitop3_b16 v94, v94, v95, s23 bitop3:0xec
	v_lshlrev_b32_e32 v94, 16, v94
	v_or_b32_sdwa v95, v129, v94 dst_sel:DWORD dst_unused:UNUSED_PAD src0_sel:WORD_0 src1_sel:DWORD
	v_ashrrev_i32_e32 v129, s2, v133
	v_ashrrev_i32_e32 v94, s16, v131
	v_lshlrev_b32_e32 v129, 2, v129
	v_bfe_u32 v96, v94, 24, 2
	v_and_b32_e32 v94, 0x3030303, v94
	v_and_b32_e32 v129, 0x4040404, v129
	v_sub_u16_e32 v130, v94, v129
	v_sub_u16_sdwa v131, v94, v129 dst_sel:BYTE_1 dst_unused:UNUSED_PAD src0_sel:BYTE_1 src1_sel:BYTE_1
	v_sub_u16_sdwa v94, v94, v129 dst_sel:DWORD dst_unused:UNUSED_PAD src0_sel:WORD_1 src1_sel:WORD_1
	v_sub_u16_sdwa v96, v96, v129 dst_sel:BYTE_1 dst_unused:UNUSED_PAD src0_sel:DWORD src1_sel:BYTE_3
	v_bitop3_b16 v130, v130, v131, s23 bitop3:0xec
	v_bitop3_b16 v94, v94, v96, s23 bitop3:0xec
	v_lshlrev_b32_e32 v94, 16, v94
	v_or_b32_sdwa v96, v130, v94 dst_sel:DWORD dst_unused:UNUSED_PAD src0_sel:WORD_0 src1_sel:DWORD
	v_add_u32_e32 v94, 0x2108, v128
	ds_read2_b32 v[130:131], v94 offset1:1
	ds_read2_b32 v[132:133], v134 offset0:2 offset1:3
	s_waitcnt lgkmcnt(1)
	v_ashrrev_i32_e32 v94, s16, v130
	s_waitcnt lgkmcnt(0)
	v_ashrrev_i32_e32 v130, s2, v132
	v_lshlrev_b32_e32 v130, 2, v130
	v_bfe_u32 v129, v94, 24, 2
	v_and_b32_e32 v94, 0x3030303, v94
	v_and_b32_e32 v130, 0x4040404, v130
	v_sub_u16_e32 v132, v94, v130
	v_sub_u16_sdwa v135, v94, v130 dst_sel:BYTE_1 dst_unused:UNUSED_PAD src0_sel:BYTE_1 src1_sel:BYTE_1
	v_sub_u16_sdwa v94, v94, v130 dst_sel:DWORD dst_unused:UNUSED_PAD src0_sel:WORD_1 src1_sel:WORD_1
	v_sub_u16_sdwa v129, v129, v130 dst_sel:BYTE_1 dst_unused:UNUSED_PAD src0_sel:DWORD src1_sel:BYTE_3
	v_bitop3_b16 v132, v132, v135, s23 bitop3:0xec
	v_bitop3_b16 v94, v94, v129, s23 bitop3:0xec
	v_lshlrev_b32_e32 v94, 16, v94
	v_or_b32_sdwa v129, v132, v94 dst_sel:DWORD dst_unused:UNUSED_PAD src0_sel:WORD_0 src1_sel:DWORD
	v_ashrrev_i32_e32 v94, s16, v131
	v_ashrrev_i32_e32 v131, s2, v133
	v_lshlrev_b32_e32 v131, 2, v131
	v_bfe_u32 v130, v94, 24, 2
	v_and_b32_e32 v94, 0x3030303, v94
	v_and_b32_e32 v131, 0x4040404, v131
	v_sub_u16_e32 v132, v94, v131
	v_sub_u16_sdwa v133, v94, v131 dst_sel:BYTE_1 dst_unused:UNUSED_PAD src0_sel:BYTE_1 src1_sel:BYTE_1
	v_sub_u16_sdwa v94, v94, v131 dst_sel:DWORD dst_unused:UNUSED_PAD src0_sel:WORD_1 src1_sel:WORD_1
	v_sub_u16_sdwa v130, v130, v131 dst_sel:BYTE_1 dst_unused:UNUSED_PAD src0_sel:DWORD src1_sel:BYTE_3
	v_bitop3_b16 v132, v132, v133, s23 bitop3:0xec
	v_bitop3_b16 v94, v94, v130, s23 bitop3:0xec
	v_lshlrev_b32_e32 v94, 16, v94
	v_or_b32_sdwa v135, v132, v94 dst_sel:DWORD dst_unused:UNUSED_PAD src0_sel:WORD_0 src1_sel:DWORD
	v_add_u32_e32 v94, 0x2110, v128
	ds_read2_b32 v[130:131], v94 offset1:1
	ds_read2_b32 v[132:133], v134 offset0:4 offset1:5
	s_waitcnt lgkmcnt(1)
	v_ashrrev_i32_e32 v94, s16, v130
	s_waitcnt lgkmcnt(0)
	v_ashrrev_i32_e32 v132, s2, v132
	v_lshlrev_b32_e32 v132, 2, v132
	v_bfe_u32 v130, v94, 24, 2
	v_and_b32_e32 v94, 0x3030303, v94
	;; [unrolled: 33-line block ×3, first 2 shown]
	v_and_b32_e32 v132, 0x4040404, v132
	v_sub_u16_e32 v134, v94, v132
	v_sub_u16_sdwa v138, v94, v132 dst_sel:BYTE_1 dst_unused:UNUSED_PAD src0_sel:BYTE_1 src1_sel:BYTE_1
	v_sub_u16_sdwa v94, v94, v132 dst_sel:DWORD dst_unused:UNUSED_PAD src0_sel:WORD_1 src1_sel:WORD_1
	v_sub_u16_sdwa v130, v130, v132 dst_sel:BYTE_1 dst_unused:UNUSED_PAD src0_sel:DWORD src1_sel:BYTE_3
	v_bitop3_b16 v134, v134, v138, s23 bitop3:0xec
	v_bitop3_b16 v94, v94, v130, s23 bitop3:0xec
	v_lshlrev_b32_e32 v94, 16, v94
	v_ashrrev_i32_e32 v132, s2, v133
	v_or_b32_sdwa v130, v134, v94 dst_sel:DWORD dst_unused:UNUSED_PAD src0_sel:WORD_0 src1_sel:DWORD
	v_ashrrev_i32_e32 v94, s16, v131
	v_lshlrev_b32_e32 v132, 2, v132
	v_bfe_u32 v131, v94, 24, 2
	v_and_b32_e32 v94, 0x3030303, v94
	v_and_b32_e32 v132, 0x4040404, v132
	v_sub_u16_e32 v133, v94, v132
	v_sub_u16_sdwa v134, v94, v132 dst_sel:BYTE_1 dst_unused:UNUSED_PAD src0_sel:BYTE_1 src1_sel:BYTE_1
	v_sub_u16_sdwa v94, v94, v132 dst_sel:DWORD dst_unused:UNUSED_PAD src0_sel:WORD_1 src1_sel:WORD_1
	v_sub_u16_sdwa v131, v131, v132 dst_sel:BYTE_1 dst_unused:UNUSED_PAD src0_sel:DWORD src1_sel:BYTE_3
	v_bitop3_b16 v133, v133, v134, s23 bitop3:0xec
	v_bitop3_b16 v94, v94, v131, s23 bitop3:0xec
	v_lshlrev_b32_e32 v94, 16, v94
	v_or_b32_sdwa v131, v133, v94 dst_sel:DWORD dst_unused:UNUSED_PAD src0_sel:WORD_0 src1_sel:DWORD
	v_add_u32_e32 v132, s17, v125
	v_mov_b32_e32 v133, 0
	v_dot4c_i32_i8_e32 v133, v95, v6
	ds_read_u16 v95, v132 offset:2
	v_dot4c_i32_i8_e32 v133, v96, v7
	v_dot4c_i32_i8_e32 v133, v129, v8
	v_mov_b32_e32 v129, 0
	v_dot4c_i32_i8_e32 v129, v136, v2
	v_dot4c_i32_i8_e32 v133, v135, v9
	;; [unrolled: 1-line block ×3, first 2 shown]
	s_waitcnt lgkmcnt(0)
	v_lshrrev_b16_e32 v96, 8, v95
	v_bfe_i32 v95, v95, 0, 8
	v_add3_u32 v94, s29, v118, v119
	v_dot4c_i32_i8_e32 v129, v130, v4
	v_bfe_i32 v130, v96, 0, 8
	v_mul_lo_u32 v96, v133, v95
	v_add_u32_e32 v95, 0x3180, v128
	ds_read_b32 v94, v94
	ds_read2_b32 v[132:133], v95 offset1:1
	ds_read2_b32 v[134:135], v140 offset1:1
	v_dot4c_i32_i8_e32 v129, v131, v5
	s_waitcnt lgkmcnt(1)
	v_ashrrev_i32_e32 v95, s16, v132
	s_waitcnt lgkmcnt(0)
	v_ashrrev_i32_e32 v132, s2, v134
	v_lshlrev_b32_e32 v132, 2, v132
	v_bfe_u32 v131, v95, 24, 2
	v_and_b32_e32 v95, 0x3030303, v95
	v_and_b32_e32 v132, 0x4040404, v132
	v_sub_u16_e32 v134, v95, v132
	v_sub_u16_sdwa v136, v95, v132 dst_sel:BYTE_1 dst_unused:UNUSED_PAD src0_sel:BYTE_1 src1_sel:BYTE_1
	v_sub_u16_sdwa v95, v95, v132 dst_sel:DWORD dst_unused:UNUSED_PAD src0_sel:WORD_1 src1_sel:WORD_1
	v_sub_u16_sdwa v131, v131, v132 dst_sel:BYTE_1 dst_unused:UNUSED_PAD src0_sel:DWORD src1_sel:BYTE_3
	v_bitop3_b16 v134, v134, v136, s23 bitop3:0xec
	v_bitop3_b16 v95, v95, v131, s23 bitop3:0xec
	v_lshlrev_b32_e32 v95, 16, v95
	v_or_b32_sdwa v131, v134, v95 dst_sel:DWORD dst_unused:UNUSED_PAD src0_sel:WORD_0 src1_sel:DWORD
	v_ashrrev_i32_e32 v95, s16, v133
	v_ashrrev_i32_e32 v133, s2, v135
	v_lshlrev_b32_e32 v133, 2, v133
	v_bfe_u32 v132, v95, 24, 2
	v_and_b32_e32 v95, 0x3030303, v95
	v_and_b32_e32 v133, 0x4040404, v133
	v_sub_u16_e32 v134, v95, v133
	v_sub_u16_sdwa v135, v95, v133 dst_sel:BYTE_1 dst_unused:UNUSED_PAD src0_sel:BYTE_1 src1_sel:BYTE_1
	v_sub_u16_sdwa v95, v95, v133 dst_sel:DWORD dst_unused:UNUSED_PAD src0_sel:WORD_1 src1_sel:WORD_1
	v_sub_u16_sdwa v132, v132, v133 dst_sel:BYTE_1 dst_unused:UNUSED_PAD src0_sel:DWORD src1_sel:BYTE_3
	v_bitop3_b16 v134, v134, v135, s23 bitop3:0xec
	v_bitop3_b16 v95, v95, v132, s23 bitop3:0xec
	v_lshlrev_b32_e32 v95, 16, v95
	v_or_b32_sdwa v132, v134, v95 dst_sel:DWORD dst_unused:UNUSED_PAD src0_sel:WORD_0 src1_sel:DWORD
	v_add_u32_e32 v95, 0x3188, v128
	ds_read2_b32 v[134:135], v95 offset1:1
	ds_read2_b32 v[136:137], v140 offset0:2 offset1:3
	s_waitcnt lgkmcnt(1)
	v_ashrrev_i32_e32 v95, s16, v134
	s_waitcnt lgkmcnt(0)
	v_ashrrev_i32_e32 v134, s2, v136
	v_lshlrev_b32_e32 v134, 2, v134
	v_bfe_u32 v133, v95, 24, 2
	v_and_b32_e32 v95, 0x3030303, v95
	v_and_b32_e32 v134, 0x4040404, v134
	v_sub_u16_e32 v136, v95, v134
	v_sub_u16_sdwa v138, v95, v134 dst_sel:BYTE_1 dst_unused:UNUSED_PAD src0_sel:BYTE_1 src1_sel:BYTE_1
	v_sub_u16_sdwa v95, v95, v134 dst_sel:DWORD dst_unused:UNUSED_PAD src0_sel:WORD_1 src1_sel:WORD_1
	v_sub_u16_sdwa v133, v133, v134 dst_sel:BYTE_1 dst_unused:UNUSED_PAD src0_sel:DWORD src1_sel:BYTE_3
	v_bitop3_b16 v136, v136, v138, s23 bitop3:0xec
	v_bitop3_b16 v95, v95, v133, s23 bitop3:0xec
	v_lshlrev_b32_e32 v95, 16, v95
	v_or_b32_sdwa v133, v136, v95 dst_sel:DWORD dst_unused:UNUSED_PAD src0_sel:WORD_0 src1_sel:DWORD
	v_ashrrev_i32_e32 v95, s16, v135
	v_ashrrev_i32_e32 v135, s2, v137
	v_lshlrev_b32_e32 v135, 2, v135
	v_bfe_u32 v134, v95, 24, 2
	v_and_b32_e32 v95, 0x3030303, v95
	v_and_b32_e32 v135, 0x4040404, v135
	v_sub_u16_e32 v136, v95, v135
	v_sub_u16_sdwa v137, v95, v135 dst_sel:BYTE_1 dst_unused:UNUSED_PAD src0_sel:BYTE_1 src1_sel:BYTE_1
	v_sub_u16_sdwa v95, v95, v135 dst_sel:DWORD dst_unused:UNUSED_PAD src0_sel:WORD_1 src1_sel:WORD_1
	v_sub_u16_sdwa v134, v134, v135 dst_sel:BYTE_1 dst_unused:UNUSED_PAD src0_sel:DWORD src1_sel:BYTE_3
	v_bitop3_b16 v136, v136, v137, s23 bitop3:0xec
	v_bitop3_b16 v95, v95, v134, s23 bitop3:0xec
	v_lshlrev_b32_e32 v95, 16, v95
	v_or_b32_sdwa v134, v136, v95 dst_sel:DWORD dst_unused:UNUSED_PAD src0_sel:WORD_0 src1_sel:DWORD
	v_add_u32_e32 v95, 0x3190, v128
	ds_read2_b32 v[136:137], v95 offset1:1
	ds_read2_b32 v[138:139], v140 offset0:4 offset1:5
	;; [unrolled: 33-line block ×3, first 2 shown]
	s_waitcnt lgkmcnt(1)
	v_ashrrev_i32_e32 v95, s16, v138
	s_waitcnt lgkmcnt(0)
	v_ashrrev_i32_e32 v137, s2, v140
	v_lshlrev_b32_e32 v137, 2, v137
	v_bfe_u32 v128, v95, 24, 2
	v_and_b32_e32 v95, 0x3030303, v95
	v_and_b32_e32 v137, 0x4040404, v137
	v_sub_u16_e32 v138, v95, v137
	v_sub_u16_sdwa v140, v95, v137 dst_sel:BYTE_1 dst_unused:UNUSED_PAD src0_sel:BYTE_1 src1_sel:BYTE_1
	v_sub_u16_sdwa v95, v95, v137 dst_sel:DWORD dst_unused:UNUSED_PAD src0_sel:WORD_1 src1_sel:WORD_1
	v_sub_u16_sdwa v128, v128, v137 dst_sel:BYTE_1 dst_unused:UNUSED_PAD src0_sel:DWORD src1_sel:BYTE_3
	v_bitop3_b16 v138, v138, v140, s23 bitop3:0xec
	v_bitop3_b16 v95, v95, v128, s23 bitop3:0xec
	v_lshlrev_b32_e32 v95, 16, v95
	v_or_b32_sdwa v128, v138, v95 dst_sel:DWORD dst_unused:UNUSED_PAD src0_sel:WORD_0 src1_sel:DWORD
	v_ashrrev_i32_e32 v138, s2, v141
	v_ashrrev_i32_e32 v95, s16, v139
	v_lshlrev_b32_e32 v138, 2, v138
	v_bfe_u32 v137, v95, 24, 2
	v_and_b32_e32 v95, 0x3030303, v95
	v_and_b32_e32 v138, 0x4040404, v138
	v_sub_u16_e32 v139, v95, v138
	v_sub_u16_sdwa v140, v95, v138 dst_sel:BYTE_1 dst_unused:UNUSED_PAD src0_sel:BYTE_1 src1_sel:BYTE_1
	v_sub_u16_sdwa v95, v95, v138 dst_sel:DWORD dst_unused:UNUSED_PAD src0_sel:WORD_1 src1_sel:WORD_1
	v_sub_u16_sdwa v137, v137, v138 dst_sel:BYTE_1 dst_unused:UNUSED_PAD src0_sel:DWORD src1_sel:BYTE_3
	v_bitop3_b16 v139, v139, v140, s23 bitop3:0xec
	v_bitop3_b16 v95, v95, v137, s23 bitop3:0xec
	v_lshlrev_b32_e32 v95, 16, v95
	v_or_b32_sdwa v137, v139, v95 dst_sel:DWORD dst_unused:UNUSED_PAD src0_sel:WORD_0 src1_sel:DWORD
	v_mov_b32_e32 v139, 0
	v_add_u32_e32 v138, s17, v124
	v_add3_u32 v95, s29, v122, v123
	v_dot4c_i32_i8_e32 v139, v131, v6
	v_mov_b32_e32 v6, 0
	ds_read_b32 v95, v95
	v_dot4c_i32_i8_e32 v6, v135, v2
	ds_read_u16 v2, v138 offset:2
	v_dot4c_i32_i8_e32 v139, v132, v7
	v_dot4c_i32_i8_e32 v139, v133, v8
	;; [unrolled: 1-line block ×5, first 2 shown]
	s_waitcnt lgkmcnt(0)
	v_lshrrev_b16_e32 v3, 8, v2
	v_bfe_i32 v2, v2, 0, 8
	v_dot4c_i32_i8_e32 v6, v137, v5
	v_bfe_i32 v5, v3, 0, 8
	v_mul_lo_u32 v4, v139, v2
	v_mad_u64_u32 v[2:3], s[30:31], v129, v130, v[96:97]
	v_mad_u64_u32 v[4:5], s[30:31], v6, v5, v[4:5]
	v_cvt_f32_i32_e32 v3, v4
	v_cvt_f32_i32_e32 v2, v2
	v_pk_mul_f32 v[6:7], v[92:93], v[94:95] op_sel_hi:[0,1]
	s_add_i32 s2, s2, 1
	v_add_u32_e32 v93, 32, v93
	v_pk_fma_f32 v[30:31], v[6:7], v[2:3], v[30:31]
	s_cmp_lt_u32 s16, 6
	s_mov_b32 s17, s16
	s_cbranch_scc1 .LBB189_11
; %bb.12:                               ;   in Loop: Header=BB189_5 Depth=1
	s_or_b32 s2, s27, 0x80
	s_cmp_ge_i32 s2, s15
	s_barrier
	s_cbranch_scc1 .LBB189_4
; %bb.13:                               ;   in Loop: Header=BB189_5 Depth=1
	v_add_u32_e32 v2, s28, v100
	v_cmp_gt_i32_e64 s[2:3], s5, v2
	s_and_b64 s[16:17], s[0:1], s[2:3]
	s_and_saveexec_b64 s[2:3], s[16:17]
	s_cbranch_execz .LBB189_15
; %bb.14:                               ;   in Loop: Header=BB189_5 Depth=1
	v_add_u32_e32 v2, v34, v2
	v_mad_i64_i32 v[2:3], s[16:17], v2, 36, v[36:37]
	global_load_dword v2, v[2:3], off offset:4
	s_waitcnt vmcnt(0)
	ds_write_b32 v69, v2
.LBB189_15:                             ;   in Loop: Header=BB189_5 Depth=1
	s_or_b64 exec, exec, s[2:3]
	s_and_saveexec_b64 s[16:17], vcc
	s_cbranch_execz .LBB189_18
; %bb.16:                               ;   in Loop: Header=BB189_5 Depth=1
	v_or_b32_e32 v2, 4, v90
	v_cmp_gt_i32_e64 s[2:3], s5, v2
	s_and_b64 s[2:3], s[0:1], s[2:3]
	s_and_b64 exec, exec, s[2:3]
	s_cbranch_execz .LBB189_18
; %bb.17:                               ;   in Loop: Header=BB189_5 Depth=1
	v_ashrrev_i32_e32 v91, 31, v90
	v_lshl_add_u64 v[2:3], v[34:35], 0, v[90:91]
	v_mad_u64_u32 v[4:5], s[2:3], v2, 36, s[10:11]
	v_mad_i32_i24 v5, v3, 36, v5
	global_load_dword v2, v[4:5], off offset:144
	s_waitcnt vmcnt(0)
	v_cvt_f32_f16_e32 v2, v2
	ds_write_b32 v73, v2
.LBB189_18:                             ;   in Loop: Header=BB189_5 Depth=1
	s_or_b64 exec, exec, s[16:17]
	s_mov_b32 s2, 8
	s_mov_b32 s29, 6
	s_mov_b32 s3, 4
	v_mov_b32_e32 v91, v67
	v_mov_b32_e32 v93, v71
	s_waitcnt lgkmcnt(0)
	s_barrier
.LBB189_19:                             ;   Parent Loop BB189_5 Depth=1
                                        ; =>  This Inner Loop Header: Depth=2
	s_add_i32 s16, s29, 2
	s_lshr_b32 s33, s16, 4
	s_and_b32 s31, s16, 0x3ffffff8
	v_lshl_add_u32 v128, s31, 2, v104
	s_lshl_b32 s31, s33, 5
	s_addk_i32 s31, 0x4200
	v_add3_u32 v129, s31, v109, v110
	ds_read_b32 v92, v93
	ds_read_b128 v[6:9], v91
	ds_read_b128 v[2:5], v91 offset:16
	ds_read2_b32 v[94:95], v128 offset1:1
	ds_read2_b32 v[130:131], v129 offset1:1
	s_add_i32 s17, s29, -6
	s_and_b32 s30, s2, -16
	s_add_i32 s30, s29, s30
	s_waitcnt lgkmcnt(1)
	v_ashrrev_i32_e32 v94, s17, v94
	s_waitcnt lgkmcnt(0)
	v_ashrrev_i32_e32 v130, s3, v130
	v_lshlrev_b32_e32 v130, 2, v130
	v_bfe_u32 v96, v94, 24, 2
	v_and_b32_e32 v94, 0x3030303, v94
	v_and_b32_e32 v130, 0x4040404, v130
	v_sub_u16_e32 v132, v94, v130
	v_sub_u16_sdwa v133, v94, v130 dst_sel:BYTE_1 dst_unused:UNUSED_PAD src0_sel:BYTE_1 src1_sel:BYTE_1
	v_sub_u16_sdwa v94, v94, v130 dst_sel:DWORD dst_unused:UNUSED_PAD src0_sel:WORD_1 src1_sel:WORD_1
	v_sub_u16_sdwa v96, v96, v130 dst_sel:BYTE_1 dst_unused:UNUSED_PAD src0_sel:DWORD src1_sel:BYTE_3
	v_bitop3_b16 v132, v132, v133, s23 bitop3:0xec
	v_bitop3_b16 v94, v94, v96, s23 bitop3:0xec
	v_lshlrev_b32_e32 v94, 16, v94
	v_ashrrev_i32_e32 v130, s3, v131
	v_or_b32_sdwa v96, v132, v94 dst_sel:DWORD dst_unused:UNUSED_PAD src0_sel:WORD_0 src1_sel:DWORD
	v_ashrrev_i32_e32 v94, s17, v95
	v_lshlrev_b32_e32 v130, 2, v130
	v_bfe_u32 v95, v94, 24, 2
	v_and_b32_e32 v94, 0x3030303, v94
	v_and_b32_e32 v130, 0x4040404, v130
	v_sub_u16_e32 v131, v94, v130
	v_sub_u16_sdwa v132, v94, v130 dst_sel:BYTE_1 dst_unused:UNUSED_PAD src0_sel:BYTE_1 src1_sel:BYTE_1
	v_sub_u16_sdwa v94, v94, v130 dst_sel:DWORD dst_unused:UNUSED_PAD src0_sel:WORD_1 src1_sel:WORD_1
	v_sub_u16_sdwa v95, v95, v130 dst_sel:BYTE_1 dst_unused:UNUSED_PAD src0_sel:DWORD src1_sel:BYTE_3
	v_bitop3_b16 v131, v131, v132, s23 bitop3:0xec
	v_bitop3_b16 v94, v94, v95, s23 bitop3:0xec
	v_lshlrev_b32_e32 v94, 16, v94
	v_or_b32_sdwa v132, v131, v94 dst_sel:DWORD dst_unused:UNUSED_PAD src0_sel:WORD_0 src1_sel:DWORD
	ds_read2_b32 v[94:95], v128 offset0:2 offset1:3
	ds_read2_b32 v[130:131], v129 offset0:2 offset1:3
	s_lshl_b32 s29, s33, 2
	s_addk_i32 s29, 0x7380
	s_add_i32 s2, s2, 2
	s_waitcnt lgkmcnt(1)
	v_ashrrev_i32_e32 v94, s17, v94
	s_waitcnt lgkmcnt(0)
	v_ashrrev_i32_e32 v130, s3, v130
	v_lshlrev_b32_e32 v130, 2, v130
	v_bfe_u32 v133, v94, 24, 2
	v_and_b32_e32 v94, 0x3030303, v94
	v_and_b32_e32 v130, 0x4040404, v130
	v_sub_u16_e32 v134, v94, v130
	v_sub_u16_sdwa v135, v94, v130 dst_sel:BYTE_1 dst_unused:UNUSED_PAD src0_sel:BYTE_1 src1_sel:BYTE_1
	v_sub_u16_sdwa v94, v94, v130 dst_sel:DWORD dst_unused:UNUSED_PAD src0_sel:WORD_1 src1_sel:WORD_1
	v_sub_u16_sdwa v130, v133, v130 dst_sel:BYTE_1 dst_unused:UNUSED_PAD src0_sel:DWORD src1_sel:BYTE_3
	v_bitop3_b16 v134, v134, v135, s23 bitop3:0xec
	v_bitop3_b16 v94, v94, v130, s23 bitop3:0xec
	v_lshlrev_b32_e32 v94, 16, v94
	v_ashrrev_i32_e32 v130, s3, v131
	v_or_b32_sdwa v133, v134, v94 dst_sel:DWORD dst_unused:UNUSED_PAD src0_sel:WORD_0 src1_sel:DWORD
	v_ashrrev_i32_e32 v94, s17, v95
	v_lshlrev_b32_e32 v130, 2, v130
	v_bfe_u32 v95, v94, 24, 2
	v_and_b32_e32 v94, 0x3030303, v94
	v_and_b32_e32 v130, 0x4040404, v130
	v_sub_u16_e32 v131, v94, v130
	v_sub_u16_sdwa v134, v94, v130 dst_sel:BYTE_1 dst_unused:UNUSED_PAD src0_sel:BYTE_1 src1_sel:BYTE_1
	v_sub_u16_sdwa v94, v94, v130 dst_sel:DWORD dst_unused:UNUSED_PAD src0_sel:WORD_1 src1_sel:WORD_1
	v_sub_u16_sdwa v95, v95, v130 dst_sel:BYTE_1 dst_unused:UNUSED_PAD src0_sel:DWORD src1_sel:BYTE_3
	v_bitop3_b16 v131, v131, v134, s23 bitop3:0xec
	v_bitop3_b16 v94, v94, v95, s23 bitop3:0xec
	v_lshlrev_b32_e32 v94, 16, v94
	v_or_b32_sdwa v134, v131, v94 dst_sel:DWORD dst_unused:UNUSED_PAD src0_sel:WORD_0 src1_sel:DWORD
	ds_read2_b32 v[94:95], v128 offset0:4 offset1:5
	ds_read2_b32 v[130:131], v129 offset0:4 offset1:5
	v_add_u32_e32 v91, 32, v91
	s_waitcnt lgkmcnt(1)
	v_ashrrev_i32_e32 v94, s17, v94
	s_waitcnt lgkmcnt(0)
	v_ashrrev_i32_e32 v130, s3, v130
	v_lshlrev_b32_e32 v130, 2, v130
	v_bfe_u32 v135, v94, 24, 2
	v_and_b32_e32 v94, 0x3030303, v94
	v_and_b32_e32 v130, 0x4040404, v130
	v_sub_u16_e32 v136, v94, v130
	v_sub_u16_sdwa v137, v94, v130 dst_sel:BYTE_1 dst_unused:UNUSED_PAD src0_sel:BYTE_1 src1_sel:BYTE_1
	v_sub_u16_sdwa v94, v94, v130 dst_sel:DWORD dst_unused:UNUSED_PAD src0_sel:WORD_1 src1_sel:WORD_1
	v_sub_u16_sdwa v130, v135, v130 dst_sel:BYTE_1 dst_unused:UNUSED_PAD src0_sel:DWORD src1_sel:BYTE_3
	v_bitop3_b16 v136, v136, v137, s23 bitop3:0xec
	v_bitop3_b16 v94, v94, v130, s23 bitop3:0xec
	v_lshlrev_b32_e32 v94, 16, v94
	v_ashrrev_i32_e32 v130, s3, v131
	v_or_b32_sdwa v135, v136, v94 dst_sel:DWORD dst_unused:UNUSED_PAD src0_sel:WORD_0 src1_sel:DWORD
	v_ashrrev_i32_e32 v94, s17, v95
	v_lshlrev_b32_e32 v130, 2, v130
	v_bfe_u32 v95, v94, 24, 2
	v_and_b32_e32 v94, 0x3030303, v94
	v_and_b32_e32 v130, 0x4040404, v130
	v_sub_u16_e32 v131, v94, v130
	v_sub_u16_sdwa v136, v94, v130 dst_sel:BYTE_1 dst_unused:UNUSED_PAD src0_sel:BYTE_1 src1_sel:BYTE_1
	v_sub_u16_sdwa v94, v94, v130 dst_sel:DWORD dst_unused:UNUSED_PAD src0_sel:WORD_1 src1_sel:WORD_1
	v_sub_u16_sdwa v95, v95, v130 dst_sel:BYTE_1 dst_unused:UNUSED_PAD src0_sel:DWORD src1_sel:BYTE_3
	v_bitop3_b16 v131, v131, v136, s23 bitop3:0xec
	v_bitop3_b16 v94, v94, v95, s23 bitop3:0xec
	v_lshlrev_b32_e32 v94, 16, v94
	v_or_b32_sdwa v136, v131, v94 dst_sel:DWORD dst_unused:UNUSED_PAD src0_sel:WORD_0 src1_sel:DWORD
	ds_read2_b32 v[94:95], v128 offset0:6 offset1:7
	ds_read2_b32 v[130:131], v129 offset0:6 offset1:7
	s_waitcnt lgkmcnt(1)
	v_ashrrev_i32_e32 v94, s17, v94
	s_waitcnt lgkmcnt(0)
	v_ashrrev_i32_e32 v129, s3, v130
	v_lshlrev_b32_e32 v129, 2, v129
	v_bfe_u32 v137, v94, 24, 2
	v_and_b32_e32 v94, 0x3030303, v94
	v_and_b32_e32 v129, 0x4040404, v129
	v_sub_u16_e32 v130, v94, v129
	v_sub_u16_sdwa v138, v94, v129 dst_sel:BYTE_1 dst_unused:UNUSED_PAD src0_sel:BYTE_1 src1_sel:BYTE_1
	v_sub_u16_sdwa v94, v94, v129 dst_sel:DWORD dst_unused:UNUSED_PAD src0_sel:WORD_1 src1_sel:WORD_1
	v_sub_u16_sdwa v129, v137, v129 dst_sel:BYTE_1 dst_unused:UNUSED_PAD src0_sel:DWORD src1_sel:BYTE_3
	v_bitop3_b16 v130, v130, v138, s23 bitop3:0xec
	v_bitop3_b16 v94, v94, v129, s23 bitop3:0xec
	v_lshlrev_b32_e32 v94, 16, v94
	v_or_b32_sdwa v129, v130, v94 dst_sel:DWORD dst_unused:UNUSED_PAD src0_sel:WORD_0 src1_sel:DWORD
	v_ashrrev_i32_e32 v130, s3, v131
	v_ashrrev_i32_e32 v94, s17, v95
	v_lshlrev_b32_e32 v130, 2, v130
	v_bfe_u32 v95, v94, 24, 2
	v_and_b32_e32 v94, 0x3030303, v94
	v_and_b32_e32 v130, 0x4040404, v130
	v_sub_u16_e32 v131, v94, v130
	v_sub_u16_sdwa v137, v94, v130 dst_sel:BYTE_1 dst_unused:UNUSED_PAD src0_sel:BYTE_1 src1_sel:BYTE_1
	v_sub_u16_sdwa v94, v94, v130 dst_sel:DWORD dst_unused:UNUSED_PAD src0_sel:WORD_1 src1_sel:WORD_1
	v_sub_u16_sdwa v95, v95, v130 dst_sel:BYTE_1 dst_unused:UNUSED_PAD src0_sel:DWORD src1_sel:BYTE_3
	v_bitop3_b16 v131, v131, v137, s23 bitop3:0xec
	v_bitop3_b16 v94, v94, v95, s23 bitop3:0xec
	v_lshlrev_b32_e32 v94, 16, v94
	v_or_b32_sdwa v95, v131, v94 dst_sel:DWORD dst_unused:UNUSED_PAD src0_sel:WORD_0 src1_sel:DWORD
	v_mov_b32_e32 v131, 0
	v_dot4c_i32_i8_e32 v131, v96, v6
	v_dot4c_i32_i8_e32 v131, v132, v7
	;; [unrolled: 1-line block ×4, first 2 shown]
	v_mov_b32_e32 v134, 0
	v_dot4c_i32_i8_e32 v134, v135, v2
	v_dot4c_i32_i8_e32 v134, v136, v3
	v_add_u32_e32 v130, s30, v81
	v_dot4c_i32_i8_e32 v134, v129, v4
	v_dot4c_i32_i8_e32 v134, v95, v5
	ds_read_u16 v95, v130 offset:25346
	v_add3_u32 v94, s29, v127, v111
	v_add3_u32 v135, s31, v112, v113
	ds_read_b32 v94, v94
	ds_read2_b32 v[132:133], v135 offset1:1
	s_waitcnt lgkmcnt(2)
	v_lshrrev_b16_e32 v96, 8, v95
	v_bfe_i32 v95, v95, 0, 8
	v_bfe_i32 v129, v96, 0, 8
	v_mul_lo_u32 v96, v131, v95
	v_add_u32_e32 v95, 0x1080, v128
	ds_read2_b32 v[130:131], v95 offset1:1
	s_waitcnt lgkmcnt(1)
	v_ashrrev_i32_e32 v132, s3, v132
	v_lshlrev_b32_e32 v132, 2, v132
	v_and_b32_e32 v132, 0x4040404, v132
	s_waitcnt lgkmcnt(0)
	v_ashrrev_i32_e32 v95, s17, v130
	v_bfe_u32 v130, v95, 24, 2
	v_and_b32_e32 v95, 0x3030303, v95
	v_sub_u16_e32 v136, v95, v132
	v_sub_u16_sdwa v137, v95, v132 dst_sel:BYTE_1 dst_unused:UNUSED_PAD src0_sel:BYTE_1 src1_sel:BYTE_1
	v_sub_u16_sdwa v95, v95, v132 dst_sel:DWORD dst_unused:UNUSED_PAD src0_sel:WORD_1 src1_sel:WORD_1
	v_sub_u16_sdwa v130, v130, v132 dst_sel:BYTE_1 dst_unused:UNUSED_PAD src0_sel:DWORD src1_sel:BYTE_3
	v_bitop3_b16 v136, v136, v137, s23 bitop3:0xec
	v_bitop3_b16 v95, v95, v130, s23 bitop3:0xec
	v_lshlrev_b32_e32 v95, 16, v95
	v_or_b32_sdwa v136, v136, v95 dst_sel:DWORD dst_unused:UNUSED_PAD src0_sel:WORD_0 src1_sel:DWORD
	v_ashrrev_i32_e32 v95, s17, v131
	v_ashrrev_i32_e32 v131, s3, v133
	v_lshlrev_b32_e32 v131, 2, v131
	v_bfe_u32 v130, v95, 24, 2
	v_and_b32_e32 v95, 0x3030303, v95
	v_and_b32_e32 v131, 0x4040404, v131
	v_sub_u16_e32 v132, v95, v131
	v_sub_u16_sdwa v133, v95, v131 dst_sel:BYTE_1 dst_unused:UNUSED_PAD src0_sel:BYTE_1 src1_sel:BYTE_1
	v_sub_u16_sdwa v95, v95, v131 dst_sel:DWORD dst_unused:UNUSED_PAD src0_sel:WORD_1 src1_sel:WORD_1
	v_sub_u16_sdwa v130, v130, v131 dst_sel:BYTE_1 dst_unused:UNUSED_PAD src0_sel:DWORD src1_sel:BYTE_3
	v_bitop3_b16 v132, v132, v133, s23 bitop3:0xec
	v_bitop3_b16 v95, v95, v130, s23 bitop3:0xec
	v_lshlrev_b32_e32 v95, 16, v95
	v_or_b32_sdwa v137, v132, v95 dst_sel:DWORD dst_unused:UNUSED_PAD src0_sel:WORD_0 src1_sel:DWORD
	v_add_u32_e32 v95, 0x1088, v128
	ds_read2_b32 v[130:131], v95 offset1:1
	ds_read2_b32 v[132:133], v135 offset0:2 offset1:3
	s_waitcnt lgkmcnt(1)
	v_ashrrev_i32_e32 v95, s17, v130
	s_waitcnt lgkmcnt(0)
	v_ashrrev_i32_e32 v132, s3, v132
	v_lshlrev_b32_e32 v132, 2, v132
	v_bfe_u32 v130, v95, 24, 2
	v_and_b32_e32 v95, 0x3030303, v95
	v_and_b32_e32 v132, 0x4040404, v132
	v_sub_u16_e32 v138, v95, v132
	v_sub_u16_sdwa v139, v95, v132 dst_sel:BYTE_1 dst_unused:UNUSED_PAD src0_sel:BYTE_1 src1_sel:BYTE_1
	v_sub_u16_sdwa v95, v95, v132 dst_sel:DWORD dst_unused:UNUSED_PAD src0_sel:WORD_1 src1_sel:WORD_1
	v_sub_u16_sdwa v130, v130, v132 dst_sel:BYTE_1 dst_unused:UNUSED_PAD src0_sel:DWORD src1_sel:BYTE_3
	v_bitop3_b16 v138, v138, v139, s23 bitop3:0xec
	v_bitop3_b16 v95, v95, v130, s23 bitop3:0xec
	v_lshlrev_b32_e32 v95, 16, v95
	v_or_b32_sdwa v138, v138, v95 dst_sel:DWORD dst_unused:UNUSED_PAD src0_sel:WORD_0 src1_sel:DWORD
	v_ashrrev_i32_e32 v95, s17, v131
	v_ashrrev_i32_e32 v131, s3, v133
	v_lshlrev_b32_e32 v131, 2, v131
	v_bfe_u32 v130, v95, 24, 2
	v_and_b32_e32 v95, 0x3030303, v95
	v_and_b32_e32 v131, 0x4040404, v131
	v_sub_u16_e32 v132, v95, v131
	v_sub_u16_sdwa v133, v95, v131 dst_sel:BYTE_1 dst_unused:UNUSED_PAD src0_sel:BYTE_1 src1_sel:BYTE_1
	v_sub_u16_sdwa v95, v95, v131 dst_sel:DWORD dst_unused:UNUSED_PAD src0_sel:WORD_1 src1_sel:WORD_1
	v_sub_u16_sdwa v130, v130, v131 dst_sel:BYTE_1 dst_unused:UNUSED_PAD src0_sel:DWORD src1_sel:BYTE_3
	v_bitop3_b16 v132, v132, v133, s23 bitop3:0xec
	v_bitop3_b16 v95, v95, v130, s23 bitop3:0xec
	v_lshlrev_b32_e32 v95, 16, v95
	v_or_b32_sdwa v139, v132, v95 dst_sel:DWORD dst_unused:UNUSED_PAD src0_sel:WORD_0 src1_sel:DWORD
	v_add_u32_e32 v95, 0x1090, v128
	ds_read2_b32 v[130:131], v95 offset1:1
	ds_read2_b32 v[132:133], v135 offset0:4 offset1:5
	s_waitcnt lgkmcnt(1)
	v_ashrrev_i32_e32 v95, s17, v130
	s_waitcnt lgkmcnt(0)
	v_ashrrev_i32_e32 v132, s3, v132
	v_lshlrev_b32_e32 v132, 2, v132
	v_bfe_u32 v130, v95, 24, 2
	v_and_b32_e32 v95, 0x3030303, v95
	;; [unrolled: 33-line block ×3, first 2 shown]
	v_and_b32_e32 v132, 0x4040404, v132
	v_sub_u16_e32 v135, v95, v132
	v_sub_u16_sdwa v142, v95, v132 dst_sel:BYTE_1 dst_unused:UNUSED_PAD src0_sel:BYTE_1 src1_sel:BYTE_1
	v_sub_u16_sdwa v95, v95, v132 dst_sel:DWORD dst_unused:UNUSED_PAD src0_sel:WORD_1 src1_sel:WORD_1
	v_sub_u16_sdwa v130, v130, v132 dst_sel:BYTE_1 dst_unused:UNUSED_PAD src0_sel:DWORD src1_sel:BYTE_3
	v_bitop3_b16 v135, v135, v142, s23 bitop3:0xec
	v_bitop3_b16 v95, v95, v130, s23 bitop3:0xec
	v_lshlrev_b32_e32 v95, 16, v95
	v_or_b32_sdwa v132, v135, v95 dst_sel:DWORD dst_unused:UNUSED_PAD src0_sel:WORD_0 src1_sel:DWORD
	v_ashrrev_i32_e32 v95, s17, v131
	v_ashrrev_i32_e32 v131, s3, v133
	v_lshlrev_b32_e32 v131, 2, v131
	v_bfe_u32 v130, v95, 24, 2
	v_and_b32_e32 v95, 0x3030303, v95
	v_and_b32_e32 v131, 0x4040404, v131
	v_sub_u16_e32 v133, v95, v131
	v_sub_u16_sdwa v135, v95, v131 dst_sel:BYTE_1 dst_unused:UNUSED_PAD src0_sel:BYTE_1 src1_sel:BYTE_1
	v_sub_u16_sdwa v95, v95, v131 dst_sel:DWORD dst_unused:UNUSED_PAD src0_sel:WORD_1 src1_sel:WORD_1
	v_sub_u16_sdwa v130, v130, v131 dst_sel:BYTE_1 dst_unused:UNUSED_PAD src0_sel:DWORD src1_sel:BYTE_3
	v_bitop3_b16 v133, v133, v135, s23 bitop3:0xec
	v_bitop3_b16 v95, v95, v130, s23 bitop3:0xec
	v_lshlrev_b32_e32 v95, 16, v95
	v_or_b32_sdwa v131, v133, v95 dst_sel:DWORD dst_unused:UNUSED_PAD src0_sel:WORD_0 src1_sel:DWORD
	v_add_u32_e32 v130, s30, v79
	v_add3_u32 v95, s29, v114, v115
	ds_read_b32 v95, v95
	ds_read_u16 v130, v130 offset:26370
	v_mov_b32_e32 v133, 0
	v_dot4c_i32_i8_e32 v133, v136, v6
	v_mov_b32_e32 v136, 0
	v_dot4c_i32_i8_e32 v133, v137, v7
	v_dot4c_i32_i8_e32 v136, v140, v2
	;; [unrolled: 1-line block ×5, first 2 shown]
	s_waitcnt lgkmcnt(0)
	v_lshrrev_b16_e32 v135, 8, v130
	v_bfe_i32 v130, v130, 0, 8
	v_dot4c_i32_i8_e32 v136, v132, v4
	v_mul_lo_u32 v130, v133, v130
	v_dot4c_i32_i8_e32 v136, v131, v5
	v_bfe_i32 v131, v135, 0, 8
	v_mad_u64_u32 v[132:133], s[34:35], v134, v129, v[96:97]
	s_nop 0
	v_mad_u64_u32 v[130:131], s[34:35], v136, v131, v[130:131]
	v_cvt_f32_i32_e32 v131, v130
	v_cvt_f32_i32_e32 v130, v132
	v_pk_mul_f32 v[94:95], v[92:93], v[94:95] op_sel_hi:[0,1]
	v_add3_u32 v129, s31, v116, v117
	v_pk_fma_f32 v[32:33], v[94:95], v[130:131], v[32:33]
	v_add_u32_e32 v94, 0x2100, v128
	ds_read2_b32 v[94:95], v94 offset1:1
	ds_read2_b32 v[130:131], v129 offset1:1
	s_waitcnt lgkmcnt(1)
	v_ashrrev_i32_e32 v94, s17, v94
	s_waitcnt lgkmcnt(0)
	v_ashrrev_i32_e32 v130, s3, v130
	v_lshlrev_b32_e32 v130, 2, v130
	v_bfe_u32 v96, v94, 24, 2
	v_and_b32_e32 v94, 0x3030303, v94
	v_and_b32_e32 v130, 0x4040404, v130
	v_sub_u16_e32 v132, v94, v130
	v_sub_u16_sdwa v133, v94, v130 dst_sel:BYTE_1 dst_unused:UNUSED_PAD src0_sel:BYTE_1 src1_sel:BYTE_1
	v_sub_u16_sdwa v94, v94, v130 dst_sel:DWORD dst_unused:UNUSED_PAD src0_sel:WORD_1 src1_sel:WORD_1
	v_sub_u16_sdwa v96, v96, v130 dst_sel:BYTE_1 dst_unused:UNUSED_PAD src0_sel:DWORD src1_sel:BYTE_3
	v_bitop3_b16 v132, v132, v133, s23 bitop3:0xec
	v_bitop3_b16 v94, v94, v96, s23 bitop3:0xec
	v_lshlrev_b32_e32 v94, 16, v94
	v_ashrrev_i32_e32 v130, s3, v131
	v_or_b32_sdwa v96, v132, v94 dst_sel:DWORD dst_unused:UNUSED_PAD src0_sel:WORD_0 src1_sel:DWORD
	v_ashrrev_i32_e32 v94, s17, v95
	v_lshlrev_b32_e32 v130, 2, v130
	v_bfe_u32 v95, v94, 24, 2
	v_and_b32_e32 v94, 0x3030303, v94
	v_and_b32_e32 v130, 0x4040404, v130
	v_sub_u16_e32 v131, v94, v130
	v_sub_u16_sdwa v132, v94, v130 dst_sel:BYTE_1 dst_unused:UNUSED_PAD src0_sel:BYTE_1 src1_sel:BYTE_1
	v_sub_u16_sdwa v94, v94, v130 dst_sel:DWORD dst_unused:UNUSED_PAD src0_sel:WORD_1 src1_sel:WORD_1
	v_sub_u16_sdwa v95, v95, v130 dst_sel:BYTE_1 dst_unused:UNUSED_PAD src0_sel:DWORD src1_sel:BYTE_3
	v_bitop3_b16 v131, v131, v132, s23 bitop3:0xec
	v_bitop3_b16 v94, v94, v95, s23 bitop3:0xec
	v_lshlrev_b32_e32 v94, 16, v94
	v_or_b32_sdwa v132, v131, v94 dst_sel:DWORD dst_unused:UNUSED_PAD src0_sel:WORD_0 src1_sel:DWORD
	v_add_u32_e32 v94, 0x2108, v128
	ds_read2_b32 v[94:95], v94 offset1:1
	ds_read2_b32 v[130:131], v129 offset0:2 offset1:3
	s_waitcnt lgkmcnt(1)
	v_ashrrev_i32_e32 v94, s17, v94
	s_waitcnt lgkmcnt(0)
	v_ashrrev_i32_e32 v130, s3, v130
	v_lshlrev_b32_e32 v130, 2, v130
	v_bfe_u32 v133, v94, 24, 2
	v_and_b32_e32 v94, 0x3030303, v94
	v_and_b32_e32 v130, 0x4040404, v130
	v_sub_u16_e32 v134, v94, v130
	v_sub_u16_sdwa v135, v94, v130 dst_sel:BYTE_1 dst_unused:UNUSED_PAD src0_sel:BYTE_1 src1_sel:BYTE_1
	v_sub_u16_sdwa v94, v94, v130 dst_sel:DWORD dst_unused:UNUSED_PAD src0_sel:WORD_1 src1_sel:WORD_1
	v_sub_u16_sdwa v130, v133, v130 dst_sel:BYTE_1 dst_unused:UNUSED_PAD src0_sel:DWORD src1_sel:BYTE_3
	v_bitop3_b16 v134, v134, v135, s23 bitop3:0xec
	v_bitop3_b16 v94, v94, v130, s23 bitop3:0xec
	v_lshlrev_b32_e32 v94, 16, v94
	v_ashrrev_i32_e32 v130, s3, v131
	v_or_b32_sdwa v133, v134, v94 dst_sel:DWORD dst_unused:UNUSED_PAD src0_sel:WORD_0 src1_sel:DWORD
	v_ashrrev_i32_e32 v94, s17, v95
	v_lshlrev_b32_e32 v130, 2, v130
	v_bfe_u32 v95, v94, 24, 2
	v_and_b32_e32 v94, 0x3030303, v94
	v_and_b32_e32 v130, 0x4040404, v130
	v_sub_u16_e32 v131, v94, v130
	v_sub_u16_sdwa v134, v94, v130 dst_sel:BYTE_1 dst_unused:UNUSED_PAD src0_sel:BYTE_1 src1_sel:BYTE_1
	v_sub_u16_sdwa v94, v94, v130 dst_sel:DWORD dst_unused:UNUSED_PAD src0_sel:WORD_1 src1_sel:WORD_1
	v_sub_u16_sdwa v95, v95, v130 dst_sel:BYTE_1 dst_unused:UNUSED_PAD src0_sel:DWORD src1_sel:BYTE_3
	v_bitop3_b16 v131, v131, v134, s23 bitop3:0xec
	v_bitop3_b16 v94, v94, v95, s23 bitop3:0xec
	v_lshlrev_b32_e32 v94, 16, v94
	v_or_b32_sdwa v134, v131, v94 dst_sel:DWORD dst_unused:UNUSED_PAD src0_sel:WORD_0 src1_sel:DWORD
	v_add_u32_e32 v94, 0x2110, v128
	ds_read2_b32 v[94:95], v94 offset1:1
	ds_read2_b32 v[130:131], v129 offset0:4 offset1:5
	;; [unrolled: 33-line block ×3, first 2 shown]
	s_waitcnt lgkmcnt(1)
	v_ashrrev_i32_e32 v94, s17, v94
	s_waitcnt lgkmcnt(0)
	v_ashrrev_i32_e32 v129, s3, v130
	v_lshlrev_b32_e32 v129, 2, v129
	v_bfe_u32 v137, v94, 24, 2
	v_and_b32_e32 v94, 0x3030303, v94
	v_and_b32_e32 v129, 0x4040404, v129
	v_sub_u16_e32 v130, v94, v129
	v_sub_u16_sdwa v138, v94, v129 dst_sel:BYTE_1 dst_unused:UNUSED_PAD src0_sel:BYTE_1 src1_sel:BYTE_1
	v_sub_u16_sdwa v94, v94, v129 dst_sel:DWORD dst_unused:UNUSED_PAD src0_sel:WORD_1 src1_sel:WORD_1
	v_sub_u16_sdwa v129, v137, v129 dst_sel:BYTE_1 dst_unused:UNUSED_PAD src0_sel:DWORD src1_sel:BYTE_3
	v_bitop3_b16 v130, v130, v138, s23 bitop3:0xec
	v_bitop3_b16 v94, v94, v129, s23 bitop3:0xec
	v_lshlrev_b32_e32 v94, 16, v94
	v_ashrrev_i32_e32 v129, s3, v131
	v_or_b32_sdwa v130, v130, v94 dst_sel:DWORD dst_unused:UNUSED_PAD src0_sel:WORD_0 src1_sel:DWORD
	v_ashrrev_i32_e32 v94, s17, v95
	v_lshlrev_b32_e32 v129, 2, v129
	v_bfe_u32 v95, v94, 24, 2
	v_and_b32_e32 v94, 0x3030303, v94
	v_and_b32_e32 v129, 0x4040404, v129
	v_sub_u16_e32 v131, v94, v129
	v_sub_u16_sdwa v137, v94, v129 dst_sel:BYTE_1 dst_unused:UNUSED_PAD src0_sel:BYTE_1 src1_sel:BYTE_1
	v_sub_u16_sdwa v94, v94, v129 dst_sel:DWORD dst_unused:UNUSED_PAD src0_sel:WORD_1 src1_sel:WORD_1
	v_sub_u16_sdwa v95, v95, v129 dst_sel:BYTE_1 dst_unused:UNUSED_PAD src0_sel:DWORD src1_sel:BYTE_3
	v_mov_b32_e32 v129, 0
	v_bitop3_b16 v94, v94, v95, s23 bitop3:0xec
	v_dot4c_i32_i8_e32 v129, v135, v2
	v_bitop3_b16 v131, v131, v137, s23 bitop3:0xec
	v_lshlrev_b32_e32 v94, 16, v94
	v_dot4c_i32_i8_e32 v129, v136, v3
	v_or_b32_sdwa v95, v131, v94 dst_sel:DWORD dst_unused:UNUSED_PAD src0_sel:WORD_0 src1_sel:DWORD
	v_add_u32_e32 v131, s30, v77
	v_dot4c_i32_i8_e32 v129, v130, v4
	v_dot4c_i32_i8_e32 v129, v95, v5
	ds_read_u16 v95, v131 offset:27394
	v_mov_b32_e32 v137, 0
	v_dot4c_i32_i8_e32 v137, v96, v6
	v_dot4c_i32_i8_e32 v137, v132, v7
	;; [unrolled: 1-line block ×4, first 2 shown]
	s_waitcnt lgkmcnt(0)
	v_lshrrev_b16_e32 v96, 8, v95
	v_bfe_i32 v95, v95, 0, 8
	v_add3_u32 v94, s29, v118, v119
	v_bfe_i32 v130, v96, 0, 8
	v_mul_lo_u32 v96, v137, v95
	v_add_u32_e32 v95, 0x3180, v128
	v_add3_u32 v136, s31, v120, v121
	ds_read_b32 v94, v94
	ds_read2_b32 v[132:133], v95 offset1:1
	ds_read2_b32 v[134:135], v136 offset1:1
	s_waitcnt lgkmcnt(1)
	v_ashrrev_i32_e32 v95, s17, v132
	s_waitcnt lgkmcnt(0)
	v_ashrrev_i32_e32 v132, s3, v134
	v_lshlrev_b32_e32 v132, 2, v132
	v_bfe_u32 v131, v95, 24, 2
	v_and_b32_e32 v95, 0x3030303, v95
	v_and_b32_e32 v132, 0x4040404, v132
	v_sub_u16_e32 v134, v95, v132
	v_sub_u16_sdwa v137, v95, v132 dst_sel:BYTE_1 dst_unused:UNUSED_PAD src0_sel:BYTE_1 src1_sel:BYTE_1
	v_sub_u16_sdwa v95, v95, v132 dst_sel:DWORD dst_unused:UNUSED_PAD src0_sel:WORD_1 src1_sel:WORD_1
	v_sub_u16_sdwa v131, v131, v132 dst_sel:BYTE_1 dst_unused:UNUSED_PAD src0_sel:DWORD src1_sel:BYTE_3
	v_bitop3_b16 v134, v134, v137, s23 bitop3:0xec
	v_bitop3_b16 v95, v95, v131, s23 bitop3:0xec
	v_lshlrev_b32_e32 v95, 16, v95
	v_or_b32_sdwa v131, v134, v95 dst_sel:DWORD dst_unused:UNUSED_PAD src0_sel:WORD_0 src1_sel:DWORD
	v_ashrrev_i32_e32 v95, s17, v133
	v_ashrrev_i32_e32 v133, s3, v135
	v_lshlrev_b32_e32 v133, 2, v133
	v_bfe_u32 v132, v95, 24, 2
	v_and_b32_e32 v95, 0x3030303, v95
	v_and_b32_e32 v133, 0x4040404, v133
	v_sub_u16_e32 v134, v95, v133
	v_sub_u16_sdwa v135, v95, v133 dst_sel:BYTE_1 dst_unused:UNUSED_PAD src0_sel:BYTE_1 src1_sel:BYTE_1
	v_sub_u16_sdwa v95, v95, v133 dst_sel:DWORD dst_unused:UNUSED_PAD src0_sel:WORD_1 src1_sel:WORD_1
	v_sub_u16_sdwa v132, v132, v133 dst_sel:BYTE_1 dst_unused:UNUSED_PAD src0_sel:DWORD src1_sel:BYTE_3
	v_bitop3_b16 v134, v134, v135, s23 bitop3:0xec
	v_bitop3_b16 v95, v95, v132, s23 bitop3:0xec
	v_lshlrev_b32_e32 v95, 16, v95
	v_or_b32_sdwa v137, v134, v95 dst_sel:DWORD dst_unused:UNUSED_PAD src0_sel:WORD_0 src1_sel:DWORD
	v_add_u32_e32 v95, 0x3188, v128
	ds_read2_b32 v[132:133], v95 offset1:1
	ds_read2_b32 v[134:135], v136 offset0:2 offset1:3
	s_waitcnt lgkmcnt(1)
	v_ashrrev_i32_e32 v95, s17, v132
	s_waitcnt lgkmcnt(0)
	v_ashrrev_i32_e32 v134, s3, v134
	v_lshlrev_b32_e32 v134, 2, v134
	v_bfe_u32 v132, v95, 24, 2
	v_and_b32_e32 v95, 0x3030303, v95
	v_and_b32_e32 v134, 0x4040404, v134
	v_sub_u16_e32 v138, v95, v134
	v_sub_u16_sdwa v139, v95, v134 dst_sel:BYTE_1 dst_unused:UNUSED_PAD src0_sel:BYTE_1 src1_sel:BYTE_1
	v_sub_u16_sdwa v95, v95, v134 dst_sel:DWORD dst_unused:UNUSED_PAD src0_sel:WORD_1 src1_sel:WORD_1
	v_sub_u16_sdwa v132, v132, v134 dst_sel:BYTE_1 dst_unused:UNUSED_PAD src0_sel:DWORD src1_sel:BYTE_3
	v_bitop3_b16 v138, v138, v139, s23 bitop3:0xec
	v_bitop3_b16 v95, v95, v132, s23 bitop3:0xec
	v_lshlrev_b32_e32 v95, 16, v95
	v_or_b32_sdwa v138, v138, v95 dst_sel:DWORD dst_unused:UNUSED_PAD src0_sel:WORD_0 src1_sel:DWORD
	v_ashrrev_i32_e32 v95, s17, v133
	v_ashrrev_i32_e32 v133, s3, v135
	v_lshlrev_b32_e32 v133, 2, v133
	v_bfe_u32 v132, v95, 24, 2
	v_and_b32_e32 v95, 0x3030303, v95
	v_and_b32_e32 v133, 0x4040404, v133
	v_sub_u16_e32 v134, v95, v133
	v_sub_u16_sdwa v135, v95, v133 dst_sel:BYTE_1 dst_unused:UNUSED_PAD src0_sel:BYTE_1 src1_sel:BYTE_1
	v_sub_u16_sdwa v95, v95, v133 dst_sel:DWORD dst_unused:UNUSED_PAD src0_sel:WORD_1 src1_sel:WORD_1
	v_sub_u16_sdwa v132, v132, v133 dst_sel:BYTE_1 dst_unused:UNUSED_PAD src0_sel:DWORD src1_sel:BYTE_3
	v_bitop3_b16 v134, v134, v135, s23 bitop3:0xec
	v_bitop3_b16 v95, v95, v132, s23 bitop3:0xec
	v_lshlrev_b32_e32 v95, 16, v95
	v_or_b32_sdwa v139, v134, v95 dst_sel:DWORD dst_unused:UNUSED_PAD src0_sel:WORD_0 src1_sel:DWORD
	v_add_u32_e32 v95, 0x3190, v128
	ds_read2_b32 v[132:133], v95 offset1:1
	ds_read2_b32 v[134:135], v136 offset0:4 offset1:5
	s_waitcnt lgkmcnt(1)
	v_ashrrev_i32_e32 v95, s17, v132
	s_waitcnt lgkmcnt(0)
	v_ashrrev_i32_e32 v134, s3, v134
	v_lshlrev_b32_e32 v134, 2, v134
	v_bfe_u32 v132, v95, 24, 2
	v_and_b32_e32 v95, 0x3030303, v95
	v_and_b32_e32 v134, 0x4040404, v134
	v_sub_u16_e32 v140, v95, v134
	v_sub_u16_sdwa v141, v95, v134 dst_sel:BYTE_1 dst_unused:UNUSED_PAD src0_sel:BYTE_1 src1_sel:BYTE_1
	v_sub_u16_sdwa v95, v95, v134 dst_sel:DWORD dst_unused:UNUSED_PAD src0_sel:WORD_1 src1_sel:WORD_1
	v_sub_u16_sdwa v132, v132, v134 dst_sel:BYTE_1 dst_unused:UNUSED_PAD src0_sel:DWORD src1_sel:BYTE_3
	v_bitop3_b16 v140, v140, v141, s23 bitop3:0xec
	v_bitop3_b16 v95, v95, v132, s23 bitop3:0xec
	v_lshlrev_b32_e32 v95, 16, v95
	v_or_b32_sdwa v140, v140, v95 dst_sel:DWORD dst_unused:UNUSED_PAD src0_sel:WORD_0 src1_sel:DWORD
	v_ashrrev_i32_e32 v95, s17, v133
	v_ashrrev_i32_e32 v133, s3, v135
	v_lshlrev_b32_e32 v133, 2, v133
	v_bfe_u32 v132, v95, 24, 2
	v_and_b32_e32 v95, 0x3030303, v95
	v_and_b32_e32 v133, 0x4040404, v133
	v_sub_u16_e32 v134, v95, v133
	v_sub_u16_sdwa v135, v95, v133 dst_sel:BYTE_1 dst_unused:UNUSED_PAD src0_sel:BYTE_1 src1_sel:BYTE_1
	v_sub_u16_sdwa v95, v95, v133 dst_sel:DWORD dst_unused:UNUSED_PAD src0_sel:WORD_1 src1_sel:WORD_1
	v_sub_u16_sdwa v132, v132, v133 dst_sel:BYTE_1 dst_unused:UNUSED_PAD src0_sel:DWORD src1_sel:BYTE_3
	v_bitop3_b16 v134, v134, v135, s23 bitop3:0xec
	v_bitop3_b16 v95, v95, v132, s23 bitop3:0xec
	v_lshlrev_b32_e32 v95, 16, v95
	v_or_b32_sdwa v141, v134, v95 dst_sel:DWORD dst_unused:UNUSED_PAD src0_sel:WORD_0 src1_sel:DWORD
	v_add_u32_e32 v95, 0x3198, v128
	ds_read2_b32 v[132:133], v95 offset1:1
	ds_read2_b32 v[134:135], v136 offset0:6 offset1:7
	s_waitcnt lgkmcnt(1)
	v_ashrrev_i32_e32 v95, s17, v132
	s_waitcnt lgkmcnt(0)
	v_ashrrev_i32_e32 v132, s3, v134
	v_lshlrev_b32_e32 v132, 2, v132
	v_bfe_u32 v128, v95, 24, 2
	v_and_b32_e32 v95, 0x3030303, v95
	v_and_b32_e32 v132, 0x4040404, v132
	v_sub_u16_e32 v134, v95, v132
	v_sub_u16_sdwa v136, v95, v132 dst_sel:BYTE_1 dst_unused:UNUSED_PAD src0_sel:BYTE_1 src1_sel:BYTE_1
	v_sub_u16_sdwa v95, v95, v132 dst_sel:DWORD dst_unused:UNUSED_PAD src0_sel:WORD_1 src1_sel:WORD_1
	v_sub_u16_sdwa v128, v128, v132 dst_sel:BYTE_1 dst_unused:UNUSED_PAD src0_sel:DWORD src1_sel:BYTE_3
	v_bitop3_b16 v134, v134, v136, s23 bitop3:0xec
	v_bitop3_b16 v95, v95, v128, s23 bitop3:0xec
	v_lshlrev_b32_e32 v95, 16, v95
	v_or_b32_sdwa v128, v134, v95 dst_sel:DWORD dst_unused:UNUSED_PAD src0_sel:WORD_0 src1_sel:DWORD
	v_ashrrev_i32_e32 v95, s17, v133
	v_ashrrev_i32_e32 v133, s3, v135
	v_lshlrev_b32_e32 v133, 2, v133
	v_bfe_u32 v132, v95, 24, 2
	v_and_b32_e32 v95, 0x3030303, v95
	v_and_b32_e32 v133, 0x4040404, v133
	v_sub_u16_e32 v134, v95, v133
	v_sub_u16_sdwa v135, v95, v133 dst_sel:BYTE_1 dst_unused:UNUSED_PAD src0_sel:BYTE_1 src1_sel:BYTE_1
	v_sub_u16_sdwa v95, v95, v133 dst_sel:DWORD dst_unused:UNUSED_PAD src0_sel:WORD_1 src1_sel:WORD_1
	v_sub_u16_sdwa v132, v132, v133 dst_sel:BYTE_1 dst_unused:UNUSED_PAD src0_sel:DWORD src1_sel:BYTE_3
	v_bitop3_b16 v134, v134, v135, s23 bitop3:0xec
	v_bitop3_b16 v95, v95, v132, s23 bitop3:0xec
	v_lshlrev_b32_e32 v95, 16, v95
	v_or_b32_sdwa v132, v134, v95 dst_sel:DWORD dst_unused:UNUSED_PAD src0_sel:WORD_0 src1_sel:DWORD
	v_mov_b32_e32 v134, 0
	v_add_u32_e32 v133, s30, v75
	v_add3_u32 v95, s29, v122, v123
	v_dot4c_i32_i8_e32 v134, v131, v6
	v_mov_b32_e32 v6, 0
	ds_read_b32 v95, v95
	v_dot4c_i32_i8_e32 v6, v140, v2
	ds_read_u16 v2, v133 offset:28418
	v_dot4c_i32_i8_e32 v134, v137, v7
	v_dot4c_i32_i8_e32 v134, v138, v8
	;; [unrolled: 1-line block ×5, first 2 shown]
	s_waitcnt lgkmcnt(0)
	v_lshrrev_b16_e32 v3, 8, v2
	v_bfe_i32 v2, v2, 0, 8
	v_dot4c_i32_i8_e32 v6, v132, v5
	v_bfe_i32 v5, v3, 0, 8
	v_mul_lo_u32 v4, v134, v2
	v_mad_u64_u32 v[2:3], s[30:31], v129, v130, v[96:97]
	v_mad_u64_u32 v[4:5], s[30:31], v6, v5, v[4:5]
	v_cvt_f32_i32_e32 v3, v4
	v_cvt_f32_i32_e32 v2, v2
	v_pk_mul_f32 v[6:7], v[92:93], v[94:95] op_sel_hi:[0,1]
	s_add_i32 s3, s3, 1
	v_add_u32_e32 v93, 4, v93
	v_pk_fma_f32 v[30:31], v[6:7], v[2:3], v[30:31]
	s_cmp_lt_u32 s16, 14
	s_mov_b32 s29, s16
	s_cbranch_scc1 .LBB189_19
; %bb.20:                               ;   in Loop: Header=BB189_5 Depth=1
	s_or_b32 s2, s27, 0x100
	s_cmp_ge_i32 s2, s15
	s_barrier
	s_cbranch_scc1 .LBB189_4
; %bb.21:                               ;   in Loop: Header=BB189_5 Depth=1
	v_add_u32_e32 v2, s28, v101
	v_cmp_gt_i32_e64 s[2:3], s5, v2
	s_and_b64 s[16:17], s[0:1], s[2:3]
	s_and_saveexec_b64 s[2:3], s[16:17]
	s_cbranch_execz .LBB189_23
; %bb.22:                               ;   in Loop: Header=BB189_5 Depth=1
	v_add_u32_e32 v2, v34, v2
	v_mad_i64_i32 v[2:3], s[16:17], v2, 36, v[36:37]
	global_load_dword v2, v[2:3], off offset:4
	s_waitcnt vmcnt(0)
	ds_write_b32 v69, v2
.LBB189_23:                             ;   in Loop: Header=BB189_5 Depth=1
	s_or_b64 exec, exec, s[2:3]
	s_and_saveexec_b64 s[16:17], vcc
	s_cbranch_execz .LBB189_26
; %bb.24:                               ;   in Loop: Header=BB189_5 Depth=1
	v_or_b32_e32 v2, 8, v90
	v_cmp_gt_i32_e64 s[2:3], s5, v2
	s_and_b64 s[2:3], s[0:1], s[2:3]
	s_and_b64 exec, exec, s[2:3]
	s_cbranch_execz .LBB189_26
; %bb.25:                               ;   in Loop: Header=BB189_5 Depth=1
	v_ashrrev_i32_e32 v91, 31, v90
	v_lshl_add_u64 v[2:3], v[34:35], 0, v[90:91]
	v_mad_u64_u32 v[4:5], s[2:3], v2, 36, s[10:11]
	v_mad_i32_i24 v5, v3, 36, v5
	global_load_dword v2, v[4:5], off offset:288
	s_waitcnt vmcnt(0)
	v_cvt_f32_f16_e32 v2, v2
	ds_write_b32 v73, v2
.LBB189_26:                             ;   in Loop: Header=BB189_5 Depth=1
	s_or_b64 exec, exec, s[16:17]
	s_mov_b32 s2, 16
	s_mov_b32 s29, 14
	;; [unrolled: 1-line block ×3, first 2 shown]
	v_mov_b32_e32 v91, v67
	v_mov_b32_e32 v93, v71
	s_waitcnt lgkmcnt(0)
	s_barrier
.LBB189_27:                             ;   Parent Loop BB189_5 Depth=1
                                        ; =>  This Inner Loop Header: Depth=2
	s_add_i32 s16, s29, 2
	s_lshr_b32 s33, s16, 4
	s_and_b32 s31, s16, 0x3ffffff8
	v_lshl_add_u32 v128, s31, 2, v104
	s_lshl_b32 s31, s33, 5
	s_addk_i32 s31, 0x4200
	v_add3_u32 v129, s31, v109, v110
	ds_read_b32 v92, v93
	ds_read_b128 v[6:9], v91
	ds_read_b128 v[2:5], v91 offset:16
	ds_read2_b32 v[94:95], v128 offset1:1
	ds_read2_b32 v[130:131], v129 offset1:1
	s_add_i32 s17, s29, -14
	s_and_b32 s30, s2, -16
	s_add_i32 s30, s29, s30
	s_waitcnt lgkmcnt(1)
	v_ashrrev_i32_e32 v94, s17, v94
	s_waitcnt lgkmcnt(0)
	v_ashrrev_i32_e32 v130, s3, v130
	v_lshlrev_b32_e32 v130, 2, v130
	v_bfe_u32 v96, v94, 24, 2
	v_and_b32_e32 v94, 0x3030303, v94
	v_and_b32_e32 v130, 0x4040404, v130
	v_sub_u16_e32 v132, v94, v130
	v_sub_u16_sdwa v133, v94, v130 dst_sel:BYTE_1 dst_unused:UNUSED_PAD src0_sel:BYTE_1 src1_sel:BYTE_1
	v_sub_u16_sdwa v94, v94, v130 dst_sel:DWORD dst_unused:UNUSED_PAD src0_sel:WORD_1 src1_sel:WORD_1
	v_sub_u16_sdwa v96, v96, v130 dst_sel:BYTE_1 dst_unused:UNUSED_PAD src0_sel:DWORD src1_sel:BYTE_3
	v_bitop3_b16 v132, v132, v133, s23 bitop3:0xec
	v_bitop3_b16 v94, v94, v96, s23 bitop3:0xec
	v_lshlrev_b32_e32 v94, 16, v94
	v_ashrrev_i32_e32 v130, s3, v131
	v_or_b32_sdwa v96, v132, v94 dst_sel:DWORD dst_unused:UNUSED_PAD src0_sel:WORD_0 src1_sel:DWORD
	v_ashrrev_i32_e32 v94, s17, v95
	v_lshlrev_b32_e32 v130, 2, v130
	v_bfe_u32 v95, v94, 24, 2
	v_and_b32_e32 v94, 0x3030303, v94
	v_and_b32_e32 v130, 0x4040404, v130
	v_sub_u16_e32 v131, v94, v130
	v_sub_u16_sdwa v132, v94, v130 dst_sel:BYTE_1 dst_unused:UNUSED_PAD src0_sel:BYTE_1 src1_sel:BYTE_1
	v_sub_u16_sdwa v94, v94, v130 dst_sel:DWORD dst_unused:UNUSED_PAD src0_sel:WORD_1 src1_sel:WORD_1
	v_sub_u16_sdwa v95, v95, v130 dst_sel:BYTE_1 dst_unused:UNUSED_PAD src0_sel:DWORD src1_sel:BYTE_3
	v_bitop3_b16 v131, v131, v132, s23 bitop3:0xec
	v_bitop3_b16 v94, v94, v95, s23 bitop3:0xec
	v_lshlrev_b32_e32 v94, 16, v94
	v_or_b32_sdwa v132, v131, v94 dst_sel:DWORD dst_unused:UNUSED_PAD src0_sel:WORD_0 src1_sel:DWORD
	ds_read2_b32 v[94:95], v128 offset0:2 offset1:3
	ds_read2_b32 v[130:131], v129 offset0:2 offset1:3
	s_lshl_b32 s29, s33, 2
	s_addk_i32 s29, 0x7380
	s_add_i32 s2, s2, 2
	s_waitcnt lgkmcnt(1)
	v_ashrrev_i32_e32 v94, s17, v94
	s_waitcnt lgkmcnt(0)
	v_ashrrev_i32_e32 v130, s3, v130
	v_lshlrev_b32_e32 v130, 2, v130
	v_bfe_u32 v133, v94, 24, 2
	v_and_b32_e32 v94, 0x3030303, v94
	v_and_b32_e32 v130, 0x4040404, v130
	v_sub_u16_e32 v134, v94, v130
	v_sub_u16_sdwa v135, v94, v130 dst_sel:BYTE_1 dst_unused:UNUSED_PAD src0_sel:BYTE_1 src1_sel:BYTE_1
	v_sub_u16_sdwa v94, v94, v130 dst_sel:DWORD dst_unused:UNUSED_PAD src0_sel:WORD_1 src1_sel:WORD_1
	v_sub_u16_sdwa v130, v133, v130 dst_sel:BYTE_1 dst_unused:UNUSED_PAD src0_sel:DWORD src1_sel:BYTE_3
	v_bitop3_b16 v134, v134, v135, s23 bitop3:0xec
	v_bitop3_b16 v94, v94, v130, s23 bitop3:0xec
	v_lshlrev_b32_e32 v94, 16, v94
	v_ashrrev_i32_e32 v130, s3, v131
	v_or_b32_sdwa v133, v134, v94 dst_sel:DWORD dst_unused:UNUSED_PAD src0_sel:WORD_0 src1_sel:DWORD
	v_ashrrev_i32_e32 v94, s17, v95
	v_lshlrev_b32_e32 v130, 2, v130
	v_bfe_u32 v95, v94, 24, 2
	v_and_b32_e32 v94, 0x3030303, v94
	v_and_b32_e32 v130, 0x4040404, v130
	v_sub_u16_e32 v131, v94, v130
	v_sub_u16_sdwa v134, v94, v130 dst_sel:BYTE_1 dst_unused:UNUSED_PAD src0_sel:BYTE_1 src1_sel:BYTE_1
	v_sub_u16_sdwa v94, v94, v130 dst_sel:DWORD dst_unused:UNUSED_PAD src0_sel:WORD_1 src1_sel:WORD_1
	v_sub_u16_sdwa v95, v95, v130 dst_sel:BYTE_1 dst_unused:UNUSED_PAD src0_sel:DWORD src1_sel:BYTE_3
	v_bitop3_b16 v131, v131, v134, s23 bitop3:0xec
	v_bitop3_b16 v94, v94, v95, s23 bitop3:0xec
	v_lshlrev_b32_e32 v94, 16, v94
	v_or_b32_sdwa v134, v131, v94 dst_sel:DWORD dst_unused:UNUSED_PAD src0_sel:WORD_0 src1_sel:DWORD
	ds_read2_b32 v[94:95], v128 offset0:4 offset1:5
	ds_read2_b32 v[130:131], v129 offset0:4 offset1:5
	v_add_u32_e32 v91, 32, v91
	s_waitcnt lgkmcnt(1)
	v_ashrrev_i32_e32 v94, s17, v94
	s_waitcnt lgkmcnt(0)
	v_ashrrev_i32_e32 v130, s3, v130
	v_lshlrev_b32_e32 v130, 2, v130
	v_bfe_u32 v135, v94, 24, 2
	v_and_b32_e32 v94, 0x3030303, v94
	v_and_b32_e32 v130, 0x4040404, v130
	v_sub_u16_e32 v136, v94, v130
	v_sub_u16_sdwa v137, v94, v130 dst_sel:BYTE_1 dst_unused:UNUSED_PAD src0_sel:BYTE_1 src1_sel:BYTE_1
	v_sub_u16_sdwa v94, v94, v130 dst_sel:DWORD dst_unused:UNUSED_PAD src0_sel:WORD_1 src1_sel:WORD_1
	v_sub_u16_sdwa v130, v135, v130 dst_sel:BYTE_1 dst_unused:UNUSED_PAD src0_sel:DWORD src1_sel:BYTE_3
	v_bitop3_b16 v136, v136, v137, s23 bitop3:0xec
	v_bitop3_b16 v94, v94, v130, s23 bitop3:0xec
	v_lshlrev_b32_e32 v94, 16, v94
	v_ashrrev_i32_e32 v130, s3, v131
	v_or_b32_sdwa v135, v136, v94 dst_sel:DWORD dst_unused:UNUSED_PAD src0_sel:WORD_0 src1_sel:DWORD
	v_ashrrev_i32_e32 v94, s17, v95
	v_lshlrev_b32_e32 v130, 2, v130
	v_bfe_u32 v95, v94, 24, 2
	v_and_b32_e32 v94, 0x3030303, v94
	v_and_b32_e32 v130, 0x4040404, v130
	v_sub_u16_e32 v131, v94, v130
	v_sub_u16_sdwa v136, v94, v130 dst_sel:BYTE_1 dst_unused:UNUSED_PAD src0_sel:BYTE_1 src1_sel:BYTE_1
	v_sub_u16_sdwa v94, v94, v130 dst_sel:DWORD dst_unused:UNUSED_PAD src0_sel:WORD_1 src1_sel:WORD_1
	v_sub_u16_sdwa v95, v95, v130 dst_sel:BYTE_1 dst_unused:UNUSED_PAD src0_sel:DWORD src1_sel:BYTE_3
	v_bitop3_b16 v131, v131, v136, s23 bitop3:0xec
	v_bitop3_b16 v94, v94, v95, s23 bitop3:0xec
	v_lshlrev_b32_e32 v94, 16, v94
	v_or_b32_sdwa v136, v131, v94 dst_sel:DWORD dst_unused:UNUSED_PAD src0_sel:WORD_0 src1_sel:DWORD
	ds_read2_b32 v[94:95], v128 offset0:6 offset1:7
	ds_read2_b32 v[130:131], v129 offset0:6 offset1:7
	s_waitcnt lgkmcnt(1)
	v_ashrrev_i32_e32 v94, s17, v94
	s_waitcnt lgkmcnt(0)
	v_ashrrev_i32_e32 v129, s3, v130
	v_lshlrev_b32_e32 v129, 2, v129
	v_bfe_u32 v137, v94, 24, 2
	v_and_b32_e32 v94, 0x3030303, v94
	v_and_b32_e32 v129, 0x4040404, v129
	v_sub_u16_e32 v130, v94, v129
	v_sub_u16_sdwa v138, v94, v129 dst_sel:BYTE_1 dst_unused:UNUSED_PAD src0_sel:BYTE_1 src1_sel:BYTE_1
	v_sub_u16_sdwa v94, v94, v129 dst_sel:DWORD dst_unused:UNUSED_PAD src0_sel:WORD_1 src1_sel:WORD_1
	v_sub_u16_sdwa v129, v137, v129 dst_sel:BYTE_1 dst_unused:UNUSED_PAD src0_sel:DWORD src1_sel:BYTE_3
	v_bitop3_b16 v130, v130, v138, s23 bitop3:0xec
	v_bitop3_b16 v94, v94, v129, s23 bitop3:0xec
	v_lshlrev_b32_e32 v94, 16, v94
	v_or_b32_sdwa v129, v130, v94 dst_sel:DWORD dst_unused:UNUSED_PAD src0_sel:WORD_0 src1_sel:DWORD
	v_ashrrev_i32_e32 v130, s3, v131
	v_ashrrev_i32_e32 v94, s17, v95
	v_lshlrev_b32_e32 v130, 2, v130
	v_bfe_u32 v95, v94, 24, 2
	v_and_b32_e32 v94, 0x3030303, v94
	v_and_b32_e32 v130, 0x4040404, v130
	v_sub_u16_e32 v131, v94, v130
	v_sub_u16_sdwa v137, v94, v130 dst_sel:BYTE_1 dst_unused:UNUSED_PAD src0_sel:BYTE_1 src1_sel:BYTE_1
	v_sub_u16_sdwa v94, v94, v130 dst_sel:DWORD dst_unused:UNUSED_PAD src0_sel:WORD_1 src1_sel:WORD_1
	v_sub_u16_sdwa v95, v95, v130 dst_sel:BYTE_1 dst_unused:UNUSED_PAD src0_sel:DWORD src1_sel:BYTE_3
	v_bitop3_b16 v131, v131, v137, s23 bitop3:0xec
	v_bitop3_b16 v94, v94, v95, s23 bitop3:0xec
	v_lshlrev_b32_e32 v94, 16, v94
	v_or_b32_sdwa v95, v131, v94 dst_sel:DWORD dst_unused:UNUSED_PAD src0_sel:WORD_0 src1_sel:DWORD
	v_mov_b32_e32 v131, 0
	v_dot4c_i32_i8_e32 v131, v96, v6
	v_dot4c_i32_i8_e32 v131, v132, v7
	;; [unrolled: 1-line block ×4, first 2 shown]
	v_mov_b32_e32 v134, 0
	v_dot4c_i32_i8_e32 v134, v135, v2
	v_dot4c_i32_i8_e32 v134, v136, v3
	v_add_u32_e32 v130, s30, v81
	v_dot4c_i32_i8_e32 v134, v129, v4
	v_dot4c_i32_i8_e32 v134, v95, v5
	ds_read_u16 v95, v130 offset:25330
	v_add3_u32 v94, s29, v127, v111
	v_add3_u32 v135, s31, v112, v113
	ds_read_b32 v94, v94
	ds_read2_b32 v[132:133], v135 offset1:1
	s_waitcnt lgkmcnt(2)
	v_lshrrev_b16_e32 v96, 8, v95
	v_bfe_i32 v95, v95, 0, 8
	v_bfe_i32 v129, v96, 0, 8
	v_mul_lo_u32 v96, v131, v95
	v_add_u32_e32 v95, 0x1080, v128
	ds_read2_b32 v[130:131], v95 offset1:1
	s_waitcnt lgkmcnt(1)
	v_ashrrev_i32_e32 v132, s3, v132
	v_lshlrev_b32_e32 v132, 2, v132
	v_and_b32_e32 v132, 0x4040404, v132
	s_waitcnt lgkmcnt(0)
	v_ashrrev_i32_e32 v95, s17, v130
	v_bfe_u32 v130, v95, 24, 2
	v_and_b32_e32 v95, 0x3030303, v95
	v_sub_u16_e32 v136, v95, v132
	v_sub_u16_sdwa v137, v95, v132 dst_sel:BYTE_1 dst_unused:UNUSED_PAD src0_sel:BYTE_1 src1_sel:BYTE_1
	v_sub_u16_sdwa v95, v95, v132 dst_sel:DWORD dst_unused:UNUSED_PAD src0_sel:WORD_1 src1_sel:WORD_1
	v_sub_u16_sdwa v130, v130, v132 dst_sel:BYTE_1 dst_unused:UNUSED_PAD src0_sel:DWORD src1_sel:BYTE_3
	v_bitop3_b16 v136, v136, v137, s23 bitop3:0xec
	v_bitop3_b16 v95, v95, v130, s23 bitop3:0xec
	v_lshlrev_b32_e32 v95, 16, v95
	v_or_b32_sdwa v136, v136, v95 dst_sel:DWORD dst_unused:UNUSED_PAD src0_sel:WORD_0 src1_sel:DWORD
	v_ashrrev_i32_e32 v95, s17, v131
	v_ashrrev_i32_e32 v131, s3, v133
	v_lshlrev_b32_e32 v131, 2, v131
	v_bfe_u32 v130, v95, 24, 2
	v_and_b32_e32 v95, 0x3030303, v95
	v_and_b32_e32 v131, 0x4040404, v131
	v_sub_u16_e32 v132, v95, v131
	v_sub_u16_sdwa v133, v95, v131 dst_sel:BYTE_1 dst_unused:UNUSED_PAD src0_sel:BYTE_1 src1_sel:BYTE_1
	v_sub_u16_sdwa v95, v95, v131 dst_sel:DWORD dst_unused:UNUSED_PAD src0_sel:WORD_1 src1_sel:WORD_1
	v_sub_u16_sdwa v130, v130, v131 dst_sel:BYTE_1 dst_unused:UNUSED_PAD src0_sel:DWORD src1_sel:BYTE_3
	v_bitop3_b16 v132, v132, v133, s23 bitop3:0xec
	v_bitop3_b16 v95, v95, v130, s23 bitop3:0xec
	v_lshlrev_b32_e32 v95, 16, v95
	v_or_b32_sdwa v137, v132, v95 dst_sel:DWORD dst_unused:UNUSED_PAD src0_sel:WORD_0 src1_sel:DWORD
	v_add_u32_e32 v95, 0x1088, v128
	ds_read2_b32 v[130:131], v95 offset1:1
	ds_read2_b32 v[132:133], v135 offset0:2 offset1:3
	s_waitcnt lgkmcnt(1)
	v_ashrrev_i32_e32 v95, s17, v130
	s_waitcnt lgkmcnt(0)
	v_ashrrev_i32_e32 v132, s3, v132
	v_lshlrev_b32_e32 v132, 2, v132
	v_bfe_u32 v130, v95, 24, 2
	v_and_b32_e32 v95, 0x3030303, v95
	v_and_b32_e32 v132, 0x4040404, v132
	v_sub_u16_e32 v138, v95, v132
	v_sub_u16_sdwa v139, v95, v132 dst_sel:BYTE_1 dst_unused:UNUSED_PAD src0_sel:BYTE_1 src1_sel:BYTE_1
	v_sub_u16_sdwa v95, v95, v132 dst_sel:DWORD dst_unused:UNUSED_PAD src0_sel:WORD_1 src1_sel:WORD_1
	v_sub_u16_sdwa v130, v130, v132 dst_sel:BYTE_1 dst_unused:UNUSED_PAD src0_sel:DWORD src1_sel:BYTE_3
	v_bitop3_b16 v138, v138, v139, s23 bitop3:0xec
	v_bitop3_b16 v95, v95, v130, s23 bitop3:0xec
	v_lshlrev_b32_e32 v95, 16, v95
	v_or_b32_sdwa v138, v138, v95 dst_sel:DWORD dst_unused:UNUSED_PAD src0_sel:WORD_0 src1_sel:DWORD
	v_ashrrev_i32_e32 v95, s17, v131
	v_ashrrev_i32_e32 v131, s3, v133
	v_lshlrev_b32_e32 v131, 2, v131
	v_bfe_u32 v130, v95, 24, 2
	v_and_b32_e32 v95, 0x3030303, v95
	v_and_b32_e32 v131, 0x4040404, v131
	v_sub_u16_e32 v132, v95, v131
	v_sub_u16_sdwa v133, v95, v131 dst_sel:BYTE_1 dst_unused:UNUSED_PAD src0_sel:BYTE_1 src1_sel:BYTE_1
	v_sub_u16_sdwa v95, v95, v131 dst_sel:DWORD dst_unused:UNUSED_PAD src0_sel:WORD_1 src1_sel:WORD_1
	v_sub_u16_sdwa v130, v130, v131 dst_sel:BYTE_1 dst_unused:UNUSED_PAD src0_sel:DWORD src1_sel:BYTE_3
	v_bitop3_b16 v132, v132, v133, s23 bitop3:0xec
	v_bitop3_b16 v95, v95, v130, s23 bitop3:0xec
	v_lshlrev_b32_e32 v95, 16, v95
	v_or_b32_sdwa v139, v132, v95 dst_sel:DWORD dst_unused:UNUSED_PAD src0_sel:WORD_0 src1_sel:DWORD
	v_add_u32_e32 v95, 0x1090, v128
	ds_read2_b32 v[130:131], v95 offset1:1
	ds_read2_b32 v[132:133], v135 offset0:4 offset1:5
	s_waitcnt lgkmcnt(1)
	v_ashrrev_i32_e32 v95, s17, v130
	s_waitcnt lgkmcnt(0)
	v_ashrrev_i32_e32 v132, s3, v132
	v_lshlrev_b32_e32 v132, 2, v132
	v_bfe_u32 v130, v95, 24, 2
	v_and_b32_e32 v95, 0x3030303, v95
	;; [unrolled: 33-line block ×3, first 2 shown]
	v_and_b32_e32 v132, 0x4040404, v132
	v_sub_u16_e32 v135, v95, v132
	v_sub_u16_sdwa v142, v95, v132 dst_sel:BYTE_1 dst_unused:UNUSED_PAD src0_sel:BYTE_1 src1_sel:BYTE_1
	v_sub_u16_sdwa v95, v95, v132 dst_sel:DWORD dst_unused:UNUSED_PAD src0_sel:WORD_1 src1_sel:WORD_1
	v_sub_u16_sdwa v130, v130, v132 dst_sel:BYTE_1 dst_unused:UNUSED_PAD src0_sel:DWORD src1_sel:BYTE_3
	v_bitop3_b16 v135, v135, v142, s23 bitop3:0xec
	v_bitop3_b16 v95, v95, v130, s23 bitop3:0xec
	v_lshlrev_b32_e32 v95, 16, v95
	v_or_b32_sdwa v132, v135, v95 dst_sel:DWORD dst_unused:UNUSED_PAD src0_sel:WORD_0 src1_sel:DWORD
	v_ashrrev_i32_e32 v95, s17, v131
	v_ashrrev_i32_e32 v131, s3, v133
	v_lshlrev_b32_e32 v131, 2, v131
	v_bfe_u32 v130, v95, 24, 2
	v_and_b32_e32 v95, 0x3030303, v95
	v_and_b32_e32 v131, 0x4040404, v131
	v_sub_u16_e32 v133, v95, v131
	v_sub_u16_sdwa v135, v95, v131 dst_sel:BYTE_1 dst_unused:UNUSED_PAD src0_sel:BYTE_1 src1_sel:BYTE_1
	v_sub_u16_sdwa v95, v95, v131 dst_sel:DWORD dst_unused:UNUSED_PAD src0_sel:WORD_1 src1_sel:WORD_1
	v_sub_u16_sdwa v130, v130, v131 dst_sel:BYTE_1 dst_unused:UNUSED_PAD src0_sel:DWORD src1_sel:BYTE_3
	v_bitop3_b16 v133, v133, v135, s23 bitop3:0xec
	v_bitop3_b16 v95, v95, v130, s23 bitop3:0xec
	v_lshlrev_b32_e32 v95, 16, v95
	v_or_b32_sdwa v131, v133, v95 dst_sel:DWORD dst_unused:UNUSED_PAD src0_sel:WORD_0 src1_sel:DWORD
	v_add_u32_e32 v130, s30, v79
	v_add3_u32 v95, s29, v114, v115
	ds_read_b32 v95, v95
	ds_read_u16 v130, v130 offset:26354
	v_mov_b32_e32 v133, 0
	v_dot4c_i32_i8_e32 v133, v136, v6
	v_mov_b32_e32 v136, 0
	v_dot4c_i32_i8_e32 v133, v137, v7
	v_dot4c_i32_i8_e32 v136, v140, v2
	v_dot4c_i32_i8_e32 v133, v138, v8
	v_dot4c_i32_i8_e32 v136, v141, v3
	v_dot4c_i32_i8_e32 v133, v139, v9
	s_waitcnt lgkmcnt(0)
	v_lshrrev_b16_e32 v135, 8, v130
	v_bfe_i32 v130, v130, 0, 8
	v_dot4c_i32_i8_e32 v136, v132, v4
	v_mul_lo_u32 v130, v133, v130
	v_dot4c_i32_i8_e32 v136, v131, v5
	v_bfe_i32 v131, v135, 0, 8
	v_mad_u64_u32 v[132:133], s[34:35], v134, v129, v[96:97]
	s_nop 0
	v_mad_u64_u32 v[130:131], s[34:35], v136, v131, v[130:131]
	v_cvt_f32_i32_e32 v131, v130
	v_cvt_f32_i32_e32 v130, v132
	v_pk_mul_f32 v[94:95], v[92:93], v[94:95] op_sel_hi:[0,1]
	v_add3_u32 v129, s31, v116, v117
	v_pk_fma_f32 v[32:33], v[94:95], v[130:131], v[32:33]
	v_add_u32_e32 v94, 0x2100, v128
	ds_read2_b32 v[94:95], v94 offset1:1
	ds_read2_b32 v[130:131], v129 offset1:1
	s_waitcnt lgkmcnt(1)
	v_ashrrev_i32_e32 v94, s17, v94
	s_waitcnt lgkmcnt(0)
	v_ashrrev_i32_e32 v130, s3, v130
	v_lshlrev_b32_e32 v130, 2, v130
	v_bfe_u32 v96, v94, 24, 2
	v_and_b32_e32 v94, 0x3030303, v94
	v_and_b32_e32 v130, 0x4040404, v130
	v_sub_u16_e32 v132, v94, v130
	v_sub_u16_sdwa v133, v94, v130 dst_sel:BYTE_1 dst_unused:UNUSED_PAD src0_sel:BYTE_1 src1_sel:BYTE_1
	v_sub_u16_sdwa v94, v94, v130 dst_sel:DWORD dst_unused:UNUSED_PAD src0_sel:WORD_1 src1_sel:WORD_1
	v_sub_u16_sdwa v96, v96, v130 dst_sel:BYTE_1 dst_unused:UNUSED_PAD src0_sel:DWORD src1_sel:BYTE_3
	v_bitop3_b16 v132, v132, v133, s23 bitop3:0xec
	v_bitop3_b16 v94, v94, v96, s23 bitop3:0xec
	v_lshlrev_b32_e32 v94, 16, v94
	v_ashrrev_i32_e32 v130, s3, v131
	v_or_b32_sdwa v96, v132, v94 dst_sel:DWORD dst_unused:UNUSED_PAD src0_sel:WORD_0 src1_sel:DWORD
	v_ashrrev_i32_e32 v94, s17, v95
	v_lshlrev_b32_e32 v130, 2, v130
	v_bfe_u32 v95, v94, 24, 2
	v_and_b32_e32 v94, 0x3030303, v94
	v_and_b32_e32 v130, 0x4040404, v130
	v_sub_u16_e32 v131, v94, v130
	v_sub_u16_sdwa v132, v94, v130 dst_sel:BYTE_1 dst_unused:UNUSED_PAD src0_sel:BYTE_1 src1_sel:BYTE_1
	v_sub_u16_sdwa v94, v94, v130 dst_sel:DWORD dst_unused:UNUSED_PAD src0_sel:WORD_1 src1_sel:WORD_1
	v_sub_u16_sdwa v95, v95, v130 dst_sel:BYTE_1 dst_unused:UNUSED_PAD src0_sel:DWORD src1_sel:BYTE_3
	v_bitop3_b16 v131, v131, v132, s23 bitop3:0xec
	v_bitop3_b16 v94, v94, v95, s23 bitop3:0xec
	v_lshlrev_b32_e32 v94, 16, v94
	v_or_b32_sdwa v132, v131, v94 dst_sel:DWORD dst_unused:UNUSED_PAD src0_sel:WORD_0 src1_sel:DWORD
	v_add_u32_e32 v94, 0x2108, v128
	ds_read2_b32 v[94:95], v94 offset1:1
	ds_read2_b32 v[130:131], v129 offset0:2 offset1:3
	s_waitcnt lgkmcnt(1)
	v_ashrrev_i32_e32 v94, s17, v94
	s_waitcnt lgkmcnt(0)
	v_ashrrev_i32_e32 v130, s3, v130
	v_lshlrev_b32_e32 v130, 2, v130
	v_bfe_u32 v133, v94, 24, 2
	v_and_b32_e32 v94, 0x3030303, v94
	v_and_b32_e32 v130, 0x4040404, v130
	v_sub_u16_e32 v134, v94, v130
	v_sub_u16_sdwa v135, v94, v130 dst_sel:BYTE_1 dst_unused:UNUSED_PAD src0_sel:BYTE_1 src1_sel:BYTE_1
	v_sub_u16_sdwa v94, v94, v130 dst_sel:DWORD dst_unused:UNUSED_PAD src0_sel:WORD_1 src1_sel:WORD_1
	v_sub_u16_sdwa v130, v133, v130 dst_sel:BYTE_1 dst_unused:UNUSED_PAD src0_sel:DWORD src1_sel:BYTE_3
	v_bitop3_b16 v134, v134, v135, s23 bitop3:0xec
	v_bitop3_b16 v94, v94, v130, s23 bitop3:0xec
	v_lshlrev_b32_e32 v94, 16, v94
	v_ashrrev_i32_e32 v130, s3, v131
	v_or_b32_sdwa v133, v134, v94 dst_sel:DWORD dst_unused:UNUSED_PAD src0_sel:WORD_0 src1_sel:DWORD
	v_ashrrev_i32_e32 v94, s17, v95
	v_lshlrev_b32_e32 v130, 2, v130
	v_bfe_u32 v95, v94, 24, 2
	v_and_b32_e32 v94, 0x3030303, v94
	v_and_b32_e32 v130, 0x4040404, v130
	v_sub_u16_e32 v131, v94, v130
	v_sub_u16_sdwa v134, v94, v130 dst_sel:BYTE_1 dst_unused:UNUSED_PAD src0_sel:BYTE_1 src1_sel:BYTE_1
	v_sub_u16_sdwa v94, v94, v130 dst_sel:DWORD dst_unused:UNUSED_PAD src0_sel:WORD_1 src1_sel:WORD_1
	v_sub_u16_sdwa v95, v95, v130 dst_sel:BYTE_1 dst_unused:UNUSED_PAD src0_sel:DWORD src1_sel:BYTE_3
	v_bitop3_b16 v131, v131, v134, s23 bitop3:0xec
	v_bitop3_b16 v94, v94, v95, s23 bitop3:0xec
	v_lshlrev_b32_e32 v94, 16, v94
	v_or_b32_sdwa v134, v131, v94 dst_sel:DWORD dst_unused:UNUSED_PAD src0_sel:WORD_0 src1_sel:DWORD
	v_add_u32_e32 v94, 0x2110, v128
	ds_read2_b32 v[94:95], v94 offset1:1
	ds_read2_b32 v[130:131], v129 offset0:4 offset1:5
	;; [unrolled: 33-line block ×3, first 2 shown]
	s_waitcnt lgkmcnt(1)
	v_ashrrev_i32_e32 v94, s17, v94
	s_waitcnt lgkmcnt(0)
	v_ashrrev_i32_e32 v129, s3, v130
	v_lshlrev_b32_e32 v129, 2, v129
	v_bfe_u32 v137, v94, 24, 2
	v_and_b32_e32 v94, 0x3030303, v94
	v_and_b32_e32 v129, 0x4040404, v129
	v_sub_u16_e32 v130, v94, v129
	v_sub_u16_sdwa v138, v94, v129 dst_sel:BYTE_1 dst_unused:UNUSED_PAD src0_sel:BYTE_1 src1_sel:BYTE_1
	v_sub_u16_sdwa v94, v94, v129 dst_sel:DWORD dst_unused:UNUSED_PAD src0_sel:WORD_1 src1_sel:WORD_1
	v_sub_u16_sdwa v129, v137, v129 dst_sel:BYTE_1 dst_unused:UNUSED_PAD src0_sel:DWORD src1_sel:BYTE_3
	v_bitop3_b16 v130, v130, v138, s23 bitop3:0xec
	v_bitop3_b16 v94, v94, v129, s23 bitop3:0xec
	v_lshlrev_b32_e32 v94, 16, v94
	v_ashrrev_i32_e32 v129, s3, v131
	v_or_b32_sdwa v130, v130, v94 dst_sel:DWORD dst_unused:UNUSED_PAD src0_sel:WORD_0 src1_sel:DWORD
	v_ashrrev_i32_e32 v94, s17, v95
	v_lshlrev_b32_e32 v129, 2, v129
	v_bfe_u32 v95, v94, 24, 2
	v_and_b32_e32 v94, 0x3030303, v94
	v_and_b32_e32 v129, 0x4040404, v129
	v_sub_u16_e32 v131, v94, v129
	v_sub_u16_sdwa v137, v94, v129 dst_sel:BYTE_1 dst_unused:UNUSED_PAD src0_sel:BYTE_1 src1_sel:BYTE_1
	v_sub_u16_sdwa v94, v94, v129 dst_sel:DWORD dst_unused:UNUSED_PAD src0_sel:WORD_1 src1_sel:WORD_1
	v_sub_u16_sdwa v95, v95, v129 dst_sel:BYTE_1 dst_unused:UNUSED_PAD src0_sel:DWORD src1_sel:BYTE_3
	v_mov_b32_e32 v129, 0
	v_bitop3_b16 v94, v94, v95, s23 bitop3:0xec
	v_dot4c_i32_i8_e32 v129, v135, v2
	v_bitop3_b16 v131, v131, v137, s23 bitop3:0xec
	v_lshlrev_b32_e32 v94, 16, v94
	v_dot4c_i32_i8_e32 v129, v136, v3
	v_or_b32_sdwa v95, v131, v94 dst_sel:DWORD dst_unused:UNUSED_PAD src0_sel:WORD_0 src1_sel:DWORD
	v_add_u32_e32 v131, s30, v77
	v_dot4c_i32_i8_e32 v129, v130, v4
	v_dot4c_i32_i8_e32 v129, v95, v5
	ds_read_u16 v95, v131 offset:27378
	v_mov_b32_e32 v137, 0
	v_dot4c_i32_i8_e32 v137, v96, v6
	v_dot4c_i32_i8_e32 v137, v132, v7
	;; [unrolled: 1-line block ×4, first 2 shown]
	s_waitcnt lgkmcnt(0)
	v_lshrrev_b16_e32 v96, 8, v95
	v_bfe_i32 v95, v95, 0, 8
	v_add3_u32 v94, s29, v118, v119
	v_bfe_i32 v130, v96, 0, 8
	v_mul_lo_u32 v96, v137, v95
	v_add_u32_e32 v95, 0x3180, v128
	v_add3_u32 v136, s31, v120, v121
	ds_read_b32 v94, v94
	ds_read2_b32 v[132:133], v95 offset1:1
	ds_read2_b32 v[134:135], v136 offset1:1
	s_waitcnt lgkmcnt(1)
	v_ashrrev_i32_e32 v95, s17, v132
	s_waitcnt lgkmcnt(0)
	v_ashrrev_i32_e32 v132, s3, v134
	v_lshlrev_b32_e32 v132, 2, v132
	v_bfe_u32 v131, v95, 24, 2
	v_and_b32_e32 v95, 0x3030303, v95
	v_and_b32_e32 v132, 0x4040404, v132
	v_sub_u16_e32 v134, v95, v132
	v_sub_u16_sdwa v137, v95, v132 dst_sel:BYTE_1 dst_unused:UNUSED_PAD src0_sel:BYTE_1 src1_sel:BYTE_1
	v_sub_u16_sdwa v95, v95, v132 dst_sel:DWORD dst_unused:UNUSED_PAD src0_sel:WORD_1 src1_sel:WORD_1
	v_sub_u16_sdwa v131, v131, v132 dst_sel:BYTE_1 dst_unused:UNUSED_PAD src0_sel:DWORD src1_sel:BYTE_3
	v_bitop3_b16 v134, v134, v137, s23 bitop3:0xec
	v_bitop3_b16 v95, v95, v131, s23 bitop3:0xec
	v_lshlrev_b32_e32 v95, 16, v95
	v_or_b32_sdwa v131, v134, v95 dst_sel:DWORD dst_unused:UNUSED_PAD src0_sel:WORD_0 src1_sel:DWORD
	v_ashrrev_i32_e32 v95, s17, v133
	v_ashrrev_i32_e32 v133, s3, v135
	v_lshlrev_b32_e32 v133, 2, v133
	v_bfe_u32 v132, v95, 24, 2
	v_and_b32_e32 v95, 0x3030303, v95
	v_and_b32_e32 v133, 0x4040404, v133
	v_sub_u16_e32 v134, v95, v133
	v_sub_u16_sdwa v135, v95, v133 dst_sel:BYTE_1 dst_unused:UNUSED_PAD src0_sel:BYTE_1 src1_sel:BYTE_1
	v_sub_u16_sdwa v95, v95, v133 dst_sel:DWORD dst_unused:UNUSED_PAD src0_sel:WORD_1 src1_sel:WORD_1
	v_sub_u16_sdwa v132, v132, v133 dst_sel:BYTE_1 dst_unused:UNUSED_PAD src0_sel:DWORD src1_sel:BYTE_3
	v_bitop3_b16 v134, v134, v135, s23 bitop3:0xec
	v_bitop3_b16 v95, v95, v132, s23 bitop3:0xec
	v_lshlrev_b32_e32 v95, 16, v95
	v_or_b32_sdwa v137, v134, v95 dst_sel:DWORD dst_unused:UNUSED_PAD src0_sel:WORD_0 src1_sel:DWORD
	v_add_u32_e32 v95, 0x3188, v128
	ds_read2_b32 v[132:133], v95 offset1:1
	ds_read2_b32 v[134:135], v136 offset0:2 offset1:3
	s_waitcnt lgkmcnt(1)
	v_ashrrev_i32_e32 v95, s17, v132
	s_waitcnt lgkmcnt(0)
	v_ashrrev_i32_e32 v134, s3, v134
	v_lshlrev_b32_e32 v134, 2, v134
	v_bfe_u32 v132, v95, 24, 2
	v_and_b32_e32 v95, 0x3030303, v95
	v_and_b32_e32 v134, 0x4040404, v134
	v_sub_u16_e32 v138, v95, v134
	v_sub_u16_sdwa v139, v95, v134 dst_sel:BYTE_1 dst_unused:UNUSED_PAD src0_sel:BYTE_1 src1_sel:BYTE_1
	v_sub_u16_sdwa v95, v95, v134 dst_sel:DWORD dst_unused:UNUSED_PAD src0_sel:WORD_1 src1_sel:WORD_1
	v_sub_u16_sdwa v132, v132, v134 dst_sel:BYTE_1 dst_unused:UNUSED_PAD src0_sel:DWORD src1_sel:BYTE_3
	v_bitop3_b16 v138, v138, v139, s23 bitop3:0xec
	v_bitop3_b16 v95, v95, v132, s23 bitop3:0xec
	v_lshlrev_b32_e32 v95, 16, v95
	v_or_b32_sdwa v138, v138, v95 dst_sel:DWORD dst_unused:UNUSED_PAD src0_sel:WORD_0 src1_sel:DWORD
	v_ashrrev_i32_e32 v95, s17, v133
	v_ashrrev_i32_e32 v133, s3, v135
	v_lshlrev_b32_e32 v133, 2, v133
	v_bfe_u32 v132, v95, 24, 2
	v_and_b32_e32 v95, 0x3030303, v95
	v_and_b32_e32 v133, 0x4040404, v133
	v_sub_u16_e32 v134, v95, v133
	v_sub_u16_sdwa v135, v95, v133 dst_sel:BYTE_1 dst_unused:UNUSED_PAD src0_sel:BYTE_1 src1_sel:BYTE_1
	v_sub_u16_sdwa v95, v95, v133 dst_sel:DWORD dst_unused:UNUSED_PAD src0_sel:WORD_1 src1_sel:WORD_1
	v_sub_u16_sdwa v132, v132, v133 dst_sel:BYTE_1 dst_unused:UNUSED_PAD src0_sel:DWORD src1_sel:BYTE_3
	v_bitop3_b16 v134, v134, v135, s23 bitop3:0xec
	v_bitop3_b16 v95, v95, v132, s23 bitop3:0xec
	v_lshlrev_b32_e32 v95, 16, v95
	v_or_b32_sdwa v139, v134, v95 dst_sel:DWORD dst_unused:UNUSED_PAD src0_sel:WORD_0 src1_sel:DWORD
	v_add_u32_e32 v95, 0x3190, v128
	ds_read2_b32 v[132:133], v95 offset1:1
	ds_read2_b32 v[134:135], v136 offset0:4 offset1:5
	;; [unrolled: 33-line block ×3, first 2 shown]
	s_waitcnt lgkmcnt(1)
	v_ashrrev_i32_e32 v95, s17, v132
	s_waitcnt lgkmcnt(0)
	v_ashrrev_i32_e32 v132, s3, v134
	v_lshlrev_b32_e32 v132, 2, v132
	v_bfe_u32 v128, v95, 24, 2
	v_and_b32_e32 v95, 0x3030303, v95
	v_and_b32_e32 v132, 0x4040404, v132
	v_sub_u16_e32 v134, v95, v132
	v_sub_u16_sdwa v136, v95, v132 dst_sel:BYTE_1 dst_unused:UNUSED_PAD src0_sel:BYTE_1 src1_sel:BYTE_1
	v_sub_u16_sdwa v95, v95, v132 dst_sel:DWORD dst_unused:UNUSED_PAD src0_sel:WORD_1 src1_sel:WORD_1
	v_sub_u16_sdwa v128, v128, v132 dst_sel:BYTE_1 dst_unused:UNUSED_PAD src0_sel:DWORD src1_sel:BYTE_3
	v_bitop3_b16 v134, v134, v136, s23 bitop3:0xec
	v_bitop3_b16 v95, v95, v128, s23 bitop3:0xec
	v_lshlrev_b32_e32 v95, 16, v95
	v_or_b32_sdwa v128, v134, v95 dst_sel:DWORD dst_unused:UNUSED_PAD src0_sel:WORD_0 src1_sel:DWORD
	v_ashrrev_i32_e32 v95, s17, v133
	v_ashrrev_i32_e32 v133, s3, v135
	v_lshlrev_b32_e32 v133, 2, v133
	v_bfe_u32 v132, v95, 24, 2
	v_and_b32_e32 v95, 0x3030303, v95
	v_and_b32_e32 v133, 0x4040404, v133
	v_sub_u16_e32 v134, v95, v133
	v_sub_u16_sdwa v135, v95, v133 dst_sel:BYTE_1 dst_unused:UNUSED_PAD src0_sel:BYTE_1 src1_sel:BYTE_1
	v_sub_u16_sdwa v95, v95, v133 dst_sel:DWORD dst_unused:UNUSED_PAD src0_sel:WORD_1 src1_sel:WORD_1
	v_sub_u16_sdwa v132, v132, v133 dst_sel:BYTE_1 dst_unused:UNUSED_PAD src0_sel:DWORD src1_sel:BYTE_3
	v_bitop3_b16 v134, v134, v135, s23 bitop3:0xec
	v_bitop3_b16 v95, v95, v132, s23 bitop3:0xec
	v_lshlrev_b32_e32 v95, 16, v95
	v_or_b32_sdwa v132, v134, v95 dst_sel:DWORD dst_unused:UNUSED_PAD src0_sel:WORD_0 src1_sel:DWORD
	v_mov_b32_e32 v134, 0
	v_add_u32_e32 v133, s30, v75
	v_add3_u32 v95, s29, v122, v123
	v_dot4c_i32_i8_e32 v134, v131, v6
	v_mov_b32_e32 v6, 0
	ds_read_b32 v95, v95
	v_dot4c_i32_i8_e32 v6, v140, v2
	ds_read_u16 v2, v133 offset:28402
	v_dot4c_i32_i8_e32 v134, v137, v7
	v_dot4c_i32_i8_e32 v134, v138, v8
	;; [unrolled: 1-line block ×5, first 2 shown]
	s_waitcnt lgkmcnt(0)
	v_lshrrev_b16_e32 v3, 8, v2
	v_bfe_i32 v2, v2, 0, 8
	v_dot4c_i32_i8_e32 v6, v132, v5
	v_bfe_i32 v5, v3, 0, 8
	v_mul_lo_u32 v4, v134, v2
	v_mad_u64_u32 v[2:3], s[30:31], v129, v130, v[96:97]
	v_mad_u64_u32 v[4:5], s[30:31], v6, v5, v[4:5]
	v_cvt_f32_i32_e32 v3, v4
	v_cvt_f32_i32_e32 v2, v2
	v_pk_mul_f32 v[6:7], v[92:93], v[94:95] op_sel_hi:[0,1]
	s_add_i32 s3, s3, 1
	v_add_u32_e32 v93, 4, v93
	v_pk_fma_f32 v[30:31], v[6:7], v[2:3], v[30:31]
	s_cmp_lt_u32 s16, 22
	s_mov_b32 s29, s16
	s_cbranch_scc1 .LBB189_27
; %bb.28:                               ;   in Loop: Header=BB189_5 Depth=1
	s_or_b32 s2, s27, 0x180
	s_cmp_ge_i32 s2, s15
	s_barrier
	s_cbranch_scc1 .LBB189_4
; %bb.29:                               ;   in Loop: Header=BB189_5 Depth=1
	v_add_u32_e32 v2, s28, v102
	v_cmp_gt_i32_e64 s[2:3], s5, v2
	s_and_b64 s[16:17], s[0:1], s[2:3]
	s_and_saveexec_b64 s[2:3], s[16:17]
	s_cbranch_execz .LBB189_31
; %bb.30:                               ;   in Loop: Header=BB189_5 Depth=1
	v_add_u32_e32 v2, v34, v2
	v_mad_i64_i32 v[2:3], s[16:17], v2, 36, v[36:37]
	global_load_dword v2, v[2:3], off offset:4
	s_waitcnt vmcnt(0)
	ds_write_b32 v69, v2
.LBB189_31:                             ;   in Loop: Header=BB189_5 Depth=1
	s_or_b64 exec, exec, s[2:3]
	s_and_saveexec_b64 s[16:17], vcc
	s_cbranch_execz .LBB189_34
; %bb.32:                               ;   in Loop: Header=BB189_5 Depth=1
	v_or_b32_e32 v2, 12, v90
	v_cmp_gt_i32_e64 s[2:3], s5, v2
	s_and_b64 s[2:3], s[0:1], s[2:3]
	s_and_b64 exec, exec, s[2:3]
	s_cbranch_execz .LBB189_34
; %bb.33:                               ;   in Loop: Header=BB189_5 Depth=1
	v_ashrrev_i32_e32 v91, 31, v90
	v_lshl_add_u64 v[2:3], v[34:35], 0, v[90:91]
	v_mad_u64_u32 v[4:5], s[2:3], v2, 36, s[10:11]
	v_mad_i32_i24 v5, v3, 36, v5
	global_load_dword v2, v[4:5], off offset:432
	s_waitcnt vmcnt(0)
	v_cvt_f32_f16_e32 v2, v2
	ds_write_b32 v73, v2
.LBB189_34:                             ;   in Loop: Header=BB189_5 Depth=1
	s_or_b64 exec, exec, s[16:17]
	s_mov_b32 s2, 24
	s_mov_b32 s27, 22
	;; [unrolled: 1-line block ×3, first 2 shown]
	v_mov_b32_e32 v91, v67
	v_mov_b32_e32 v95, v71
	s_waitcnt lgkmcnt(0)
	s_barrier
.LBB189_35:                             ;   Parent Loop BB189_5 Depth=1
                                        ; =>  This Inner Loop Header: Depth=2
	s_add_i32 s16, s27, 2
	s_lshr_b32 s30, s16, 4
	s_and_b32 s29, s16, 0x3ffffff8
	v_lshl_add_u32 v96, s29, 2, v104
	s_lshl_b32 s29, s30, 5
	s_addk_i32 s29, 0x4200
	v_add3_u32 v130, s29, v109, v110
	ds_read_b32 v90, v95
	ds_read_b128 v[6:9], v91
	ds_read_b128 v[2:5], v91 offset:16
	ds_read2_b32 v[92:93], v96 offset1:1
	ds_read2_b32 v[128:129], v130 offset1:1
	s_sub_i32 s17, s27, 22
	s_and_b32 s28, s2, -16
	s_add_i32 s28, s27, s28
	s_waitcnt lgkmcnt(1)
	v_ashrrev_i32_e32 v92, s17, v92
	s_waitcnt lgkmcnt(0)
	v_ashrrev_i32_e32 v128, s3, v128
	v_lshlrev_b32_e32 v128, 2, v128
	v_bfe_u32 v94, v92, 24, 2
	v_and_b32_e32 v92, 0x3030303, v92
	v_and_b32_e32 v128, 0x4040404, v128
	v_sub_u16_e32 v131, v92, v128
	v_sub_u16_sdwa v132, v92, v128 dst_sel:BYTE_1 dst_unused:UNUSED_PAD src0_sel:BYTE_1 src1_sel:BYTE_1
	v_sub_u16_sdwa v92, v92, v128 dst_sel:DWORD dst_unused:UNUSED_PAD src0_sel:WORD_1 src1_sel:WORD_1
	v_sub_u16_sdwa v94, v94, v128 dst_sel:BYTE_1 dst_unused:UNUSED_PAD src0_sel:DWORD src1_sel:BYTE_3
	v_bitop3_b16 v131, v131, v132, s23 bitop3:0xec
	v_bitop3_b16 v92, v92, v94, s23 bitop3:0xec
	v_lshlrev_b32_e32 v92, 16, v92
	v_ashrrev_i32_e32 v128, s3, v129
	v_or_b32_sdwa v94, v131, v92 dst_sel:DWORD dst_unused:UNUSED_PAD src0_sel:WORD_0 src1_sel:DWORD
	v_ashrrev_i32_e32 v92, s17, v93
	v_lshlrev_b32_e32 v128, 2, v128
	v_bfe_u32 v93, v92, 24, 2
	v_and_b32_e32 v92, 0x3030303, v92
	v_and_b32_e32 v128, 0x4040404, v128
	v_sub_u16_e32 v129, v92, v128
	v_sub_u16_sdwa v131, v92, v128 dst_sel:BYTE_1 dst_unused:UNUSED_PAD src0_sel:BYTE_1 src1_sel:BYTE_1
	v_sub_u16_sdwa v92, v92, v128 dst_sel:DWORD dst_unused:UNUSED_PAD src0_sel:WORD_1 src1_sel:WORD_1
	v_sub_u16_sdwa v93, v93, v128 dst_sel:BYTE_1 dst_unused:UNUSED_PAD src0_sel:DWORD src1_sel:BYTE_3
	v_bitop3_b16 v129, v129, v131, s23 bitop3:0xec
	v_bitop3_b16 v92, v92, v93, s23 bitop3:0xec
	v_lshlrev_b32_e32 v92, 16, v92
	v_or_b32_sdwa v131, v129, v92 dst_sel:DWORD dst_unused:UNUSED_PAD src0_sel:WORD_0 src1_sel:DWORD
	ds_read2_b32 v[92:93], v96 offset0:2 offset1:3
	ds_read2_b32 v[128:129], v130 offset0:2 offset1:3
	s_lshl_b32 s27, s30, 2
	s_addk_i32 s27, 0x7380
	s_add_i32 s2, s2, 2
	s_waitcnt lgkmcnt(1)
	v_ashrrev_i32_e32 v92, s17, v92
	s_waitcnt lgkmcnt(0)
	v_ashrrev_i32_e32 v128, s3, v128
	v_lshlrev_b32_e32 v128, 2, v128
	v_bfe_u32 v132, v92, 24, 2
	v_and_b32_e32 v92, 0x3030303, v92
	v_and_b32_e32 v128, 0x4040404, v128
	v_sub_u16_e32 v133, v92, v128
	v_sub_u16_sdwa v134, v92, v128 dst_sel:BYTE_1 dst_unused:UNUSED_PAD src0_sel:BYTE_1 src1_sel:BYTE_1
	v_sub_u16_sdwa v92, v92, v128 dst_sel:DWORD dst_unused:UNUSED_PAD src0_sel:WORD_1 src1_sel:WORD_1
	v_sub_u16_sdwa v128, v132, v128 dst_sel:BYTE_1 dst_unused:UNUSED_PAD src0_sel:DWORD src1_sel:BYTE_3
	v_bitop3_b16 v133, v133, v134, s23 bitop3:0xec
	v_bitop3_b16 v92, v92, v128, s23 bitop3:0xec
	v_lshlrev_b32_e32 v92, 16, v92
	v_ashrrev_i32_e32 v128, s3, v129
	v_or_b32_sdwa v132, v133, v92 dst_sel:DWORD dst_unused:UNUSED_PAD src0_sel:WORD_0 src1_sel:DWORD
	v_ashrrev_i32_e32 v92, s17, v93
	v_lshlrev_b32_e32 v128, 2, v128
	v_bfe_u32 v93, v92, 24, 2
	v_and_b32_e32 v92, 0x3030303, v92
	v_and_b32_e32 v128, 0x4040404, v128
	v_sub_u16_e32 v129, v92, v128
	v_sub_u16_sdwa v133, v92, v128 dst_sel:BYTE_1 dst_unused:UNUSED_PAD src0_sel:BYTE_1 src1_sel:BYTE_1
	v_sub_u16_sdwa v92, v92, v128 dst_sel:DWORD dst_unused:UNUSED_PAD src0_sel:WORD_1 src1_sel:WORD_1
	v_sub_u16_sdwa v93, v93, v128 dst_sel:BYTE_1 dst_unused:UNUSED_PAD src0_sel:DWORD src1_sel:BYTE_3
	v_bitop3_b16 v129, v129, v133, s23 bitop3:0xec
	v_bitop3_b16 v92, v92, v93, s23 bitop3:0xec
	v_lshlrev_b32_e32 v92, 16, v92
	v_or_b32_sdwa v133, v129, v92 dst_sel:DWORD dst_unused:UNUSED_PAD src0_sel:WORD_0 src1_sel:DWORD
	ds_read2_b32 v[92:93], v96 offset0:4 offset1:5
	ds_read2_b32 v[128:129], v130 offset0:4 offset1:5
	s_waitcnt lgkmcnt(1)
	v_ashrrev_i32_e32 v92, s17, v92
	s_waitcnt lgkmcnt(0)
	v_ashrrev_i32_e32 v128, s3, v128
	v_lshlrev_b32_e32 v128, 2, v128
	v_bfe_u32 v134, v92, 24, 2
	v_and_b32_e32 v92, 0x3030303, v92
	v_and_b32_e32 v128, 0x4040404, v128
	v_sub_u16_e32 v135, v92, v128
	v_sub_u16_sdwa v136, v92, v128 dst_sel:BYTE_1 dst_unused:UNUSED_PAD src0_sel:BYTE_1 src1_sel:BYTE_1
	v_sub_u16_sdwa v92, v92, v128 dst_sel:DWORD dst_unused:UNUSED_PAD src0_sel:WORD_1 src1_sel:WORD_1
	v_sub_u16_sdwa v128, v134, v128 dst_sel:BYTE_1 dst_unused:UNUSED_PAD src0_sel:DWORD src1_sel:BYTE_3
	v_bitop3_b16 v135, v135, v136, s23 bitop3:0xec
	v_bitop3_b16 v92, v92, v128, s23 bitop3:0xec
	v_lshlrev_b32_e32 v92, 16, v92
	v_ashrrev_i32_e32 v128, s3, v129
	v_or_b32_sdwa v134, v135, v92 dst_sel:DWORD dst_unused:UNUSED_PAD src0_sel:WORD_0 src1_sel:DWORD
	v_ashrrev_i32_e32 v92, s17, v93
	v_lshlrev_b32_e32 v128, 2, v128
	v_bfe_u32 v93, v92, 24, 2
	v_and_b32_e32 v92, 0x3030303, v92
	v_and_b32_e32 v128, 0x4040404, v128
	v_sub_u16_e32 v129, v92, v128
	v_sub_u16_sdwa v135, v92, v128 dst_sel:BYTE_1 dst_unused:UNUSED_PAD src0_sel:BYTE_1 src1_sel:BYTE_1
	v_sub_u16_sdwa v92, v92, v128 dst_sel:DWORD dst_unused:UNUSED_PAD src0_sel:WORD_1 src1_sel:WORD_1
	v_sub_u16_sdwa v93, v93, v128 dst_sel:BYTE_1 dst_unused:UNUSED_PAD src0_sel:DWORD src1_sel:BYTE_3
	v_bitop3_b16 v129, v129, v135, s23 bitop3:0xec
	v_bitop3_b16 v92, v92, v93, s23 bitop3:0xec
	v_lshlrev_b32_e32 v92, 16, v92
	v_or_b32_sdwa v135, v129, v92 dst_sel:DWORD dst_unused:UNUSED_PAD src0_sel:WORD_0 src1_sel:DWORD
	ds_read2_b32 v[92:93], v96 offset0:6 offset1:7
	ds_read2_b32 v[128:129], v130 offset0:6 offset1:7
	s_waitcnt lgkmcnt(1)
	v_ashrrev_i32_e32 v92, s17, v92
	s_waitcnt lgkmcnt(0)
	v_ashrrev_i32_e32 v128, s3, v128
	v_lshlrev_b32_e32 v128, 2, v128
	v_bfe_u32 v136, v92, 24, 2
	v_and_b32_e32 v92, 0x3030303, v92
	v_and_b32_e32 v128, 0x4040404, v128
	v_sub_u16_e32 v130, v92, v128
	v_sub_u16_sdwa v137, v92, v128 dst_sel:BYTE_1 dst_unused:UNUSED_PAD src0_sel:BYTE_1 src1_sel:BYTE_1
	v_sub_u16_sdwa v92, v92, v128 dst_sel:DWORD dst_unused:UNUSED_PAD src0_sel:WORD_1 src1_sel:WORD_1
	v_sub_u16_sdwa v128, v136, v128 dst_sel:BYTE_1 dst_unused:UNUSED_PAD src0_sel:DWORD src1_sel:BYTE_3
	v_bitop3_b16 v130, v130, v137, s23 bitop3:0xec
	v_bitop3_b16 v92, v92, v128, s23 bitop3:0xec
	v_lshlrev_b32_e32 v92, 16, v92
	v_ashrrev_i32_e32 v129, s3, v129
	v_or_b32_sdwa v128, v130, v92 dst_sel:DWORD dst_unused:UNUSED_PAD src0_sel:WORD_0 src1_sel:DWORD
	v_ashrrev_i32_e32 v92, s17, v93
	v_lshlrev_b32_e32 v129, 2, v129
	v_bfe_u32 v93, v92, 24, 2
	v_and_b32_e32 v92, 0x3030303, v92
	v_and_b32_e32 v129, 0x4040404, v129
	v_sub_u16_e32 v130, v92, v129
	v_sub_u16_sdwa v136, v92, v129 dst_sel:BYTE_1 dst_unused:UNUSED_PAD src0_sel:BYTE_1 src1_sel:BYTE_1
	v_sub_u16_sdwa v92, v92, v129 dst_sel:DWORD dst_unused:UNUSED_PAD src0_sel:WORD_1 src1_sel:WORD_1
	v_sub_u16_sdwa v93, v93, v129 dst_sel:BYTE_1 dst_unused:UNUSED_PAD src0_sel:DWORD src1_sel:BYTE_3
	v_bitop3_b16 v130, v130, v136, s23 bitop3:0xec
	v_bitop3_b16 v92, v92, v93, s23 bitop3:0xec
	v_lshlrev_b32_e32 v92, 16, v92
	v_or_b32_sdwa v93, v130, v92 dst_sel:DWORD dst_unused:UNUSED_PAD src0_sel:WORD_0 src1_sel:DWORD
	v_mov_b32_e32 v130, 0
	v_dot4c_i32_i8_e32 v130, v94, v6
	v_dot4c_i32_i8_e32 v130, v131, v7
	;; [unrolled: 1-line block ×3, first 2 shown]
	v_mov_b32_e32 v132, 0
	v_dot4c_i32_i8_e32 v132, v134, v2
	v_dot4c_i32_i8_e32 v132, v135, v3
	v_add_u32_e32 v129, s28, v81
	v_dot4c_i32_i8_e32 v132, v128, v4
	v_dot4c_i32_i8_e32 v132, v93, v5
	ds_read_u16 v93, v129 offset:25330
	v_dot4c_i32_i8_e32 v130, v133, v9
	v_add3_u32 v92, s27, v127, v111
	v_add3_u32 v134, s29, v112, v113
	ds_read_b32 v92, v92
	s_waitcnt lgkmcnt(1)
	v_lshrrev_b16_e32 v94, 8, v93
	v_bfe_i32 v93, v93, 0, 8
	v_bfe_i32 v133, v94, 0, 8
	v_mul_lo_u32 v94, v130, v93
	v_add_u32_e32 v93, 0x1080, v96
	ds_read2_b32 v[128:129], v93 offset1:1
	ds_read2_b32 v[130:131], v134 offset1:1
	s_waitcnt lgkmcnt(1)
	v_ashrrev_i32_e32 v93, s17, v128
	s_waitcnt lgkmcnt(0)
	v_ashrrev_i32_e32 v130, s3, v130
	v_lshlrev_b32_e32 v130, 2, v130
	v_bfe_u32 v128, v93, 24, 2
	v_and_b32_e32 v93, 0x3030303, v93
	v_and_b32_e32 v130, 0x4040404, v130
	v_sub_u16_e32 v135, v93, v130
	v_sub_u16_sdwa v136, v93, v130 dst_sel:BYTE_1 dst_unused:UNUSED_PAD src0_sel:BYTE_1 src1_sel:BYTE_1
	v_sub_u16_sdwa v93, v93, v130 dst_sel:DWORD dst_unused:UNUSED_PAD src0_sel:WORD_1 src1_sel:WORD_1
	v_sub_u16_sdwa v128, v128, v130 dst_sel:BYTE_1 dst_unused:UNUSED_PAD src0_sel:DWORD src1_sel:BYTE_3
	v_bitop3_b16 v135, v135, v136, s23 bitop3:0xec
	v_bitop3_b16 v93, v93, v128, s23 bitop3:0xec
	v_lshlrev_b32_e32 v93, 16, v93
	v_or_b32_sdwa v135, v135, v93 dst_sel:DWORD dst_unused:UNUSED_PAD src0_sel:WORD_0 src1_sel:DWORD
	v_ashrrev_i32_e32 v93, s17, v129
	v_ashrrev_i32_e32 v129, s3, v131
	v_lshlrev_b32_e32 v129, 2, v129
	v_bfe_u32 v128, v93, 24, 2
	v_and_b32_e32 v93, 0x3030303, v93
	v_and_b32_e32 v129, 0x4040404, v129
	v_sub_u16_e32 v130, v93, v129
	v_sub_u16_sdwa v131, v93, v129 dst_sel:BYTE_1 dst_unused:UNUSED_PAD src0_sel:BYTE_1 src1_sel:BYTE_1
	v_sub_u16_sdwa v93, v93, v129 dst_sel:DWORD dst_unused:UNUSED_PAD src0_sel:WORD_1 src1_sel:WORD_1
	v_sub_u16_sdwa v128, v128, v129 dst_sel:BYTE_1 dst_unused:UNUSED_PAD src0_sel:DWORD src1_sel:BYTE_3
	v_bitop3_b16 v130, v130, v131, s23 bitop3:0xec
	v_bitop3_b16 v93, v93, v128, s23 bitop3:0xec
	v_lshlrev_b32_e32 v93, 16, v93
	v_or_b32_sdwa v136, v130, v93 dst_sel:DWORD dst_unused:UNUSED_PAD src0_sel:WORD_0 src1_sel:DWORD
	v_add_u32_e32 v93, 0x1088, v96
	ds_read2_b32 v[128:129], v93 offset1:1
	ds_read2_b32 v[130:131], v134 offset0:2 offset1:3
	s_waitcnt lgkmcnt(1)
	v_ashrrev_i32_e32 v93, s17, v128
	s_waitcnt lgkmcnt(0)
	v_ashrrev_i32_e32 v130, s3, v130
	v_lshlrev_b32_e32 v130, 2, v130
	v_bfe_u32 v128, v93, 24, 2
	v_and_b32_e32 v93, 0x3030303, v93
	v_and_b32_e32 v130, 0x4040404, v130
	v_sub_u16_e32 v137, v93, v130
	v_sub_u16_sdwa v138, v93, v130 dst_sel:BYTE_1 dst_unused:UNUSED_PAD src0_sel:BYTE_1 src1_sel:BYTE_1
	v_sub_u16_sdwa v93, v93, v130 dst_sel:DWORD dst_unused:UNUSED_PAD src0_sel:WORD_1 src1_sel:WORD_1
	v_sub_u16_sdwa v128, v128, v130 dst_sel:BYTE_1 dst_unused:UNUSED_PAD src0_sel:DWORD src1_sel:BYTE_3
	v_bitop3_b16 v137, v137, v138, s23 bitop3:0xec
	v_bitop3_b16 v93, v93, v128, s23 bitop3:0xec
	v_lshlrev_b32_e32 v93, 16, v93
	v_or_b32_sdwa v137, v137, v93 dst_sel:DWORD dst_unused:UNUSED_PAD src0_sel:WORD_0 src1_sel:DWORD
	v_ashrrev_i32_e32 v93, s17, v129
	v_ashrrev_i32_e32 v129, s3, v131
	v_lshlrev_b32_e32 v129, 2, v129
	v_bfe_u32 v128, v93, 24, 2
	v_and_b32_e32 v93, 0x3030303, v93
	v_and_b32_e32 v129, 0x4040404, v129
	v_sub_u16_e32 v130, v93, v129
	v_sub_u16_sdwa v131, v93, v129 dst_sel:BYTE_1 dst_unused:UNUSED_PAD src0_sel:BYTE_1 src1_sel:BYTE_1
	v_sub_u16_sdwa v93, v93, v129 dst_sel:DWORD dst_unused:UNUSED_PAD src0_sel:WORD_1 src1_sel:WORD_1
	v_sub_u16_sdwa v128, v128, v129 dst_sel:BYTE_1 dst_unused:UNUSED_PAD src0_sel:DWORD src1_sel:BYTE_3
	v_bitop3_b16 v130, v130, v131, s23 bitop3:0xec
	v_bitop3_b16 v93, v93, v128, s23 bitop3:0xec
	v_lshlrev_b32_e32 v93, 16, v93
	v_or_b32_sdwa v138, v130, v93 dst_sel:DWORD dst_unused:UNUSED_PAD src0_sel:WORD_0 src1_sel:DWORD
	v_add_u32_e32 v93, 0x1090, v96
	ds_read2_b32 v[128:129], v93 offset1:1
	ds_read2_b32 v[130:131], v134 offset0:4 offset1:5
	;; [unrolled: 33-line block ×3, first 2 shown]
	s_waitcnt lgkmcnt(1)
	v_ashrrev_i32_e32 v93, s17, v128
	s_waitcnt lgkmcnt(0)
	v_ashrrev_i32_e32 v130, s3, v130
	v_lshlrev_b32_e32 v130, 2, v130
	v_bfe_u32 v128, v93, 24, 2
	v_and_b32_e32 v93, 0x3030303, v93
	v_and_b32_e32 v130, 0x4040404, v130
	v_sub_u16_e32 v134, v93, v130
	v_sub_u16_sdwa v141, v93, v130 dst_sel:BYTE_1 dst_unused:UNUSED_PAD src0_sel:BYTE_1 src1_sel:BYTE_1
	v_sub_u16_sdwa v93, v93, v130 dst_sel:DWORD dst_unused:UNUSED_PAD src0_sel:WORD_1 src1_sel:WORD_1
	v_sub_u16_sdwa v128, v128, v130 dst_sel:BYTE_1 dst_unused:UNUSED_PAD src0_sel:DWORD src1_sel:BYTE_3
	v_bitop3_b16 v134, v134, v141, s23 bitop3:0xec
	v_bitop3_b16 v93, v93, v128, s23 bitop3:0xec
	v_lshlrev_b32_e32 v93, 16, v93
	v_or_b32_sdwa v130, v134, v93 dst_sel:DWORD dst_unused:UNUSED_PAD src0_sel:WORD_0 src1_sel:DWORD
	v_ashrrev_i32_e32 v93, s17, v129
	v_ashrrev_i32_e32 v129, s3, v131
	v_lshlrev_b32_e32 v129, 2, v129
	v_bfe_u32 v128, v93, 24, 2
	v_and_b32_e32 v93, 0x3030303, v93
	v_and_b32_e32 v129, 0x4040404, v129
	v_sub_u16_e32 v131, v93, v129
	v_sub_u16_sdwa v134, v93, v129 dst_sel:BYTE_1 dst_unused:UNUSED_PAD src0_sel:BYTE_1 src1_sel:BYTE_1
	v_sub_u16_sdwa v93, v93, v129 dst_sel:DWORD dst_unused:UNUSED_PAD src0_sel:WORD_1 src1_sel:WORD_1
	v_sub_u16_sdwa v128, v128, v129 dst_sel:BYTE_1 dst_unused:UNUSED_PAD src0_sel:DWORD src1_sel:BYTE_3
	v_bitop3_b16 v131, v131, v134, s23 bitop3:0xec
	v_bitop3_b16 v93, v93, v128, s23 bitop3:0xec
	v_lshlrev_b32_e32 v93, 16, v93
	v_or_b32_sdwa v129, v131, v93 dst_sel:DWORD dst_unused:UNUSED_PAD src0_sel:WORD_0 src1_sel:DWORD
	v_add_u32_e32 v128, s28, v79
	v_add3_u32 v93, s27, v114, v115
	ds_read_b32 v93, v93
	ds_read_u16 v128, v128 offset:26354
	v_mov_b32_e32 v131, 0
	v_dot4c_i32_i8_e32 v131, v135, v6
	v_mov_b32_e32 v135, 0
	v_dot4c_i32_i8_e32 v131, v136, v7
	v_dot4c_i32_i8_e32 v135, v139, v2
	v_dot4c_i32_i8_e32 v131, v137, v8
	v_dot4c_i32_i8_e32 v135, v140, v3
	v_dot4c_i32_i8_e32 v131, v138, v9
	s_waitcnt lgkmcnt(0)
	v_lshrrev_b16_e32 v134, 8, v128
	v_bfe_i32 v128, v128, 0, 8
	v_dot4c_i32_i8_e32 v135, v130, v4
	v_mul_lo_u32 v128, v131, v128
	v_dot4c_i32_i8_e32 v135, v129, v5
	v_bfe_i32 v129, v134, 0, 8
	v_mad_u64_u32 v[130:131], s[30:31], v132, v133, v[94:95]
	s_nop 0
	v_mad_u64_u32 v[128:129], s[30:31], v135, v129, v[128:129]
	v_cvt_f32_i32_e32 v129, v128
	v_cvt_f32_i32_e32 v128, v130
	v_pk_mul_f32 v[92:93], v[90:91], v[92:93] op_sel_hi:[0,1]
	v_add3_u32 v130, s29, v116, v117
	v_pk_fma_f32 v[32:33], v[92:93], v[128:129], v[32:33]
	v_add_u32_e32 v92, 0x2100, v96
	ds_read2_b32 v[92:93], v92 offset1:1
	ds_read2_b32 v[128:129], v130 offset1:1
	s_waitcnt lgkmcnt(1)
	v_ashrrev_i32_e32 v92, s17, v92
	s_waitcnt lgkmcnt(0)
	v_ashrrev_i32_e32 v128, s3, v128
	v_lshlrev_b32_e32 v128, 2, v128
	v_bfe_u32 v94, v92, 24, 2
	v_and_b32_e32 v92, 0x3030303, v92
	v_and_b32_e32 v128, 0x4040404, v128
	v_sub_u16_e32 v131, v92, v128
	v_sub_u16_sdwa v132, v92, v128 dst_sel:BYTE_1 dst_unused:UNUSED_PAD src0_sel:BYTE_1 src1_sel:BYTE_1
	v_sub_u16_sdwa v92, v92, v128 dst_sel:DWORD dst_unused:UNUSED_PAD src0_sel:WORD_1 src1_sel:WORD_1
	v_sub_u16_sdwa v94, v94, v128 dst_sel:BYTE_1 dst_unused:UNUSED_PAD src0_sel:DWORD src1_sel:BYTE_3
	v_bitop3_b16 v131, v131, v132, s23 bitop3:0xec
	v_bitop3_b16 v92, v92, v94, s23 bitop3:0xec
	v_lshlrev_b32_e32 v92, 16, v92
	v_ashrrev_i32_e32 v128, s3, v129
	v_or_b32_sdwa v94, v131, v92 dst_sel:DWORD dst_unused:UNUSED_PAD src0_sel:WORD_0 src1_sel:DWORD
	v_ashrrev_i32_e32 v92, s17, v93
	v_lshlrev_b32_e32 v128, 2, v128
	v_bfe_u32 v93, v92, 24, 2
	v_and_b32_e32 v92, 0x3030303, v92
	v_and_b32_e32 v128, 0x4040404, v128
	v_sub_u16_e32 v129, v92, v128
	v_sub_u16_sdwa v131, v92, v128 dst_sel:BYTE_1 dst_unused:UNUSED_PAD src0_sel:BYTE_1 src1_sel:BYTE_1
	v_sub_u16_sdwa v92, v92, v128 dst_sel:DWORD dst_unused:UNUSED_PAD src0_sel:WORD_1 src1_sel:WORD_1
	v_sub_u16_sdwa v93, v93, v128 dst_sel:BYTE_1 dst_unused:UNUSED_PAD src0_sel:DWORD src1_sel:BYTE_3
	v_bitop3_b16 v129, v129, v131, s23 bitop3:0xec
	v_bitop3_b16 v92, v92, v93, s23 bitop3:0xec
	v_lshlrev_b32_e32 v92, 16, v92
	v_or_b32_sdwa v131, v129, v92 dst_sel:DWORD dst_unused:UNUSED_PAD src0_sel:WORD_0 src1_sel:DWORD
	v_add_u32_e32 v92, 0x2108, v96
	ds_read2_b32 v[92:93], v92 offset1:1
	ds_read2_b32 v[128:129], v130 offset0:2 offset1:3
	s_waitcnt lgkmcnt(1)
	v_ashrrev_i32_e32 v92, s17, v92
	s_waitcnt lgkmcnt(0)
	v_ashrrev_i32_e32 v128, s3, v128
	v_lshlrev_b32_e32 v128, 2, v128
	v_bfe_u32 v132, v92, 24, 2
	v_and_b32_e32 v92, 0x3030303, v92
	v_and_b32_e32 v128, 0x4040404, v128
	v_sub_u16_e32 v133, v92, v128
	v_sub_u16_sdwa v134, v92, v128 dst_sel:BYTE_1 dst_unused:UNUSED_PAD src0_sel:BYTE_1 src1_sel:BYTE_1
	v_sub_u16_sdwa v92, v92, v128 dst_sel:DWORD dst_unused:UNUSED_PAD src0_sel:WORD_1 src1_sel:WORD_1
	v_sub_u16_sdwa v128, v132, v128 dst_sel:BYTE_1 dst_unused:UNUSED_PAD src0_sel:DWORD src1_sel:BYTE_3
	v_bitop3_b16 v133, v133, v134, s23 bitop3:0xec
	v_bitop3_b16 v92, v92, v128, s23 bitop3:0xec
	v_lshlrev_b32_e32 v92, 16, v92
	v_ashrrev_i32_e32 v128, s3, v129
	v_or_b32_sdwa v132, v133, v92 dst_sel:DWORD dst_unused:UNUSED_PAD src0_sel:WORD_0 src1_sel:DWORD
	v_ashrrev_i32_e32 v92, s17, v93
	v_lshlrev_b32_e32 v128, 2, v128
	v_bfe_u32 v93, v92, 24, 2
	v_and_b32_e32 v92, 0x3030303, v92
	v_and_b32_e32 v128, 0x4040404, v128
	v_sub_u16_e32 v129, v92, v128
	v_sub_u16_sdwa v133, v92, v128 dst_sel:BYTE_1 dst_unused:UNUSED_PAD src0_sel:BYTE_1 src1_sel:BYTE_1
	v_sub_u16_sdwa v92, v92, v128 dst_sel:DWORD dst_unused:UNUSED_PAD src0_sel:WORD_1 src1_sel:WORD_1
	v_sub_u16_sdwa v93, v93, v128 dst_sel:BYTE_1 dst_unused:UNUSED_PAD src0_sel:DWORD src1_sel:BYTE_3
	v_bitop3_b16 v129, v129, v133, s23 bitop3:0xec
	v_bitop3_b16 v92, v92, v93, s23 bitop3:0xec
	v_lshlrev_b32_e32 v92, 16, v92
	v_or_b32_sdwa v133, v129, v92 dst_sel:DWORD dst_unused:UNUSED_PAD src0_sel:WORD_0 src1_sel:DWORD
	v_add_u32_e32 v92, 0x2110, v96
	ds_read2_b32 v[92:93], v92 offset1:1
	ds_read2_b32 v[128:129], v130 offset0:4 offset1:5
	;; [unrolled: 33-line block ×3, first 2 shown]
	s_waitcnt lgkmcnt(1)
	v_ashrrev_i32_e32 v92, s17, v92
	s_waitcnt lgkmcnt(0)
	v_ashrrev_i32_e32 v128, s3, v128
	v_lshlrev_b32_e32 v128, 2, v128
	v_bfe_u32 v136, v92, 24, 2
	v_and_b32_e32 v92, 0x3030303, v92
	v_and_b32_e32 v128, 0x4040404, v128
	v_sub_u16_e32 v130, v92, v128
	v_sub_u16_sdwa v137, v92, v128 dst_sel:BYTE_1 dst_unused:UNUSED_PAD src0_sel:BYTE_1 src1_sel:BYTE_1
	v_sub_u16_sdwa v92, v92, v128 dst_sel:DWORD dst_unused:UNUSED_PAD src0_sel:WORD_1 src1_sel:WORD_1
	v_sub_u16_sdwa v128, v136, v128 dst_sel:BYTE_1 dst_unused:UNUSED_PAD src0_sel:DWORD src1_sel:BYTE_3
	v_bitop3_b16 v130, v130, v137, s23 bitop3:0xec
	v_bitop3_b16 v92, v92, v128, s23 bitop3:0xec
	v_lshlrev_b32_e32 v92, 16, v92
	v_ashrrev_i32_e32 v128, s3, v129
	v_or_b32_sdwa v130, v130, v92 dst_sel:DWORD dst_unused:UNUSED_PAD src0_sel:WORD_0 src1_sel:DWORD
	v_ashrrev_i32_e32 v92, s17, v93
	v_lshlrev_b32_e32 v128, 2, v128
	v_bfe_u32 v93, v92, 24, 2
	v_and_b32_e32 v92, 0x3030303, v92
	v_and_b32_e32 v128, 0x4040404, v128
	v_sub_u16_e32 v129, v92, v128
	v_sub_u16_sdwa v136, v92, v128 dst_sel:BYTE_1 dst_unused:UNUSED_PAD src0_sel:BYTE_1 src1_sel:BYTE_1
	v_sub_u16_sdwa v92, v92, v128 dst_sel:DWORD dst_unused:UNUSED_PAD src0_sel:WORD_1 src1_sel:WORD_1
	v_sub_u16_sdwa v93, v93, v128 dst_sel:BYTE_1 dst_unused:UNUSED_PAD src0_sel:DWORD src1_sel:BYTE_3
	v_mov_b32_e32 v128, 0
	v_bitop3_b16 v92, v92, v93, s23 bitop3:0xec
	v_dot4c_i32_i8_e32 v128, v134, v2
	v_bitop3_b16 v129, v129, v136, s23 bitop3:0xec
	v_lshlrev_b32_e32 v92, 16, v92
	v_dot4c_i32_i8_e32 v128, v135, v3
	v_or_b32_sdwa v93, v129, v92 dst_sel:DWORD dst_unused:UNUSED_PAD src0_sel:WORD_0 src1_sel:DWORD
	v_add_u32_e32 v129, s28, v77
	v_dot4c_i32_i8_e32 v128, v130, v4
	v_dot4c_i32_i8_e32 v128, v93, v5
	ds_read_u16 v93, v129 offset:27378
	v_mov_b32_e32 v136, 0
	v_dot4c_i32_i8_e32 v136, v94, v6
	v_dot4c_i32_i8_e32 v136, v131, v7
	v_dot4c_i32_i8_e32 v136, v132, v8
	v_dot4c_i32_i8_e32 v136, v133, v9
	s_waitcnt lgkmcnt(0)
	v_lshrrev_b16_e32 v94, 8, v93
	v_bfe_i32 v93, v93, 0, 8
	v_add3_u32 v92, s27, v118, v119
	v_bfe_i32 v129, v94, 0, 8
	v_mul_lo_u32 v94, v136, v93
	v_add_u32_e32 v93, 0x3180, v96
	v_add3_u32 v136, s29, v120, v121
	ds_read_b32 v92, v92
	ds_read2_b32 v[130:131], v93 offset1:1
	ds_read2_b32 v[132:133], v136 offset1:1
	s_waitcnt lgkmcnt(1)
	v_ashrrev_i32_e32 v93, s17, v130
	s_waitcnt lgkmcnt(0)
	v_ashrrev_i32_e32 v132, s3, v132
	v_lshlrev_b32_e32 v132, 2, v132
	v_bfe_u32 v130, v93, 24, 2
	v_and_b32_e32 v93, 0x3030303, v93
	v_and_b32_e32 v132, 0x4040404, v132
	v_sub_u16_e32 v134, v93, v132
	v_sub_u16_sdwa v135, v93, v132 dst_sel:BYTE_1 dst_unused:UNUSED_PAD src0_sel:BYTE_1 src1_sel:BYTE_1
	v_sub_u16_sdwa v93, v93, v132 dst_sel:DWORD dst_unused:UNUSED_PAD src0_sel:WORD_1 src1_sel:WORD_1
	v_sub_u16_sdwa v130, v130, v132 dst_sel:BYTE_1 dst_unused:UNUSED_PAD src0_sel:DWORD src1_sel:BYTE_3
	v_bitop3_b16 v134, v134, v135, s23 bitop3:0xec
	v_bitop3_b16 v93, v93, v130, s23 bitop3:0xec
	v_lshlrev_b32_e32 v93, 16, v93
	v_ashrrev_i32_e32 v132, s3, v133
	v_or_b32_sdwa v130, v134, v93 dst_sel:DWORD dst_unused:UNUSED_PAD src0_sel:WORD_0 src1_sel:DWORD
	v_ashrrev_i32_e32 v93, s17, v131
	v_lshlrev_b32_e32 v132, 2, v132
	v_bfe_u32 v131, v93, 24, 2
	v_and_b32_e32 v93, 0x3030303, v93
	v_and_b32_e32 v132, 0x4040404, v132
	v_sub_u16_e32 v133, v93, v132
	v_sub_u16_sdwa v134, v93, v132 dst_sel:BYTE_1 dst_unused:UNUSED_PAD src0_sel:BYTE_1 src1_sel:BYTE_1
	v_sub_u16_sdwa v93, v93, v132 dst_sel:DWORD dst_unused:UNUSED_PAD src0_sel:WORD_1 src1_sel:WORD_1
	v_sub_u16_sdwa v131, v131, v132 dst_sel:BYTE_1 dst_unused:UNUSED_PAD src0_sel:DWORD src1_sel:BYTE_3
	v_bitop3_b16 v133, v133, v134, s23 bitop3:0xec
	v_bitop3_b16 v93, v93, v131, s23 bitop3:0xec
	v_lshlrev_b32_e32 v93, 16, v93
	v_or_b32_sdwa v131, v133, v93 dst_sel:DWORD dst_unused:UNUSED_PAD src0_sel:WORD_0 src1_sel:DWORD
	v_add_u32_e32 v93, 0x3188, v96
	ds_read2_b32 v[132:133], v93 offset1:1
	ds_read2_b32 v[134:135], v136 offset0:2 offset1:3
	s_waitcnt lgkmcnt(1)
	v_ashrrev_i32_e32 v93, s17, v132
	s_waitcnt lgkmcnt(0)
	v_ashrrev_i32_e32 v134, s3, v134
	v_lshlrev_b32_e32 v134, 2, v134
	v_bfe_u32 v132, v93, 24, 2
	v_and_b32_e32 v93, 0x3030303, v93
	v_and_b32_e32 v134, 0x4040404, v134
	v_sub_u16_e32 v137, v93, v134
	v_sub_u16_sdwa v138, v93, v134 dst_sel:BYTE_1 dst_unused:UNUSED_PAD src0_sel:BYTE_1 src1_sel:BYTE_1
	v_sub_u16_sdwa v93, v93, v134 dst_sel:DWORD dst_unused:UNUSED_PAD src0_sel:WORD_1 src1_sel:WORD_1
	v_sub_u16_sdwa v132, v132, v134 dst_sel:BYTE_1 dst_unused:UNUSED_PAD src0_sel:DWORD src1_sel:BYTE_3
	v_bitop3_b16 v137, v137, v138, s23 bitop3:0xec
	v_bitop3_b16 v93, v93, v132, s23 bitop3:0xec
	v_lshlrev_b32_e32 v93, 16, v93
	v_or_b32_sdwa v137, v137, v93 dst_sel:DWORD dst_unused:UNUSED_PAD src0_sel:WORD_0 src1_sel:DWORD
	v_ashrrev_i32_e32 v93, s17, v133
	v_ashrrev_i32_e32 v133, s3, v135
	v_lshlrev_b32_e32 v133, 2, v133
	v_bfe_u32 v132, v93, 24, 2
	v_and_b32_e32 v93, 0x3030303, v93
	v_and_b32_e32 v133, 0x4040404, v133
	v_sub_u16_e32 v134, v93, v133
	v_sub_u16_sdwa v135, v93, v133 dst_sel:BYTE_1 dst_unused:UNUSED_PAD src0_sel:BYTE_1 src1_sel:BYTE_1
	v_sub_u16_sdwa v93, v93, v133 dst_sel:DWORD dst_unused:UNUSED_PAD src0_sel:WORD_1 src1_sel:WORD_1
	v_sub_u16_sdwa v132, v132, v133 dst_sel:BYTE_1 dst_unused:UNUSED_PAD src0_sel:DWORD src1_sel:BYTE_3
	v_bitop3_b16 v134, v134, v135, s23 bitop3:0xec
	v_bitop3_b16 v93, v93, v132, s23 bitop3:0xec
	v_lshlrev_b32_e32 v93, 16, v93
	v_or_b32_sdwa v138, v134, v93 dst_sel:DWORD dst_unused:UNUSED_PAD src0_sel:WORD_0 src1_sel:DWORD
	v_add_u32_e32 v93, 0x3190, v96
	ds_read2_b32 v[132:133], v93 offset1:1
	ds_read2_b32 v[134:135], v136 offset0:4 offset1:5
	s_waitcnt lgkmcnt(1)
	v_ashrrev_i32_e32 v93, s17, v132
	s_waitcnt lgkmcnt(0)
	v_ashrrev_i32_e32 v134, s3, v134
	v_lshlrev_b32_e32 v134, 2, v134
	v_bfe_u32 v132, v93, 24, 2
	v_and_b32_e32 v93, 0x3030303, v93
	v_and_b32_e32 v134, 0x4040404, v134
	v_sub_u16_e32 v139, v93, v134
	v_sub_u16_sdwa v140, v93, v134 dst_sel:BYTE_1 dst_unused:UNUSED_PAD src0_sel:BYTE_1 src1_sel:BYTE_1
	v_sub_u16_sdwa v93, v93, v134 dst_sel:DWORD dst_unused:UNUSED_PAD src0_sel:WORD_1 src1_sel:WORD_1
	v_sub_u16_sdwa v132, v132, v134 dst_sel:BYTE_1 dst_unused:UNUSED_PAD src0_sel:DWORD src1_sel:BYTE_3
	v_bitop3_b16 v139, v139, v140, s23 bitop3:0xec
	v_bitop3_b16 v93, v93, v132, s23 bitop3:0xec
	v_lshlrev_b32_e32 v93, 16, v93
	v_or_b32_sdwa v139, v139, v93 dst_sel:DWORD dst_unused:UNUSED_PAD src0_sel:WORD_0 src1_sel:DWORD
	v_ashrrev_i32_e32 v93, s17, v133
	;; [unrolled: 33-line block ×3, first 2 shown]
	v_ashrrev_i32_e32 v133, s3, v135
	v_lshlrev_b32_e32 v133, 2, v133
	v_bfe_u32 v132, v93, 24, 2
	v_and_b32_e32 v93, 0x3030303, v93
	v_and_b32_e32 v133, 0x4040404, v133
	v_sub_u16_e32 v134, v93, v133
	v_sub_u16_sdwa v135, v93, v133 dst_sel:BYTE_1 dst_unused:UNUSED_PAD src0_sel:BYTE_1 src1_sel:BYTE_1
	v_sub_u16_sdwa v93, v93, v133 dst_sel:DWORD dst_unused:UNUSED_PAD src0_sel:WORD_1 src1_sel:WORD_1
	v_sub_u16_sdwa v132, v132, v133 dst_sel:BYTE_1 dst_unused:UNUSED_PAD src0_sel:DWORD src1_sel:BYTE_3
	v_bitop3_b16 v134, v134, v135, s23 bitop3:0xec
	v_bitop3_b16 v93, v93, v132, s23 bitop3:0xec
	v_lshlrev_b32_e32 v93, 16, v93
	v_or_b32_sdwa v132, v134, v93 dst_sel:DWORD dst_unused:UNUSED_PAD src0_sel:WORD_0 src1_sel:DWORD
	v_mov_b32_e32 v134, 0
	v_add_u32_e32 v133, s28, v75
	v_add3_u32 v93, s27, v122, v123
	v_dot4c_i32_i8_e32 v134, v130, v6
	v_mov_b32_e32 v6, 0
	ds_read_b32 v93, v93
	v_dot4c_i32_i8_e32 v6, v139, v2
	ds_read_u16 v2, v133 offset:28402
	v_dot4c_i32_i8_e32 v134, v131, v7
	v_dot4c_i32_i8_e32 v134, v137, v8
	;; [unrolled: 1-line block ×5, first 2 shown]
	s_waitcnt lgkmcnt(0)
	v_lshrrev_b16_e32 v3, 8, v2
	v_bfe_i32 v2, v2, 0, 8
	v_dot4c_i32_i8_e32 v6, v132, v5
	v_bfe_i32 v5, v3, 0, 8
	v_mul_lo_u32 v4, v134, v2
	v_mad_u64_u32 v[2:3], s[28:29], v128, v129, v[94:95]
	v_mad_u64_u32 v[4:5], s[28:29], v6, v5, v[4:5]
	v_cvt_f32_i32_e32 v3, v4
	v_cvt_f32_i32_e32 v2, v2
	v_pk_mul_f32 v[6:7], v[90:91], v[92:93] op_sel_hi:[0,1]
	s_add_i32 s3, s3, 1
	v_add_u32_e32 v95, 4, v95
	v_pk_fma_f32 v[30:31], v[6:7], v[2:3], v[30:31]
	v_add_u32_e32 v91, 32, v91
	s_cmp_lt_u32 s16, 30
	s_mov_b32 s27, s16
	s_cbranch_scc1 .LBB189_35
; %bb.36:                               ;   in Loop: Header=BB189_5 Depth=1
	s_barrier
	s_branch .LBB189_4
.LBB189_37:
	s_mul_i32 s0, s7, s4
	s_waitcnt vmcnt(0)
	v_cmp_gt_i32_e32 vcc, s0, v1
	s_and_saveexec_b64 s[0:1], vcc
	s_cbranch_execz .LBB189_46
; %bb.38:
	v_and_b32_e32 v0, 0x3ff, v0
	v_add_u32_e32 v2, s18, v0
	v_mul_lo_u32 v0, v1, s6
	v_cmp_gt_u32_e32 vcc, s6, v2
	s_and_saveexec_b64 s[0:1], vcc
	s_cbranch_execz .LBB189_40
; %bb.39:
	v_add_u32_e32 v4, v0, v2
	v_mov_b32_e32 v5, 0
	v_lshl_add_u64 v[4:5], v[4:5], 2, s[12:13]
	global_store_dword v[4:5], v32, off
.LBB189_40:
	s_or_b64 exec, exec, s[0:1]
	v_add_u32_e32 v1, 32, v2
	v_cmp_gt_u32_e32 vcc, s6, v1
	s_and_saveexec_b64 s[0:1], vcc
	s_cbranch_execz .LBB189_42
; %bb.41:
	v_add_u32_e32 v4, v0, v1
	v_mov_b32_e32 v5, 0
	v_lshl_add_u64 v[4:5], v[4:5], 2, s[12:13]
	global_store_dword v[4:5], v33, off
.LBB189_42:
	s_or_b64 exec, exec, s[0:1]
	v_add_u32_e32 v1, 64, v2
	;; [unrolled: 11-line block ×3, first 2 shown]
	v_cmp_gt_u32_e32 vcc, s6, v1
	s_and_b64 exec, exec, vcc
	s_cbranch_execz .LBB189_46
; %bb.45:
	v_add_u32_e32 v0, v0, v1
	v_mov_b32_e32 v1, 0
	v_lshl_add_u64 v[0:1], v[0:1], 2, s[12:13]
	global_store_dword v[0:1], v31, off
.LBB189_46:
	s_endpgm
	.section	.rodata,"a",@progbits
	.p2align	6, 0x0
	.amdhsa_kernel _ZL8moe_q3_KIfLb0EEvPKvS1_PT_PKiS5_S5_iiiiiii
		.amdhsa_group_segment_fixed_size 31776
		.amdhsa_private_segment_fixed_size 0
		.amdhsa_kernarg_size 76
		.amdhsa_user_sgpr_count 2
		.amdhsa_user_sgpr_dispatch_ptr 0
		.amdhsa_user_sgpr_queue_ptr 0
		.amdhsa_user_sgpr_kernarg_segment_ptr 1
		.amdhsa_user_sgpr_dispatch_id 0
		.amdhsa_user_sgpr_kernarg_preload_length 0
		.amdhsa_user_sgpr_kernarg_preload_offset 0
		.amdhsa_user_sgpr_private_segment_size 0
		.amdhsa_uses_dynamic_stack 0
		.amdhsa_enable_private_segment 0
		.amdhsa_system_sgpr_workgroup_id_x 1
		.amdhsa_system_sgpr_workgroup_id_y 1
		.amdhsa_system_sgpr_workgroup_id_z 0
		.amdhsa_system_sgpr_workgroup_info 0
		.amdhsa_system_vgpr_workitem_id 1
		.amdhsa_next_free_vgpr 153
		.amdhsa_next_free_sgpr 96
		.amdhsa_accum_offset 156
		.amdhsa_reserve_vcc 1
		.amdhsa_float_round_mode_32 0
		.amdhsa_float_round_mode_16_64 0
		.amdhsa_float_denorm_mode_32 3
		.amdhsa_float_denorm_mode_16_64 3
		.amdhsa_dx10_clamp 1
		.amdhsa_ieee_mode 1
		.amdhsa_fp16_overflow 0
		.amdhsa_tg_split 0
		.amdhsa_exception_fp_ieee_invalid_op 0
		.amdhsa_exception_fp_denorm_src 0
		.amdhsa_exception_fp_ieee_div_zero 0
		.amdhsa_exception_fp_ieee_overflow 0
		.amdhsa_exception_fp_ieee_underflow 0
		.amdhsa_exception_fp_ieee_inexact 0
		.amdhsa_exception_int_div_zero 0
	.end_amdhsa_kernel
	.section	.text._ZL8moe_q3_KIfLb0EEvPKvS1_PT_PKiS5_S5_iiiiiii,"axG",@progbits,_ZL8moe_q3_KIfLb0EEvPKvS1_PT_PKiS5_S5_iiiiiii,comdat
.Lfunc_end189:
	.size	_ZL8moe_q3_KIfLb0EEvPKvS1_PT_PKiS5_S5_iiiiiii, .Lfunc_end189-_ZL8moe_q3_KIfLb0EEvPKvS1_PT_PKiS5_S5_iiiiiii
                                        ; -- End function
	.set _ZL8moe_q3_KIfLb0EEvPKvS1_PT_PKiS5_S5_iiiiiii.num_vgpr, 153
	.set _ZL8moe_q3_KIfLb0EEvPKvS1_PT_PKiS5_S5_iiiiiii.num_agpr, 0
	.set _ZL8moe_q3_KIfLb0EEvPKvS1_PT_PKiS5_S5_iiiiiii.numbered_sgpr, 36
	.set _ZL8moe_q3_KIfLb0EEvPKvS1_PT_PKiS5_S5_iiiiiii.num_named_barrier, 0
	.set _ZL8moe_q3_KIfLb0EEvPKvS1_PT_PKiS5_S5_iiiiiii.private_seg_size, 0
	.set _ZL8moe_q3_KIfLb0EEvPKvS1_PT_PKiS5_S5_iiiiiii.uses_vcc, 1
	.set _ZL8moe_q3_KIfLb0EEvPKvS1_PT_PKiS5_S5_iiiiiii.uses_flat_scratch, 0
	.set _ZL8moe_q3_KIfLb0EEvPKvS1_PT_PKiS5_S5_iiiiiii.has_dyn_sized_stack, 0
	.set _ZL8moe_q3_KIfLb0EEvPKvS1_PT_PKiS5_S5_iiiiiii.has_recursion, 0
	.set _ZL8moe_q3_KIfLb0EEvPKvS1_PT_PKiS5_S5_iiiiiii.has_indirect_call, 0
	.section	.AMDGPU.csdata,"",@progbits
; Kernel info:
; codeLenInByte = 20332
; TotalNumSgprs: 42
; NumVgprs: 153
; NumAgprs: 0
; TotalNumVgprs: 153
; ScratchSize: 0
; MemoryBound: 0
; FloatMode: 240
; IeeeMode: 1
; LDSByteSize: 31776 bytes/workgroup (compile time only)
; SGPRBlocks: 12
; VGPRBlocks: 19
; NumSGPRsForWavesPerEU: 102
; NumVGPRsForWavesPerEU: 153
; AccumOffset: 156
; Occupancy: 3
; WaveLimiterHint : 1
; COMPUTE_PGM_RSRC2:SCRATCH_EN: 0
; COMPUTE_PGM_RSRC2:USER_SGPR: 2
; COMPUTE_PGM_RSRC2:TRAP_HANDLER: 0
; COMPUTE_PGM_RSRC2:TGID_X_EN: 1
; COMPUTE_PGM_RSRC2:TGID_Y_EN: 1
; COMPUTE_PGM_RSRC2:TGID_Z_EN: 0
; COMPUTE_PGM_RSRC2:TIDIG_COMP_CNT: 1
; COMPUTE_PGM_RSRC3_GFX90A:ACCUM_OFFSET: 38
; COMPUTE_PGM_RSRC3_GFX90A:TG_SPLIT: 0
	.section	.text._ZL8moe_q3_KIfLb1EEvPKvS1_PT_PKiS5_S5_iiiiiii,"axG",@progbits,_ZL8moe_q3_KIfLb1EEvPKvS1_PT_PKiS5_S5_iiiiiii,comdat
	.globl	_ZL8moe_q3_KIfLb1EEvPKvS1_PT_PKiS5_S5_iiiiiii ; -- Begin function _ZL8moe_q3_KIfLb1EEvPKvS1_PT_PKiS5_S5_iiiiiii
	.p2align	8
	.type	_ZL8moe_q3_KIfLb1EEvPKvS1_PT_PKiS5_S5_iiiiiii,@function
_ZL8moe_q3_KIfLb1EEvPKvS1_PT_PKiS5_S5_iiiiiii: ; @_ZL8moe_q3_KIfLb1EEvPKvS1_PT_PKiS5_S5_iiiiiii
; %bb.0:
	s_load_dwordx4 s[4:7], s[0:1], 0x18
	s_mov_b32 s8, s3
	s_mov_b32 s9, 0
	s_lshl_b64 s[10:11], s[8:9], 2
	s_waitcnt lgkmcnt(0)
	s_add_u32 s6, s6, s10
	s_addc_u32 s7, s7, s11
	s_load_dword s3, s[6:7], 0x0
	s_waitcnt lgkmcnt(0)
	s_cmpk_gt_u32 s3, 0xff
	s_cbranch_scc1 .LBB190_46
; %bb.1:
	s_load_dwordx2 s[6:7], s[0:1], 0x28
	s_waitcnt lgkmcnt(0)
	s_load_dword s7, s[6:7], 0x0
	s_lshl_b32 s6, s8, 3
	s_waitcnt lgkmcnt(0)
	s_cmp_gt_u32 s6, s7
	s_cbranch_scc1 .LBB190_46
; %bb.2:
	v_bfe_u32 v3, v0, 10, 10
	v_mov_b32_e32 v4, s4
	v_mov_b32_e32 v5, s5
	v_add_u32_e32 v40, s6, v3
	v_mov_b32_e32 v41, 0
	v_lshl_add_u64 v[4:5], v[40:41], 2, v[4:5]
	global_load_dword v1, v[4:5], off
	s_load_dwordx8 s[4:11], s[0:1], 0x30
	s_load_dwordx2 s[16:17], s[0:1], 0x10
	s_waitcnt lgkmcnt(0)
	s_lshl_b32 s11, s2, 7
	v_mov_b32_e32 v40, v41
	v_mov_b32_e32 v45, v41
	s_cmpk_lt_i32 s5, 0x100
	v_mov_b32_e32 v44, v41
	s_cbranch_scc1 .LBB190_37
; %bb.3:
	s_load_dwordx4 s[12:15], s[0:1], 0x0
	s_ashr_i32 s0, s5, 31
	s_lshr_b32 s0, s0, 24
	s_add_i32 s0, s5, s0
	s_ashr_i32 s20, s0, 8
	s_ashr_i32 s0, s8, 31
	s_lshr_b32 s0, s0, 27
	s_add_i32 s0, s8, s0
	s_mul_i32 s3, s3, s4
	s_ashr_i32 s8, s0, 5
	s_ashr_i32 s0, s3, 31
	s_waitcnt lgkmcnt(0)
	s_add_u32 s1, s12, s3
	s_mul_i32 s2, s20, s11
	s_addc_u32 s0, s13, s0
	s_mul_hi_i32 s3, s2, 0x6e
	s_mulk_i32 s2, 0x6e
	s_add_u32 s21, s1, s2
	s_addc_u32 s22, s0, s3
	s_not_b32 s0, s11
	s_add_i32 s1, s6, s0
	v_and_b32_e32 v11, 0x3ff, v0
	v_min_i32_e32 v5, s1, v3
	v_lshlrev_b32_e32 v2, 2, v11
	s_movk_i32 s0, 0x84
	v_mad_u64_u32 v[14:15], s[2:3], v5, s0, v[2:3]
	v_add_u32_e32 v15, 40, v3
	v_min_i32_e32 v70, s1, v15
	v_add_u32_e32 v15, 48, v3
	v_min_i32_e32 v72, s1, v15
	;; [unrolled: 2-line block ×10, first 2 shown]
	v_add_u32_e32 v15, 0x78, v3
	v_lshlrev_b32_e32 v40, 4, v3
	v_bfe_u32 v41, v0, 1, 9
	v_min_i32_e32 v90, s1, v15
	v_add_u32_e32 v15, v41, v40
	v_and_b32_e32 v15, 0x7f, v15
	v_min_i32_e32 v92, s1, v15
	v_ashrrev_i32_e32 v15, 31, v92
	v_add_u32_e32 v6, 8, v3
	v_add_u32_e32 v7, 16, v3
	;; [unrolled: 1-line block ×4, first 2 shown]
	v_lshrrev_b32_e32 v15, 28, v15
	v_min_i32_e32 v6, s1, v6
	v_min_i32_e32 v7, s1, v7
	;; [unrolled: 1-line block ×4, first 2 shown]
	v_add_u32_e32 v15, v92, v15
	v_mad_u64_u32 v[16:17], s[2:3], v6, s0, v[2:3]
	v_mad_u64_u32 v[18:19], s[2:3], v7, s0, v[2:3]
	v_mad_u64_u32 v[20:21], s[2:3], v8, s0, v[2:3]
	v_mad_u64_u32 v[22:23], s[2:3], v9, s0, v[2:3]
	v_mad_u64_u32 v[24:25], s[2:3], v70, s0, v[2:3]
	v_mad_u64_u32 v[26:27], s[2:3], v72, s0, v[2:3]
	v_mad_u64_u32 v[28:29], s[2:3], v74, s0, v[2:3]
	v_mad_u64_u32 v[30:31], s[2:3], v76, s0, v[2:3]
	v_mad_u64_u32 v[32:33], s[2:3], v78, s0, v[2:3]
	v_mad_u64_u32 v[34:35], s[2:3], v80, s0, v[2:3]
	v_and_b32_e32 v36, 1, v0
	v_ashrrev_i32_e32 v15, 4, v15
	v_bfe_u32 v10, v0, 4, 6
	v_lshlrev_b32_e32 v15, 2, v15
	v_lshlrev_b32_e32 v17, 2, v36
	s_movk_i32 s2, 0x7380
	v_add3_u32 v27, v15, v17, s2
	v_lshl_add_u32 v15, v3, 1, v10
	v_min_i32_e32 v94, s1, v15
	v_lshrrev_b32_e32 v17, 31, v94
	v_and_b32_e32 v4, 15, v0
	v_add_lshl_u32 v17, v94, v17, 1
	v_lshlrev_b32_e32 v12, 2, v4
	v_and_b32_e32 v17, -4, v17
	s_movk_i32 s2, 0x4200
	v_add3_u32 v31, v17, v12, s2
	v_add_u32_e32 v17, 16, v15
	v_min_i32_e32 v96, s1, v17
	v_lshrrev_b32_e32 v17, 31, v96
	v_add_lshl_u32 v17, v96, v17, 1
	v_and_b32_e32 v17, -4, v17
	v_add3_u32 v35, v17, v12, s2
	v_add_u32_e32 v17, 32, v15
	v_min_i32_e32 v98, s1, v17
	v_lshrrev_b32_e32 v17, 31, v98
	v_add_lshl_u32 v17, v98, v17, 1
	v_and_b32_e32 v17, -4, v17
	v_add3_u32 v42, v17, v12, s2
	v_add_u32_e32 v17, 48, v15
	v_min_i32_e32 v100, s1, v17
	v_lshrrev_b32_e32 v17, 31, v100
	v_add_lshl_u32 v17, v100, v17, 1
	v_and_b32_e32 v17, -4, v17
	v_add3_u32 v44, v17, v12, s2
	v_add_u32_e32 v17, 64, v15
	v_min_i32_e32 v102, s1, v17
	v_lshrrev_b32_e32 v17, 31, v102
	v_add_lshl_u32 v17, v102, v17, 1
	v_and_b32_e32 v17, -4, v17
	v_add3_u32 v46, v17, v12, s2
	v_add_u32_e32 v17, 0x50, v15
	v_min_i32_e32 v104, s1, v17
	v_lshrrev_b32_e32 v17, 31, v104
	v_add_lshl_u32 v17, v104, v17, 1
	v_and_b32_e32 v17, -4, v17
	v_add3_u32 v48, v17, v12, s2
	v_add_u32_e32 v17, 0x60, v15
	v_add_u32_e32 v15, 0x70, v15
	v_min_i32_e32 v106, s1, v17
	v_min_i32_e32 v108, s1, v15
	v_lshrrev_b32_e32 v17, 31, v106
	v_lshrrev_b32_e32 v15, 31, v108
	v_add_lshl_u32 v17, v106, v17, 1
	v_add_lshl_u32 v15, v108, v15, 1
	v_and_b32_e32 v17, -4, v17
	v_and_b32_e32 v15, -4, v15
	v_add3_u32 v50, v17, v12, s2
	v_add3_u32 v52, v15, v12, s2
	v_bfe_u32 v15, v0, 3, 7
	v_mov_b32_e32 v17, 0x77a0
	s_abs_i32 s2, s10
	v_lshl_add_u32 v54, v3, 2, v15
	v_lshl_add_u32 v17, v3, 7, v17
	v_cvt_f32_u32_e32 v3, s2
	s_sub_i32 s3, 0, s2
	s_waitcnt vmcnt(0)
	v_sub_u32_e32 v21, 0, v1
	v_max_i32_e32 v21, v1, v21
	v_rcp_iflag_f32_e32 v3, v3
	v_xor_b32_e32 v19, s10, v1
	v_ashrrev_i32_e32 v19, 31, v19
	v_add_u32_e32 v58, 0x60, v11
	v_mul_f32_e32 v3, 0x4f7ffffe, v3
	v_cvt_u32_f32_e32 v3, v3
	v_lshlrev_b32_e32 v25, 5, v11
	v_add_u32_e32 v57, 64, v11
	v_add_u32_e32 v56, 32, v11
	v_mul_lo_u32 v23, s3, v3
	v_mul_hi_u32 v23, v3, v23
	v_add_u32_e32 v3, v3, v23
	v_mul_hi_u32 v3, v21, v3
	v_mul_lo_u32 v23, v3, s2
	v_sub_u32_e32 v21, v21, v23
	v_add_u32_e32 v23, 1, v3
	v_cmp_le_u32_e32 vcc, s2, v21
	v_lshlrev_b32_e32 v29, 3, v92
	v_lshlrev_b32_e32 v33, 6, v94
	v_cndmask_b32_e32 v3, v3, v23, vcc
	v_subrev_u32_e32 v23, s2, v21
	v_cndmask_b32_e32 v21, v21, v23, vcc
	v_add_u32_e32 v23, 1, v3
	v_cmp_le_u32_e32 vcc, s2, v21
	v_add_u32_e32 v27, v27, v29
	v_min_i32_e32 v110, s1, v54
	v_cndmask_b32_e32 v3, v3, v23, vcc
	v_xor_b32_e32 v3, v3, v19
	v_sub_u32_e32 v59, v3, v19
	v_and_b32_e32 v3, 0x1fc, v58
	v_add_u32_e32 v19, v25, v3
	v_and_b32_e32 v3, 0x1fc, v57
	v_add_u32_e32 v21, v25, v3
	;; [unrolled: 2-line block ×4, first 2 shown]
	v_and_b32_e32 v3, 3, v0
	v_add_u16_e32 v29, -2, v3
	v_cmp_gt_u32_e32 vcc, 2, v3
	v_lshlrev_b32_e32 v37, 6, v96
	v_and_b32_e32 v119, 7, v0
	v_cndmask_b32_e32 v55, v29, v3, vcc
	v_add_u32_e32 v29, v31, v33
	v_ashrrev_i32_e32 v33, 31, v110
	v_lshrrev_b32_e32 v33, 30, v33
	v_add_u32_e32 v31, v35, v37
	v_add_u32_e32 v33, v110, v33
	;; [unrolled: 1-line block ×3, first 2 shown]
	v_lshlrev_b32_e32 v38, 2, v119
	v_lshlrev_b32_e32 v43, 6, v98
	v_and_b32_e32 v33, -4, v33
	s_movk_i32 s2, 0x6300
	v_min_i32_e32 v112, s1, v37
	v_add3_u32 v60, v33, v38, s2
	v_add_u32_e32 v33, v42, v43
	v_ashrrev_i32_e32 v43, 31, v112
	v_lshlrev_b32_e32 v45, 6, v100
	v_lshrrev_b32_e32 v43, 30, v43
	v_lshlrev_b32_e32 v47, 6, v102
	v_add_u32_e32 v35, v44, v45
	v_add_u32_e32 v43, v112, v43
	;; [unrolled: 1-line block ×4, first 2 shown]
	v_and_b32_e32 v43, -4, v43
	v_min_i32_e32 v113, s1, v45
	v_add_u32_e32 v46, 0x60, v54
	v_add3_u32 v43, v43, v38, s2
	v_lshlrev_b32_e32 v44, 5, v112
	v_ashrrev_i32_e32 v45, 31, v113
	v_min_i32_e32 v115, s1, v46
	v_lshrrev_b32_e32 v45, 30, v45
	v_add_u32_e32 v69, v43, v44
	v_ashrrev_i32_e32 v43, 31, v115
	v_add_u32_e32 v45, v113, v45
	v_lshrrev_b32_e32 v43, 30, v43
	v_lshlrev_b32_e32 v42, 5, v110
	v_and_b32_e32 v45, -4, v45
	v_add_u32_e32 v43, v115, v43
	v_add3_u32 v45, v45, v38, s2
	v_add_u32_e32 v67, v60, v42
	v_lshlrev_b32_e32 v42, 5, v113
	v_and_b32_e32 v43, -4, v43
	v_add3_u32 v43, v43, v38, s2
	v_add_u32_e32 v71, v45, v42
	v_lshlrev_b32_e32 v42, 5, v115
	v_mov_b32_e32 v13, 0
	v_lshlrev_b32_e32 v49, 6, v104
	v_lshlrev_b32_e32 v51, 6, v106
	v_lshlrev_b32_e32 v53, 6, v108
	v_add_u32_e32 v73, v43, v42
	v_mov_b32_e32 v42, 2
	v_add_u32_e32 v77, 0x7ba0, v40
	v_add_u32_e32 v61, v48, v49
	;; [unrolled: 1-line block ×4, first 2 shown]
	v_lshlrev_b32_sdwa v42, v42, v55 dst_sel:DWORD dst_unused:UNUSED_PAD src0_sel:DWORD src1_sel:BYTE_0
	v_lshlrev_b32_e32 v75, 1, v3
	v_add_u32_e32 v79, v77, v2
	v_mad_u64_u32 v[46:47], s[2:3], v82, s0, v[2:3]
	v_mad_u64_u32 v[48:49], s[2:3], v84, s0, v[2:3]
	;; [unrolled: 1-line block ×5, first 2 shown]
	v_and_b32_e32 v2, 28, v2
	v_mov_b32_e32 v3, v13
	v_and_b32_e32 v40, 31, v0
	v_lshl_add_u32 v47, v40, 2, v17
	v_lshlrev_b32_e32 v40, 4, v56
	v_lshrrev_b32_e32 v44, 1, v56
	v_lshlrev_b32_e32 v45, 1, v56
	v_lshrrev_b32_e32 v60, 4, v56
	v_lshrrev_b32_e32 v49, 3, v56
	v_lshlrev_b32_e32 v62, 4, v57
	v_lshrrev_b32_e32 v64, 1, v57
	v_lshlrev_b32_e32 v66, 1, v57
	v_lshrrev_b32_e32 v68, 4, v57
	v_lshrrev_b32_e32 v51, 3, v57
	v_lshl_add_u64 v[56:57], s[14:15], 0, v[2:3]
	v_mul_u32_u24_e32 v2, 33, v11
	v_lshlrev_b32_e32 v55, 2, v2
	v_lshlrev_b32_e32 v2, 4, v11
	v_cmp_lt_u32_e64 s[2:3], 7, v4
	v_cmp_gt_u32_e32 vcc, 4, v11
	v_lshlrev_b32_e32 v107, 4, v58
	v_lshrrev_b32_e32 v105, 1, v58
	v_lshlrev_b32_e32 v111, 1, v58
	v_lshrrev_b32_e32 v109, 4, v58
	v_lshrrev_b32_e32 v53, 3, v58
	v_cmp_gt_i32_e64 s[0:1], s7, v59
	v_mul_lo_u32 v58, v59, s8
	v_lshlrev_b32_e32 v83, 2, v2
	v_lshlrev_b32_e32 v2, 1, v11
	v_cndmask_b32_e64 v118, 0, 1, s[2:3]
	v_cmp_lt_u32_e64 s[2:3], 3, v119
	s_movk_i32 s4, 0x6e
	s_mov_b32 s6, 0
	v_mov_b32_e32 v39, v13
	s_movk_i32 s23, 0xff
	v_mov_b32_e32 v43, v13
	s_and_b64 s[12:13], vcc, s[0:1]
	v_ashrrev_i32_e32 v59, 31, v58
	s_mov_b32 s24, 0x30303030
	s_movk_i32 s25, 0xe000
	s_movk_i32 s26, 0x3f00
	v_lshlrev_b32_e32 v81, 2, v41
	v_and_b32_e32 v85, 4, v2
	v_lshlrev_b32_e32 v87, 2, v2
	v_lshlrev_b32_e32 v89, 2, v44
	;; [unrolled: 1-line block ×13, first 2 shown]
	v_mov_b32_e32 v44, v13
	v_mov_b32_e32 v45, v13
	v_mov_b32_e32 v40, v13
	v_mov_b32_e32 v41, v13
	v_mul_lo_u32 v60, v5, s20
	v_mul_lo_u32 v62, v6, s20
	;; [unrolled: 1-line block ×29, first 2 shown]
	v_add_u32_e32 v113, 0x6f00, v19
	v_add_u32_e32 v115, 0x6b00, v21
	;; [unrolled: 1-line block ×3, first 2 shown]
	v_cndmask_b32_e64 v120, 0, 1, s[2:3]
	s_branch .LBB190_5
.LBB190_4:                              ;   in Loop: Header=BB190_5 Depth=1
	s_add_i32 s6, s6, 2
	s_cmp_ge_i32 s6, s20
	s_cbranch_scc1 .LBB190_37
.LBB190_5:                              ; =>This Loop Header: Depth=1
                                        ;     Child Loop BB190_11 Depth 2
                                        ;     Child Loop BB190_19 Depth 2
	;; [unrolled: 1-line block ×4, first 2 shown]
	s_mul_i32 s2, s6, 0x6e
	s_mul_hi_u32 s3, s6, 0x6e
	s_add_u32 s2, s21, s2
	s_addc_u32 s3, s22, s3
	v_mov_b64_e32 v[2:3], s[2:3]
	v_mad_u64_u32 v[4:5], s[2:3], v10, s4, v[2:3]
	v_mad_i64_i32 v[6:7], s[2:3], v60, s4, v[4:5]
	v_lshl_add_u64 v[6:7], v[6:7], 0, v[12:13]
	v_mad_i64_i32 v[8:9], s[2:3], v62, s4, v[4:5]
	v_mad_i64_i32 v[122:123], s[2:3], v64, s4, v[4:5]
	v_mad_i64_i32 v[124:125], s[2:3], v66, s4, v[4:5]
	v_mad_i64_i32 v[126:127], s[2:3], v68, s4, v[4:5]
	v_mad_i64_i32 v[128:129], s[2:3], v70, s4, v[4:5]
	v_mad_i64_i32 v[130:131], s[2:3], v72, s4, v[4:5]
	v_mad_i64_i32 v[132:133], s[2:3], v74, s4, v[4:5]
	v_lshl_add_u64 v[8:9], v[8:9], 0, v[12:13]
	v_lshl_add_u64 v[122:123], v[122:123], 0, v[12:13]
	;; [unrolled: 1-line block ×7, first 2 shown]
	global_load_dword v119, v[6:7], off offset:32
	global_load_dword v121, v[8:9], off offset:32
	;; [unrolled: 1-line block ×8, first 2 shown]
	v_mad_i64_i32 v[6:7], s[2:3], v76, s4, v[4:5]
	v_lshl_add_u64 v[6:7], v[6:7], 0, v[12:13]
	v_mad_i64_i32 v[8:9], s[2:3], v78, s4, v[4:5]
	v_mad_i64_i32 v[122:123], s[2:3], v80, s4, v[4:5]
	;; [unrolled: 1-line block ×7, first 2 shown]
	v_lshl_add_u64 v[8:9], v[8:9], 0, v[12:13]
	v_lshl_add_u64 v[122:123], v[122:123], 0, v[12:13]
	v_lshl_add_u64 v[124:125], v[124:125], 0, v[12:13]
	v_lshl_add_u64 v[126:127], v[126:127], 0, v[12:13]
	v_lshl_add_u64 v[128:129], v[128:129], 0, v[12:13]
	v_lshl_add_u64 v[130:131], v[130:131], 0, v[12:13]
	v_lshl_add_u64 v[4:5], v[4:5], 0, v[12:13]
	global_load_dword v140, v[6:7], off offset:32
	global_load_dword v141, v[8:9], off offset:32
	global_load_dword v142, v[122:123], off offset:32
	global_load_dword v143, v[124:125], off offset:32
	global_load_dword v144, v[126:127], off offset:32
	global_load_dword v145, v[128:129], off offset:32
	global_load_dword v146, v[130:131], off offset:32
	global_load_dword v147, v[4:5], off offset:32
	v_mad_u64_u32 v[6:7], s[2:3], v118, s4, v[2:3]
	v_mad_i64_i32 v[4:5], s[2:3], v92, s4, v[2:3]
	v_lshl_add_u64 v[6:7], v[6:7], 0, v[38:39]
	v_mad_u64_u32 v[4:5], s[2:3], v36, s4, v[4:5]
	v_mad_i64_i32 v[126:127], s[2:3], v100, s4, v[6:7]
	v_mad_i64_i32 v[128:129], s[2:3], v102, s4, v[6:7]
	v_mad_u64_u32 v[2:3], s[2:3], v120, s4, v[2:3]
	v_mad_i64_i32 v[8:9], s[2:3], v94, s4, v[6:7]
	v_mad_i64_i32 v[122:123], s[2:3], v96, s4, v[6:7]
	;; [unrolled: 1-line block ×5, first 2 shown]
	global_load_ushort v148, v[4:5], off offset:108
	global_load_dword v149, v[8:9], off
	global_load_dword v150, v[122:123], off
	;; [unrolled: 1-line block ×3, first 2 shown]
	s_nop 0
	global_load_dword v126, v[126:127], off
	s_nop 0
	global_load_dword v127, v[128:129], off
	;; [unrolled: 2-line block ×3, first 2 shown]
	global_load_dword v129, v[132:133], off
	v_mad_i64_i32 v[4:5], s[2:3], v108, s4, v[6:7]
	v_mad_i64_i32 v[6:7], s[2:3], v110, s4, v[2:3]
	v_lshl_add_u64 v[8:9], v[6:7], 0, v[42:43]
	v_mad_i64_i32 v[122:123], s[2:3], v112, s4, v[2:3]
	v_mad_i64_i32 v[124:125], s[2:3], v114, s4, v[2:3]
	;; [unrolled: 1-line block ×3, first 2 shown]
	global_load_dword v130, v[4:5], off
	s_nop 0
	global_load_dword v8, v[8:9], off offset:96
	s_nop 0
	global_load_dword v9, v[2:3], off offset:104
	global_load_dword v131, v[124:125], off offset:104
	;; [unrolled: 1-line block ×3, first 2 shown]
	s_nop 0
	global_load_dword v6, v[6:7], off offset:104
	v_lshl_add_u64 v[4:5], v[122:123], 0, v[42:43]
	global_load_dword v7, v[4:5], off offset:96
	v_lshl_add_u64 v[4:5], v[124:125], 0, v[42:43]
	global_load_dword v4, v[4:5], off offset:96
	s_waitcnt vmcnt(31)
	ds_write_b32 v14, v119
	s_waitcnt vmcnt(30)
	ds_write_b32 v16, v121
	;; [unrolled: 2-line block ×9, first 2 shown]
	v_lshl_add_u64 v[2:3], v[2:3], 0, v[42:43]
	global_load_dword v2, v[2:3], off offset:96
	s_waitcnt vmcnt(23)
	ds_write_b32 v32, v141
	s_waitcnt vmcnt(22)
	ds_write_b32 v34, v142
	;; [unrolled: 2-line block ×4, first 2 shown]
	s_lshl_b32 s27, s6, 8
	s_cmp_lt_i32 s27, s5
	s_waitcnt vmcnt(16)
	v_cvt_f32_f16_e32 v3, v148
	ds_write_b32 v50, v145
	ds_write_b32 v52, v146
	;; [unrolled: 1-line block ×4, first 2 shown]
	s_waitcnt vmcnt(15)
	v_not_b32_e32 v3, v149
	ds_write_b32 v29, v3
	s_waitcnt vmcnt(14)
	v_not_b32_e32 v3, v150
	ds_write_b32 v31, v3
	;; [unrolled: 3-line block ×8, first 2 shown]
	s_waitcnt vmcnt(7)
	v_ashrrev_i32_e32 v3, v85, v8
	s_waitcnt vmcnt(3)
	v_ashrrev_i32_e32 v5, v75, v6
	v_and_b32_e32 v3, 0xf0f0f0f, v3
	v_lshlrev_b32_e32 v5, 4, v5
	v_and_or_b32 v3, v5, s24, v3
	v_lshlrev_b16_e32 v6, 8, v3
	v_add_u16_e32 v6, 0xe000, v6
	v_lshrrev_b32_e32 v5, 16, v3
	v_lshrrev_b16_e32 v6, 8, v6
	v_bitop3_b16 v3, v3, v6, s26 bitop3:0xec
	v_lshlrev_b16_e32 v6, 8, v5
	v_add_u16_e32 v6, 0xe000, v6
	v_lshrrev_b16_e32 v6, 8, v6
	v_bitop3_b16 v5, v5, v6, s26 bitop3:0xec
	v_add_u16_e32 v3, 0xe000, v3
	v_add_u16_sdwa v5, v5, s25 dst_sel:WORD_1 dst_unused:UNUSED_PAD src0_sel:DWORD src1_sel:DWORD
	s_waitcnt vmcnt(0)
	v_ashrrev_i32_e32 v2, v85, v2
	v_or_b32_e32 v3, v3, v5
	ds_write_b32 v67, v3
	v_ashrrev_i32_e32 v3, v85, v7
	v_ashrrev_i32_e32 v5, v75, v132
	v_and_b32_e32 v3, 0xf0f0f0f, v3
	v_lshlrev_b32_e32 v5, 4, v5
	v_and_or_b32 v3, v5, s24, v3
	v_lshlrev_b16_e32 v6, 8, v3
	v_add_u16_e32 v6, 0xe000, v6
	v_lshrrev_b32_e32 v5, 16, v3
	v_lshrrev_b16_e32 v6, 8, v6
	v_bitop3_b16 v3, v3, v6, s26 bitop3:0xec
	v_lshlrev_b16_e32 v6, 8, v5
	v_add_u16_e32 v6, 0xe000, v6
	v_lshrrev_b16_e32 v6, 8, v6
	v_bitop3_b16 v5, v5, v6, s26 bitop3:0xec
	v_add_u16_e32 v3, 0xe000, v3
	v_add_u16_sdwa v5, v5, s25 dst_sel:WORD_1 dst_unused:UNUSED_PAD src0_sel:DWORD src1_sel:DWORD
	v_and_b32_e32 v2, 0xf0f0f0f, v2
	v_or_b32_e32 v3, v3, v5
	ds_write_b32 v69, v3
	v_ashrrev_i32_e32 v3, v85, v4
	v_ashrrev_i32_e32 v4, v75, v131
	v_and_b32_e32 v3, 0xf0f0f0f, v3
	v_lshlrev_b32_e32 v4, 4, v4
	v_and_or_b32 v3, v4, s24, v3
	v_lshlrev_b16_e32 v5, 8, v3
	v_add_u16_e32 v5, 0xe000, v5
	v_lshrrev_b32_e32 v4, 16, v3
	v_lshrrev_b16_e32 v5, 8, v5
	v_bitop3_b16 v3, v3, v5, s26 bitop3:0xec
	v_lshlrev_b16_e32 v5, 8, v4
	v_add_u16_e32 v5, 0xe000, v5
	v_lshrrev_b16_e32 v5, 8, v5
	v_bitop3_b16 v4, v4, v5, s26 bitop3:0xec
	v_add_u16_e32 v3, 0xe000, v3
	v_add_u16_sdwa v4, v4, s25 dst_sel:WORD_1 dst_unused:UNUSED_PAD src0_sel:DWORD src1_sel:DWORD
	s_nop 0
	v_or_b32_e32 v3, v3, v4
	ds_write_b32 v71, v3
	v_ashrrev_i32_e32 v3, v75, v9
	v_lshlrev_b32_e32 v3, 4, v3
	v_and_or_b32 v2, v3, s24, v2
	v_lshlrev_b16_e32 v4, 8, v2
	v_add_u16_e32 v4, 0xe000, v4
	v_lshrrev_b32_e32 v3, 16, v2
	v_lshrrev_b16_e32 v4, 8, v4
	v_bitop3_b16 v2, v2, v4, s26 bitop3:0xec
	v_lshlrev_b16_e32 v4, 8, v3
	v_add_u16_e32 v4, 0xe000, v4
	v_lshrrev_b16_e32 v4, 8, v4
	v_bitop3_b16 v3, v3, v4, s26 bitop3:0xec
	v_add_u16_e32 v2, 0xe000, v2
	v_add_u16_sdwa v3, v3, s25 dst_sel:WORD_1 dst_unused:UNUSED_PAD src0_sel:DWORD src1_sel:DWORD
	s_nop 0
	v_or_b32_e32 v2, v2, v3
	ds_write_b32 v73, v2
	s_cbranch_scc0 .LBB190_4
; %bb.6:                                ;   in Loop: Header=BB190_5 Depth=1
	s_lshl_b32 s28, s6, 3
	v_add_u32_e32 v2, s28, v15
	v_cmp_gt_i32_e64 s[2:3], s8, v2
	s_and_b64 s[18:19], s[0:1], s[2:3]
	s_and_saveexec_b64 s[2:3], s[18:19]
	s_cbranch_execz .LBB190_8
; %bb.7:                                ;   in Loop: Header=BB190_5 Depth=1
	v_add_u32_e32 v2, v58, v2
	v_mad_i64_i32 v[2:3], s[18:19], v2, 36, v[56:57]
	global_load_dword v2, v[2:3], off offset:4
	s_waitcnt vmcnt(0)
	ds_write_b32 v47, v2
.LBB190_8:                              ;   in Loop: Header=BB190_5 Depth=1
	s_or_b64 exec, exec, s[2:3]
	v_add_u32_e32 v122, s28, v11
	v_cmp_gt_i32_e64 s[2:3], s8, v122
	s_and_b64 s[18:19], s[12:13], s[2:3]
	s_and_saveexec_b64 s[2:3], s[18:19]
	s_cbranch_execz .LBB190_10
; %bb.9:                                ;   in Loop: Header=BB190_5 Depth=1
	v_add_u32_e32 v2, v58, v122
	v_mad_i64_i32 v[2:3], s[18:19], v2, 36, s[14:15]
	global_load_dword v2, v[2:3], off
	s_waitcnt vmcnt(0)
	v_cvt_f32_f16_e32 v2, v2
	ds_write_b32 v79, v2
.LBB190_10:                             ;   in Loop: Header=BB190_5 Depth=1
	s_or_b64 exec, exec, s[2:3]
	s_mov_b32 s19, -2
	s_mov_b32 s2, 0
	v_mov_b32_e32 v121, v77
	v_mov_b32_e32 v123, v17
	s_mov_b32 s3, 0
	s_waitcnt lgkmcnt(0)
	s_barrier
.LBB190_11:                             ;   Parent Loop BB190_5 Depth=1
                                        ; =>  This Inner Loop Header: Depth=2
	s_add_i32 s18, s19, 2
	s_lshr_b32 s31, s18, 4
	s_and_b32 s30, s18, 0x3ffffff8
	v_lshl_add_u32 v125, s30, 2, v55
	s_lshl_b32 s30, s31, 5
	s_addk_i32 s30, 0x4200
	v_add3_u32 v130, s30, v81, v83
	ds_read_b32 v124, v121
	ds_read_b128 v[6:9], v123
	ds_read_b128 v[2:5], v123 offset:16
	ds_read2_b32 v[126:127], v125 offset1:1
	ds_read2_b32 v[128:129], v130 offset1:1
	s_and_b32 s29, s3, -16
	s_add_i32 s29, s19, s29
	s_lshl_b32 s19, s31, 2
	s_waitcnt lgkmcnt(1)
	v_ashrrev_i32_e32 v119, s18, v126
	s_waitcnt lgkmcnt(0)
	v_ashrrev_i32_e32 v128, s2, v128
	v_lshlrev_b32_e32 v128, 2, v128
	v_bfe_u32 v126, v119, 24, 2
	v_and_b32_e32 v119, 0x3030303, v119
	v_and_b32_e32 v128, 0x4040404, v128
	v_sub_u16_e32 v131, v119, v128
	v_sub_u16_sdwa v132, v119, v128 dst_sel:BYTE_1 dst_unused:UNUSED_PAD src0_sel:BYTE_1 src1_sel:BYTE_1
	v_sub_u16_sdwa v119, v119, v128 dst_sel:DWORD dst_unused:UNUSED_PAD src0_sel:WORD_1 src1_sel:WORD_1
	v_sub_u16_sdwa v126, v126, v128 dst_sel:BYTE_1 dst_unused:UNUSED_PAD src0_sel:DWORD src1_sel:BYTE_3
	v_bitop3_b16 v131, v131, v132, s23 bitop3:0xec
	v_bitop3_b16 v119, v119, v126, s23 bitop3:0xec
	v_lshlrev_b32_e32 v119, 16, v119
	v_or_b32_sdwa v131, v131, v119 dst_sel:DWORD dst_unused:UNUSED_PAD src0_sel:WORD_0 src1_sel:DWORD
	v_ashrrev_i32_e32 v119, s18, v127
	v_ashrrev_i32_e32 v127, s2, v129
	v_lshlrev_b32_e32 v127, 2, v127
	v_bfe_u32 v126, v119, 24, 2
	v_and_b32_e32 v119, 0x3030303, v119
	v_and_b32_e32 v127, 0x4040404, v127
	v_sub_u16_e32 v128, v119, v127
	v_sub_u16_sdwa v129, v119, v127 dst_sel:BYTE_1 dst_unused:UNUSED_PAD src0_sel:BYTE_1 src1_sel:BYTE_1
	v_sub_u16_sdwa v119, v119, v127 dst_sel:DWORD dst_unused:UNUSED_PAD src0_sel:WORD_1 src1_sel:WORD_1
	v_sub_u16_sdwa v126, v126, v127 dst_sel:BYTE_1 dst_unused:UNUSED_PAD src0_sel:DWORD src1_sel:BYTE_3
	v_bitop3_b16 v128, v128, v129, s23 bitop3:0xec
	v_bitop3_b16 v119, v119, v126, s23 bitop3:0xec
	v_lshlrev_b32_e32 v119, 16, v119
	v_or_b32_sdwa v132, v128, v119 dst_sel:DWORD dst_unused:UNUSED_PAD src0_sel:WORD_0 src1_sel:DWORD
	ds_read2_b32 v[126:127], v125 offset0:2 offset1:3
	ds_read2_b32 v[128:129], v130 offset0:2 offset1:3
	s_addk_i32 s19, 0x7380
	s_add_i32 s3, s3, 2
	v_add_u32_e32 v123, 32, v123
	s_waitcnt lgkmcnt(1)
	v_ashrrev_i32_e32 v119, s18, v126
	s_waitcnt lgkmcnt(0)
	v_ashrrev_i32_e32 v128, s2, v128
	v_lshlrev_b32_e32 v128, 2, v128
	v_bfe_u32 v126, v119, 24, 2
	v_and_b32_e32 v119, 0x3030303, v119
	v_and_b32_e32 v128, 0x4040404, v128
	v_sub_u16_e32 v133, v119, v128
	v_sub_u16_sdwa v134, v119, v128 dst_sel:BYTE_1 dst_unused:UNUSED_PAD src0_sel:BYTE_1 src1_sel:BYTE_1
	v_sub_u16_sdwa v119, v119, v128 dst_sel:DWORD dst_unused:UNUSED_PAD src0_sel:WORD_1 src1_sel:WORD_1
	v_sub_u16_sdwa v126, v126, v128 dst_sel:BYTE_1 dst_unused:UNUSED_PAD src0_sel:DWORD src1_sel:BYTE_3
	v_bitop3_b16 v133, v133, v134, s23 bitop3:0xec
	v_bitop3_b16 v119, v119, v126, s23 bitop3:0xec
	v_lshlrev_b32_e32 v119, 16, v119
	v_or_b32_sdwa v133, v133, v119 dst_sel:DWORD dst_unused:UNUSED_PAD src0_sel:WORD_0 src1_sel:DWORD
	v_ashrrev_i32_e32 v119, s18, v127
	v_ashrrev_i32_e32 v127, s2, v129
	v_lshlrev_b32_e32 v127, 2, v127
	v_bfe_u32 v126, v119, 24, 2
	v_and_b32_e32 v119, 0x3030303, v119
	v_and_b32_e32 v127, 0x4040404, v127
	v_sub_u16_e32 v128, v119, v127
	v_sub_u16_sdwa v129, v119, v127 dst_sel:BYTE_1 dst_unused:UNUSED_PAD src0_sel:BYTE_1 src1_sel:BYTE_1
	v_sub_u16_sdwa v119, v119, v127 dst_sel:DWORD dst_unused:UNUSED_PAD src0_sel:WORD_1 src1_sel:WORD_1
	v_sub_u16_sdwa v126, v126, v127 dst_sel:BYTE_1 dst_unused:UNUSED_PAD src0_sel:DWORD src1_sel:BYTE_3
	v_bitop3_b16 v128, v128, v129, s23 bitop3:0xec
	v_bitop3_b16 v119, v119, v126, s23 bitop3:0xec
	v_lshlrev_b32_e32 v119, 16, v119
	v_or_b32_sdwa v134, v128, v119 dst_sel:DWORD dst_unused:UNUSED_PAD src0_sel:WORD_0 src1_sel:DWORD
	ds_read2_b32 v[126:127], v125 offset0:4 offset1:5
	ds_read2_b32 v[128:129], v130 offset0:4 offset1:5
	v_add_u32_e32 v121, 4, v121
	s_waitcnt lgkmcnt(1)
	v_ashrrev_i32_e32 v119, s18, v126
	s_waitcnt lgkmcnt(0)
	v_ashrrev_i32_e32 v128, s2, v128
	v_lshlrev_b32_e32 v128, 2, v128
	v_bfe_u32 v126, v119, 24, 2
	v_and_b32_e32 v119, 0x3030303, v119
	v_and_b32_e32 v128, 0x4040404, v128
	v_sub_u16_e32 v135, v119, v128
	v_sub_u16_sdwa v136, v119, v128 dst_sel:BYTE_1 dst_unused:UNUSED_PAD src0_sel:BYTE_1 src1_sel:BYTE_1
	v_sub_u16_sdwa v119, v119, v128 dst_sel:DWORD dst_unused:UNUSED_PAD src0_sel:WORD_1 src1_sel:WORD_1
	v_sub_u16_sdwa v126, v126, v128 dst_sel:BYTE_1 dst_unused:UNUSED_PAD src0_sel:DWORD src1_sel:BYTE_3
	v_bitop3_b16 v135, v135, v136, s23 bitop3:0xec
	v_bitop3_b16 v119, v119, v126, s23 bitop3:0xec
	v_lshlrev_b32_e32 v119, 16, v119
	v_or_b32_sdwa v135, v135, v119 dst_sel:DWORD dst_unused:UNUSED_PAD src0_sel:WORD_0 src1_sel:DWORD
	v_ashrrev_i32_e32 v119, s18, v127
	v_ashrrev_i32_e32 v127, s2, v129
	v_lshlrev_b32_e32 v127, 2, v127
	v_bfe_u32 v126, v119, 24, 2
	v_and_b32_e32 v119, 0x3030303, v119
	v_and_b32_e32 v127, 0x4040404, v127
	v_sub_u16_e32 v128, v119, v127
	v_sub_u16_sdwa v129, v119, v127 dst_sel:BYTE_1 dst_unused:UNUSED_PAD src0_sel:BYTE_1 src1_sel:BYTE_1
	v_sub_u16_sdwa v119, v119, v127 dst_sel:DWORD dst_unused:UNUSED_PAD src0_sel:WORD_1 src1_sel:WORD_1
	v_sub_u16_sdwa v126, v126, v127 dst_sel:BYTE_1 dst_unused:UNUSED_PAD src0_sel:DWORD src1_sel:BYTE_3
	v_bitop3_b16 v128, v128, v129, s23 bitop3:0xec
	v_bitop3_b16 v119, v119, v126, s23 bitop3:0xec
	v_lshlrev_b32_e32 v119, 16, v119
	v_or_b32_sdwa v136, v128, v119 dst_sel:DWORD dst_unused:UNUSED_PAD src0_sel:WORD_0 src1_sel:DWORD
	ds_read2_b32 v[126:127], v125 offset0:6 offset1:7
	ds_read2_b32 v[128:129], v130 offset0:6 offset1:7
	s_waitcnt lgkmcnt(1)
	v_ashrrev_i32_e32 v119, s18, v126
	s_waitcnt lgkmcnt(0)
	v_ashrrev_i32_e32 v128, s2, v128
	v_lshlrev_b32_e32 v128, 2, v128
	v_bfe_u32 v126, v119, 24, 2
	v_and_b32_e32 v119, 0x3030303, v119
	v_and_b32_e32 v128, 0x4040404, v128
	v_sub_u16_e32 v130, v119, v128
	v_sub_u16_sdwa v137, v119, v128 dst_sel:BYTE_1 dst_unused:UNUSED_PAD src0_sel:BYTE_1 src1_sel:BYTE_1
	v_sub_u16_sdwa v119, v119, v128 dst_sel:DWORD dst_unused:UNUSED_PAD src0_sel:WORD_1 src1_sel:WORD_1
	v_sub_u16_sdwa v126, v126, v128 dst_sel:BYTE_1 dst_unused:UNUSED_PAD src0_sel:DWORD src1_sel:BYTE_3
	v_bitop3_b16 v130, v130, v137, s23 bitop3:0xec
	v_bitop3_b16 v119, v119, v126, s23 bitop3:0xec
	v_lshlrev_b32_e32 v119, 16, v119
	v_or_b32_sdwa v128, v130, v119 dst_sel:DWORD dst_unused:UNUSED_PAD src0_sel:WORD_0 src1_sel:DWORD
	v_ashrrev_i32_e32 v119, s18, v127
	v_ashrrev_i32_e32 v127, s2, v129
	v_lshlrev_b32_e32 v127, 2, v127
	v_bfe_u32 v126, v119, 24, 2
	v_and_b32_e32 v119, 0x3030303, v119
	v_and_b32_e32 v127, 0x4040404, v127
	v_sub_u16_e32 v129, v119, v127
	v_sub_u16_sdwa v130, v119, v127 dst_sel:BYTE_1 dst_unused:UNUSED_PAD src0_sel:BYTE_1 src1_sel:BYTE_1
	v_sub_u16_sdwa v119, v119, v127 dst_sel:DWORD dst_unused:UNUSED_PAD src0_sel:WORD_1 src1_sel:WORD_1
	v_bitop3_b16 v129, v129, v130, s23 bitop3:0xec
	v_mov_b32_e32 v130, 0
	v_dot4c_i32_i8_e32 v130, v131, v6
	v_dot4c_i32_i8_e32 v130, v132, v7
	;; [unrolled: 1-line block ×3, first 2 shown]
	v_sub_u16_sdwa v126, v126, v127 dst_sel:BYTE_1 dst_unused:UNUSED_PAD src0_sel:DWORD src1_sel:BYTE_3
	v_dot4c_i32_i8_e32 v130, v134, v9
	v_mov_b32_e32 v134, 0
	v_bitop3_b16 v119, v119, v126, s23 bitop3:0xec
	v_dot4c_i32_i8_e32 v134, v135, v2
	v_lshlrev_b32_e32 v119, 16, v119
	v_dot4c_i32_i8_e32 v134, v136, v3
	v_or_b32_sdwa v127, v129, v119 dst_sel:DWORD dst_unused:UNUSED_PAD src0_sel:WORD_0 src1_sel:DWORD
	v_add_u32_e32 v129, s29, v117
	v_dot4c_i32_i8_e32 v134, v128, v4
	v_dot4c_i32_i8_e32 v134, v127, v5
	ds_read_u16 v127, v129 offset:2
	v_lshlrev_b32_e32 v119, 2, v10
	v_add3_u32 v126, s19, v119, v87
	v_add3_u32 v135, s30, v89, v91
	ds_read_b32 v126, v126
	ds_read2_b32 v[132:133], v135 offset1:1
	s_waitcnt lgkmcnt(2)
	v_lshrrev_b16_e32 v128, 8, v127
	v_bfe_i32 v127, v127, 0, 8
	v_bfe_i32 v129, v128, 0, 8
	v_mul_lo_u32 v128, v130, v127
	v_add_u32_e32 v127, 0x1080, v125
	ds_read2_b32 v[130:131], v127 offset1:1
	s_waitcnt lgkmcnt(1)
	v_ashrrev_i32_e32 v132, s2, v132
	v_lshlrev_b32_e32 v132, 2, v132
	v_and_b32_e32 v132, 0x4040404, v132
	v_mad_u64_u32 v[128:129], s[34:35], v134, v129, v[128:129]
	s_waitcnt lgkmcnt(0)
	v_ashrrev_i32_e32 v127, s18, v130
	v_bfe_u32 v130, v127, 24, 2
	v_and_b32_e32 v127, 0x3030303, v127
	v_sub_u16_e32 v136, v127, v132
	v_sub_u16_sdwa v137, v127, v132 dst_sel:BYTE_1 dst_unused:UNUSED_PAD src0_sel:BYTE_1 src1_sel:BYTE_1
	v_sub_u16_sdwa v127, v127, v132 dst_sel:DWORD dst_unused:UNUSED_PAD src0_sel:WORD_1 src1_sel:WORD_1
	v_sub_u16_sdwa v130, v130, v132 dst_sel:BYTE_1 dst_unused:UNUSED_PAD src0_sel:DWORD src1_sel:BYTE_3
	v_bitop3_b16 v136, v136, v137, s23 bitop3:0xec
	v_bitop3_b16 v127, v127, v130, s23 bitop3:0xec
	v_lshlrev_b32_e32 v127, 16, v127
	v_or_b32_sdwa v136, v136, v127 dst_sel:DWORD dst_unused:UNUSED_PAD src0_sel:WORD_0 src1_sel:DWORD
	v_ashrrev_i32_e32 v127, s18, v131
	v_ashrrev_i32_e32 v131, s2, v133
	v_lshlrev_b32_e32 v131, 2, v131
	v_bfe_u32 v130, v127, 24, 2
	v_and_b32_e32 v127, 0x3030303, v127
	v_and_b32_e32 v131, 0x4040404, v131
	v_sub_u16_e32 v132, v127, v131
	v_sub_u16_sdwa v133, v127, v131 dst_sel:BYTE_1 dst_unused:UNUSED_PAD src0_sel:BYTE_1 src1_sel:BYTE_1
	v_sub_u16_sdwa v127, v127, v131 dst_sel:DWORD dst_unused:UNUSED_PAD src0_sel:WORD_1 src1_sel:WORD_1
	v_sub_u16_sdwa v130, v130, v131 dst_sel:BYTE_1 dst_unused:UNUSED_PAD src0_sel:DWORD src1_sel:BYTE_3
	v_bitop3_b16 v132, v132, v133, s23 bitop3:0xec
	v_bitop3_b16 v127, v127, v130, s23 bitop3:0xec
	v_lshlrev_b32_e32 v127, 16, v127
	v_or_b32_sdwa v137, v132, v127 dst_sel:DWORD dst_unused:UNUSED_PAD src0_sel:WORD_0 src1_sel:DWORD
	v_add_u32_e32 v127, 0x1088, v125
	ds_read2_b32 v[130:131], v127 offset1:1
	ds_read2_b32 v[132:133], v135 offset0:2 offset1:3
	v_cvt_f32_i32_e32 v128, v128
	s_waitcnt lgkmcnt(1)
	v_ashrrev_i32_e32 v127, s18, v130
	s_waitcnt lgkmcnt(0)
	v_ashrrev_i32_e32 v132, s2, v132
	v_lshlrev_b32_e32 v132, 2, v132
	v_bfe_u32 v130, v127, 24, 2
	v_and_b32_e32 v127, 0x3030303, v127
	v_and_b32_e32 v132, 0x4040404, v132
	v_sub_u16_e32 v138, v127, v132
	v_sub_u16_sdwa v139, v127, v132 dst_sel:BYTE_1 dst_unused:UNUSED_PAD src0_sel:BYTE_1 src1_sel:BYTE_1
	v_sub_u16_sdwa v127, v127, v132 dst_sel:DWORD dst_unused:UNUSED_PAD src0_sel:WORD_1 src1_sel:WORD_1
	v_sub_u16_sdwa v130, v130, v132 dst_sel:BYTE_1 dst_unused:UNUSED_PAD src0_sel:DWORD src1_sel:BYTE_3
	v_bitop3_b16 v138, v138, v139, s23 bitop3:0xec
	v_bitop3_b16 v127, v127, v130, s23 bitop3:0xec
	v_lshlrev_b32_e32 v127, 16, v127
	v_or_b32_sdwa v138, v138, v127 dst_sel:DWORD dst_unused:UNUSED_PAD src0_sel:WORD_0 src1_sel:DWORD
	v_ashrrev_i32_e32 v127, s18, v131
	v_ashrrev_i32_e32 v131, s2, v133
	v_lshlrev_b32_e32 v131, 2, v131
	v_bfe_u32 v130, v127, 24, 2
	v_and_b32_e32 v127, 0x3030303, v127
	v_and_b32_e32 v131, 0x4040404, v131
	v_sub_u16_e32 v132, v127, v131
	v_sub_u16_sdwa v133, v127, v131 dst_sel:BYTE_1 dst_unused:UNUSED_PAD src0_sel:BYTE_1 src1_sel:BYTE_1
	v_sub_u16_sdwa v127, v127, v131 dst_sel:DWORD dst_unused:UNUSED_PAD src0_sel:WORD_1 src1_sel:WORD_1
	v_sub_u16_sdwa v130, v130, v131 dst_sel:BYTE_1 dst_unused:UNUSED_PAD src0_sel:DWORD src1_sel:BYTE_3
	v_bitop3_b16 v132, v132, v133, s23 bitop3:0xec
	v_bitop3_b16 v127, v127, v130, s23 bitop3:0xec
	v_lshlrev_b32_e32 v127, 16, v127
	v_or_b32_sdwa v139, v132, v127 dst_sel:DWORD dst_unused:UNUSED_PAD src0_sel:WORD_0 src1_sel:DWORD
	v_add_u32_e32 v127, 0x1090, v125
	ds_read2_b32 v[130:131], v127 offset1:1
	ds_read2_b32 v[132:133], v135 offset0:4 offset1:5
	s_waitcnt lgkmcnt(1)
	v_ashrrev_i32_e32 v127, s18, v130
	s_waitcnt lgkmcnt(0)
	v_ashrrev_i32_e32 v132, s2, v132
	v_lshlrev_b32_e32 v132, 2, v132
	v_bfe_u32 v130, v127, 24, 2
	v_and_b32_e32 v127, 0x3030303, v127
	v_and_b32_e32 v132, 0x4040404, v132
	v_sub_u16_e32 v140, v127, v132
	v_sub_u16_sdwa v141, v127, v132 dst_sel:BYTE_1 dst_unused:UNUSED_PAD src0_sel:BYTE_1 src1_sel:BYTE_1
	v_sub_u16_sdwa v127, v127, v132 dst_sel:DWORD dst_unused:UNUSED_PAD src0_sel:WORD_1 src1_sel:WORD_1
	v_sub_u16_sdwa v130, v130, v132 dst_sel:BYTE_1 dst_unused:UNUSED_PAD src0_sel:DWORD src1_sel:BYTE_3
	v_bitop3_b16 v140, v140, v141, s23 bitop3:0xec
	v_bitop3_b16 v127, v127, v130, s23 bitop3:0xec
	v_lshlrev_b32_e32 v127, 16, v127
	v_or_b32_sdwa v140, v140, v127 dst_sel:DWORD dst_unused:UNUSED_PAD src0_sel:WORD_0 src1_sel:DWORD
	v_ashrrev_i32_e32 v127, s18, v131
	v_ashrrev_i32_e32 v131, s2, v133
	v_lshlrev_b32_e32 v131, 2, v131
	v_bfe_u32 v130, v127, 24, 2
	v_and_b32_e32 v127, 0x3030303, v127
	v_and_b32_e32 v131, 0x4040404, v131
	v_sub_u16_e32 v132, v127, v131
	v_sub_u16_sdwa v133, v127, v131 dst_sel:BYTE_1 dst_unused:UNUSED_PAD src0_sel:BYTE_1 src1_sel:BYTE_1
	v_sub_u16_sdwa v127, v127, v131 dst_sel:DWORD dst_unused:UNUSED_PAD src0_sel:WORD_1 src1_sel:WORD_1
	v_sub_u16_sdwa v130, v130, v131 dst_sel:BYTE_1 dst_unused:UNUSED_PAD src0_sel:DWORD src1_sel:BYTE_3
	v_bitop3_b16 v132, v132, v133, s23 bitop3:0xec
	v_bitop3_b16 v127, v127, v130, s23 bitop3:0xec
	v_lshlrev_b32_e32 v127, 16, v127
	v_or_b32_sdwa v141, v132, v127 dst_sel:DWORD dst_unused:UNUSED_PAD src0_sel:WORD_0 src1_sel:DWORD
	v_add_u32_e32 v127, 0x1098, v125
	ds_read2_b32 v[130:131], v127 offset1:1
	ds_read2_b32 v[132:133], v135 offset0:6 offset1:7
	s_waitcnt lgkmcnt(1)
	v_ashrrev_i32_e32 v127, s18, v130
	s_waitcnt lgkmcnt(0)
	v_ashrrev_i32_e32 v132, s2, v132
	v_lshlrev_b32_e32 v132, 2, v132
	v_bfe_u32 v130, v127, 24, 2
	v_and_b32_e32 v127, 0x3030303, v127
	v_and_b32_e32 v132, 0x4040404, v132
	v_sub_u16_e32 v135, v127, v132
	v_sub_u16_sdwa v142, v127, v132 dst_sel:BYTE_1 dst_unused:UNUSED_PAD src0_sel:BYTE_1 src1_sel:BYTE_1
	v_sub_u16_sdwa v127, v127, v132 dst_sel:DWORD dst_unused:UNUSED_PAD src0_sel:WORD_1 src1_sel:WORD_1
	v_sub_u16_sdwa v130, v130, v132 dst_sel:BYTE_1 dst_unused:UNUSED_PAD src0_sel:DWORD src1_sel:BYTE_3
	v_bitop3_b16 v135, v135, v142, s23 bitop3:0xec
	v_bitop3_b16 v127, v127, v130, s23 bitop3:0xec
	v_lshlrev_b32_e32 v127, 16, v127
	v_or_b32_sdwa v132, v135, v127 dst_sel:DWORD dst_unused:UNUSED_PAD src0_sel:WORD_0 src1_sel:DWORD
	v_ashrrev_i32_e32 v127, s18, v131
	v_ashrrev_i32_e32 v131, s2, v133
	v_lshlrev_b32_e32 v131, 2, v131
	v_bfe_u32 v130, v127, 24, 2
	v_and_b32_e32 v127, 0x3030303, v127
	v_and_b32_e32 v131, 0x4040404, v131
	v_sub_u16_e32 v133, v127, v131
	v_sub_u16_sdwa v135, v127, v131 dst_sel:BYTE_1 dst_unused:UNUSED_PAD src0_sel:BYTE_1 src1_sel:BYTE_1
	v_sub_u16_sdwa v127, v127, v131 dst_sel:DWORD dst_unused:UNUSED_PAD src0_sel:WORD_1 src1_sel:WORD_1
	v_sub_u16_sdwa v130, v130, v131 dst_sel:BYTE_1 dst_unused:UNUSED_PAD src0_sel:DWORD src1_sel:BYTE_3
	v_bitop3_b16 v133, v133, v135, s23 bitop3:0xec
	v_bitop3_b16 v127, v127, v130, s23 bitop3:0xec
	v_lshlrev_b32_e32 v127, 16, v127
	v_or_b32_sdwa v131, v133, v127 dst_sel:DWORD dst_unused:UNUSED_PAD src0_sel:WORD_0 src1_sel:DWORD
	v_add_u32_e32 v130, s29, v23
	v_add3_u32 v127, s19, v93, v95
	ds_read_b32 v127, v127
	ds_read_u16 v130, v130 offset:26370
	v_mov_b32_e32 v133, 0
	v_dot4c_i32_i8_e32 v133, v136, v6
	v_dot4c_i32_i8_e32 v133, v137, v7
	;; [unrolled: 1-line block ×4, first 2 shown]
	s_waitcnt lgkmcnt(0)
	v_lshrrev_b16_e32 v135, 8, v130
	v_bfe_i32 v130, v130, 0, 8
	v_pk_mul_f32 v[126:127], v[124:125], v[126:127] op_sel_hi:[0,1]
	v_mul_lo_u32 v130, v133, v130
	v_mov_b32_e32 v133, 0
	v_dot4c_i32_i8_e32 v133, v140, v2
	v_dot4c_i32_i8_e32 v133, v141, v3
	v_dot4c_i32_i8_e32 v133, v132, v4
	v_dot4c_i32_i8_e32 v133, v131, v5
	v_bfe_i32 v131, v135, 0, 8
	v_add3_u32 v136, s30, v97, v99
	v_add3_u32 v140, s30, v105, v107
	v_mad_u64_u32 v[130:131], s[34:35], v133, v131, v[130:131]
	v_cvt_f32_i32_e32 v129, v130
	ds_read2_b32 v[130:131], v136 offset1:1
	v_pk_fma_f32 v[44:45], v[126:127], v[128:129], v[44:45]
	v_add_u32_e32 v126, 0x2100, v125
	ds_read2_b32 v[128:129], v126 offset1:1
	s_waitcnt lgkmcnt(0)
	v_ashrrev_i32_e32 v126, s18, v128
	v_ashrrev_i32_e32 v128, s2, v130
	v_lshlrev_b32_e32 v128, 2, v128
	v_bfe_u32 v127, v126, 24, 2
	v_and_b32_e32 v126, 0x3030303, v126
	v_and_b32_e32 v128, 0x4040404, v128
	v_sub_u16_e32 v130, v126, v128
	v_sub_u16_sdwa v132, v126, v128 dst_sel:BYTE_1 dst_unused:UNUSED_PAD src0_sel:BYTE_1 src1_sel:BYTE_1
	v_sub_u16_sdwa v126, v126, v128 dst_sel:DWORD dst_unused:UNUSED_PAD src0_sel:WORD_1 src1_sel:WORD_1
	v_sub_u16_sdwa v127, v127, v128 dst_sel:BYTE_1 dst_unused:UNUSED_PAD src0_sel:DWORD src1_sel:BYTE_3
	v_bitop3_b16 v130, v130, v132, s23 bitop3:0xec
	v_bitop3_b16 v126, v126, v127, s23 bitop3:0xec
	v_lshlrev_b32_e32 v126, 16, v126
	v_or_b32_sdwa v127, v130, v126 dst_sel:DWORD dst_unused:UNUSED_PAD src0_sel:WORD_0 src1_sel:DWORD
	v_ashrrev_i32_e32 v126, s18, v129
	v_ashrrev_i32_e32 v129, s2, v131
	v_lshlrev_b32_e32 v129, 2, v129
	v_bfe_u32 v128, v126, 24, 2
	v_and_b32_e32 v126, 0x3030303, v126
	v_and_b32_e32 v129, 0x4040404, v129
	v_sub_u16_e32 v130, v126, v129
	v_sub_u16_sdwa v131, v126, v129 dst_sel:BYTE_1 dst_unused:UNUSED_PAD src0_sel:BYTE_1 src1_sel:BYTE_1
	v_sub_u16_sdwa v126, v126, v129 dst_sel:DWORD dst_unused:UNUSED_PAD src0_sel:WORD_1 src1_sel:WORD_1
	v_sub_u16_sdwa v128, v128, v129 dst_sel:BYTE_1 dst_unused:UNUSED_PAD src0_sel:DWORD src1_sel:BYTE_3
	v_bitop3_b16 v130, v130, v131, s23 bitop3:0xec
	v_bitop3_b16 v126, v126, v128, s23 bitop3:0xec
	v_lshlrev_b32_e32 v126, 16, v126
	v_or_b32_sdwa v128, v130, v126 dst_sel:DWORD dst_unused:UNUSED_PAD src0_sel:WORD_0 src1_sel:DWORD
	v_add_u32_e32 v126, 0x2108, v125
	ds_read2_b32 v[130:131], v126 offset1:1
	ds_read2_b32 v[132:133], v136 offset0:2 offset1:3
	s_waitcnt lgkmcnt(1)
	v_ashrrev_i32_e32 v126, s18, v130
	s_waitcnt lgkmcnt(0)
	v_ashrrev_i32_e32 v130, s2, v132
	v_lshlrev_b32_e32 v130, 2, v130
	v_bfe_u32 v129, v126, 24, 2
	v_and_b32_e32 v126, 0x3030303, v126
	v_and_b32_e32 v130, 0x4040404, v130
	v_sub_u16_e32 v132, v126, v130
	v_sub_u16_sdwa v134, v126, v130 dst_sel:BYTE_1 dst_unused:UNUSED_PAD src0_sel:BYTE_1 src1_sel:BYTE_1
	v_sub_u16_sdwa v126, v126, v130 dst_sel:DWORD dst_unused:UNUSED_PAD src0_sel:WORD_1 src1_sel:WORD_1
	v_sub_u16_sdwa v129, v129, v130 dst_sel:BYTE_1 dst_unused:UNUSED_PAD src0_sel:DWORD src1_sel:BYTE_3
	v_bitop3_b16 v132, v132, v134, s23 bitop3:0xec
	v_bitop3_b16 v126, v126, v129, s23 bitop3:0xec
	v_lshlrev_b32_e32 v126, 16, v126
	v_or_b32_sdwa v129, v132, v126 dst_sel:DWORD dst_unused:UNUSED_PAD src0_sel:WORD_0 src1_sel:DWORD
	v_ashrrev_i32_e32 v126, s18, v131
	v_ashrrev_i32_e32 v131, s2, v133
	v_lshlrev_b32_e32 v131, 2, v131
	v_bfe_u32 v130, v126, 24, 2
	v_and_b32_e32 v126, 0x3030303, v126
	v_and_b32_e32 v131, 0x4040404, v131
	v_sub_u16_e32 v132, v126, v131
	v_sub_u16_sdwa v133, v126, v131 dst_sel:BYTE_1 dst_unused:UNUSED_PAD src0_sel:BYTE_1 src1_sel:BYTE_1
	v_sub_u16_sdwa v126, v126, v131 dst_sel:DWORD dst_unused:UNUSED_PAD src0_sel:WORD_1 src1_sel:WORD_1
	v_sub_u16_sdwa v130, v130, v131 dst_sel:BYTE_1 dst_unused:UNUSED_PAD src0_sel:DWORD src1_sel:BYTE_3
	v_bitop3_b16 v132, v132, v133, s23 bitop3:0xec
	v_bitop3_b16 v126, v126, v130, s23 bitop3:0xec
	v_lshlrev_b32_e32 v126, 16, v126
	v_or_b32_sdwa v130, v132, v126 dst_sel:DWORD dst_unused:UNUSED_PAD src0_sel:WORD_0 src1_sel:DWORD
	v_add_u32_e32 v126, 0x2110, v125
	ds_read2_b32 v[132:133], v126 offset1:1
	ds_read2_b32 v[134:135], v136 offset0:4 offset1:5
	s_waitcnt lgkmcnt(1)
	v_ashrrev_i32_e32 v126, s18, v132
	s_waitcnt lgkmcnt(0)
	;; [unrolled: 33-line block ×3, first 2 shown]
	v_ashrrev_i32_e32 v134, s2, v134
	v_lshlrev_b32_e32 v134, 2, v134
	v_bfe_u32 v132, v126, 24, 2
	v_and_b32_e32 v126, 0x3030303, v126
	v_and_b32_e32 v134, 0x4040404, v134
	v_sub_u16_e32 v136, v126, v134
	v_sub_u16_sdwa v138, v126, v134 dst_sel:BYTE_1 dst_unused:UNUSED_PAD src0_sel:BYTE_1 src1_sel:BYTE_1
	v_sub_u16_sdwa v126, v126, v134 dst_sel:DWORD dst_unused:UNUSED_PAD src0_sel:WORD_1 src1_sel:WORD_1
	v_sub_u16_sdwa v132, v132, v134 dst_sel:BYTE_1 dst_unused:UNUSED_PAD src0_sel:DWORD src1_sel:BYTE_3
	v_bitop3_b16 v136, v136, v138, s23 bitop3:0xec
	v_bitop3_b16 v126, v126, v132, s23 bitop3:0xec
	v_lshlrev_b32_e32 v126, 16, v126
	v_ashrrev_i32_e32 v134, s2, v135
	v_or_b32_sdwa v132, v136, v126 dst_sel:DWORD dst_unused:UNUSED_PAD src0_sel:WORD_0 src1_sel:DWORD
	v_ashrrev_i32_e32 v126, s18, v133
	v_lshlrev_b32_e32 v134, 2, v134
	v_bfe_u32 v133, v126, 24, 2
	v_and_b32_e32 v126, 0x3030303, v126
	v_and_b32_e32 v134, 0x4040404, v134
	v_sub_u16_e32 v135, v126, v134
	v_sub_u16_sdwa v136, v126, v134 dst_sel:BYTE_1 dst_unused:UNUSED_PAD src0_sel:BYTE_1 src1_sel:BYTE_1
	v_sub_u16_sdwa v126, v126, v134 dst_sel:DWORD dst_unused:UNUSED_PAD src0_sel:WORD_1 src1_sel:WORD_1
	v_sub_u16_sdwa v133, v133, v134 dst_sel:BYTE_1 dst_unused:UNUSED_PAD src0_sel:DWORD src1_sel:BYTE_3
	v_bitop3_b16 v135, v135, v136, s23 bitop3:0xec
	v_bitop3_b16 v126, v126, v133, s23 bitop3:0xec
	v_lshlrev_b32_e32 v126, 16, v126
	v_or_b32_sdwa v133, v135, v126 dst_sel:DWORD dst_unused:UNUSED_PAD src0_sel:WORD_0 src1_sel:DWORD
	v_add_u32_e32 v134, s29, v115
	v_mov_b32_e32 v135, 0
	v_dot4c_i32_i8_e32 v135, v127, v6
	ds_read_u16 v127, v134 offset:2
	v_dot4c_i32_i8_e32 v135, v128, v7
	v_dot4c_i32_i8_e32 v135, v129, v8
	v_mov_b32_e32 v129, 0
	v_dot4c_i32_i8_e32 v129, v131, v2
	v_dot4c_i32_i8_e32 v135, v130, v9
	;; [unrolled: 1-line block ×3, first 2 shown]
	s_waitcnt lgkmcnt(0)
	v_lshrrev_b16_e32 v128, 8, v127
	v_bfe_i32 v127, v127, 0, 8
	v_add3_u32 v126, s19, v101, v103
	v_dot4c_i32_i8_e32 v129, v132, v4
	v_bfe_i32 v130, v128, 0, 8
	v_mul_lo_u32 v128, v135, v127
	v_add_u32_e32 v127, 0x3180, v125
	ds_read_b32 v126, v126
	ds_read2_b32 v[134:135], v140 offset1:1
	v_dot4c_i32_i8_e32 v129, v133, v5
	ds_read2_b32 v[132:133], v127 offset1:1
	s_waitcnt lgkmcnt(0)
	v_ashrrev_i32_e32 v127, s18, v132
	v_ashrrev_i32_e32 v132, s2, v134
	v_lshlrev_b32_e32 v132, 2, v132
	v_bfe_u32 v131, v127, 24, 2
	v_and_b32_e32 v127, 0x3030303, v127
	v_and_b32_e32 v132, 0x4040404, v132
	v_sub_u16_e32 v134, v127, v132
	v_sub_u16_sdwa v136, v127, v132 dst_sel:BYTE_1 dst_unused:UNUSED_PAD src0_sel:BYTE_1 src1_sel:BYTE_1
	v_sub_u16_sdwa v127, v127, v132 dst_sel:DWORD dst_unused:UNUSED_PAD src0_sel:WORD_1 src1_sel:WORD_1
	v_sub_u16_sdwa v131, v131, v132 dst_sel:BYTE_1 dst_unused:UNUSED_PAD src0_sel:DWORD src1_sel:BYTE_3
	v_bitop3_b16 v134, v134, v136, s23 bitop3:0xec
	v_bitop3_b16 v127, v127, v131, s23 bitop3:0xec
	v_lshlrev_b32_e32 v127, 16, v127
	v_or_b32_sdwa v131, v134, v127 dst_sel:DWORD dst_unused:UNUSED_PAD src0_sel:WORD_0 src1_sel:DWORD
	v_ashrrev_i32_e32 v127, s18, v133
	v_ashrrev_i32_e32 v133, s2, v135
	v_lshlrev_b32_e32 v133, 2, v133
	v_bfe_u32 v132, v127, 24, 2
	v_and_b32_e32 v127, 0x3030303, v127
	v_and_b32_e32 v133, 0x4040404, v133
	v_sub_u16_e32 v134, v127, v133
	v_sub_u16_sdwa v135, v127, v133 dst_sel:BYTE_1 dst_unused:UNUSED_PAD src0_sel:BYTE_1 src1_sel:BYTE_1
	v_sub_u16_sdwa v127, v127, v133 dst_sel:DWORD dst_unused:UNUSED_PAD src0_sel:WORD_1 src1_sel:WORD_1
	v_sub_u16_sdwa v132, v132, v133 dst_sel:BYTE_1 dst_unused:UNUSED_PAD src0_sel:DWORD src1_sel:BYTE_3
	v_bitop3_b16 v134, v134, v135, s23 bitop3:0xec
	v_bitop3_b16 v127, v127, v132, s23 bitop3:0xec
	v_lshlrev_b32_e32 v127, 16, v127
	v_or_b32_sdwa v132, v134, v127 dst_sel:DWORD dst_unused:UNUSED_PAD src0_sel:WORD_0 src1_sel:DWORD
	v_add_u32_e32 v127, 0x3188, v125
	ds_read2_b32 v[134:135], v127 offset1:1
	ds_read2_b32 v[136:137], v140 offset0:2 offset1:3
	s_waitcnt lgkmcnt(1)
	v_ashrrev_i32_e32 v127, s18, v134
	s_waitcnt lgkmcnt(0)
	v_ashrrev_i32_e32 v134, s2, v136
	v_lshlrev_b32_e32 v134, 2, v134
	v_bfe_u32 v133, v127, 24, 2
	v_and_b32_e32 v127, 0x3030303, v127
	v_and_b32_e32 v134, 0x4040404, v134
	v_sub_u16_e32 v136, v127, v134
	v_sub_u16_sdwa v138, v127, v134 dst_sel:BYTE_1 dst_unused:UNUSED_PAD src0_sel:BYTE_1 src1_sel:BYTE_1
	v_sub_u16_sdwa v127, v127, v134 dst_sel:DWORD dst_unused:UNUSED_PAD src0_sel:WORD_1 src1_sel:WORD_1
	v_sub_u16_sdwa v133, v133, v134 dst_sel:BYTE_1 dst_unused:UNUSED_PAD src0_sel:DWORD src1_sel:BYTE_3
	v_bitop3_b16 v136, v136, v138, s23 bitop3:0xec
	v_bitop3_b16 v127, v127, v133, s23 bitop3:0xec
	v_lshlrev_b32_e32 v127, 16, v127
	v_or_b32_sdwa v133, v136, v127 dst_sel:DWORD dst_unused:UNUSED_PAD src0_sel:WORD_0 src1_sel:DWORD
	v_ashrrev_i32_e32 v127, s18, v135
	v_ashrrev_i32_e32 v135, s2, v137
	v_lshlrev_b32_e32 v135, 2, v135
	v_bfe_u32 v134, v127, 24, 2
	v_and_b32_e32 v127, 0x3030303, v127
	v_and_b32_e32 v135, 0x4040404, v135
	v_sub_u16_e32 v136, v127, v135
	v_sub_u16_sdwa v137, v127, v135 dst_sel:BYTE_1 dst_unused:UNUSED_PAD src0_sel:BYTE_1 src1_sel:BYTE_1
	v_sub_u16_sdwa v127, v127, v135 dst_sel:DWORD dst_unused:UNUSED_PAD src0_sel:WORD_1 src1_sel:WORD_1
	v_sub_u16_sdwa v134, v134, v135 dst_sel:BYTE_1 dst_unused:UNUSED_PAD src0_sel:DWORD src1_sel:BYTE_3
	v_bitop3_b16 v136, v136, v137, s23 bitop3:0xec
	v_bitop3_b16 v127, v127, v134, s23 bitop3:0xec
	v_lshlrev_b32_e32 v127, 16, v127
	v_or_b32_sdwa v134, v136, v127 dst_sel:DWORD dst_unused:UNUSED_PAD src0_sel:WORD_0 src1_sel:DWORD
	v_add_u32_e32 v127, 0x3190, v125
	ds_read2_b32 v[136:137], v127 offset1:1
	ds_read2_b32 v[138:139], v140 offset0:4 offset1:5
	v_add_u32_e32 v125, 0x3198, v125
	s_waitcnt lgkmcnt(1)
	v_ashrrev_i32_e32 v127, s18, v136
	s_waitcnt lgkmcnt(0)
	v_ashrrev_i32_e32 v136, s2, v138
	v_lshlrev_b32_e32 v136, 2, v136
	v_bfe_u32 v135, v127, 24, 2
	v_and_b32_e32 v127, 0x3030303, v127
	v_and_b32_e32 v136, 0x4040404, v136
	v_sub_u16_e32 v138, v127, v136
	v_sub_u16_sdwa v141, v127, v136 dst_sel:BYTE_1 dst_unused:UNUSED_PAD src0_sel:BYTE_1 src1_sel:BYTE_1
	v_sub_u16_sdwa v127, v127, v136 dst_sel:DWORD dst_unused:UNUSED_PAD src0_sel:WORD_1 src1_sel:WORD_1
	v_sub_u16_sdwa v135, v135, v136 dst_sel:BYTE_1 dst_unused:UNUSED_PAD src0_sel:DWORD src1_sel:BYTE_3
	v_bitop3_b16 v138, v138, v141, s23 bitop3:0xec
	v_bitop3_b16 v127, v127, v135, s23 bitop3:0xec
	v_lshlrev_b32_e32 v127, 16, v127
	v_or_b32_sdwa v135, v138, v127 dst_sel:DWORD dst_unused:UNUSED_PAD src0_sel:WORD_0 src1_sel:DWORD
	v_ashrrev_i32_e32 v127, s18, v137
	v_ashrrev_i32_e32 v137, s2, v139
	v_lshlrev_b32_e32 v137, 2, v137
	v_bfe_u32 v136, v127, 24, 2
	v_and_b32_e32 v127, 0x3030303, v127
	v_and_b32_e32 v137, 0x4040404, v137
	v_sub_u16_e32 v138, v127, v137
	v_sub_u16_sdwa v139, v127, v137 dst_sel:BYTE_1 dst_unused:UNUSED_PAD src0_sel:BYTE_1 src1_sel:BYTE_1
	v_sub_u16_sdwa v127, v127, v137 dst_sel:DWORD dst_unused:UNUSED_PAD src0_sel:WORD_1 src1_sel:WORD_1
	v_sub_u16_sdwa v136, v136, v137 dst_sel:BYTE_1 dst_unused:UNUSED_PAD src0_sel:DWORD src1_sel:BYTE_3
	v_bitop3_b16 v138, v138, v139, s23 bitop3:0xec
	v_bitop3_b16 v127, v127, v136, s23 bitop3:0xec
	v_lshlrev_b32_e32 v127, 16, v127
	ds_read2_b32 v[140:141], v140 offset0:6 offset1:7
	v_or_b32_sdwa v136, v138, v127 dst_sel:DWORD dst_unused:UNUSED_PAD src0_sel:WORD_0 src1_sel:DWORD
	ds_read2_b32 v[138:139], v125 offset1:1
	s_waitcnt lgkmcnt(1)
	v_ashrrev_i32_e32 v137, s2, v140
	v_lshlrev_b32_e32 v137, 2, v137
	s_waitcnt lgkmcnt(0)
	v_ashrrev_i32_e32 v125, s18, v138
	v_bfe_u32 v127, v125, 24, 2
	v_and_b32_e32 v125, 0x3030303, v125
	v_and_b32_e32 v137, 0x4040404, v137
	v_sub_u16_e32 v138, v125, v137
	v_sub_u16_sdwa v140, v125, v137 dst_sel:BYTE_1 dst_unused:UNUSED_PAD src0_sel:BYTE_1 src1_sel:BYTE_1
	v_sub_u16_sdwa v125, v125, v137 dst_sel:DWORD dst_unused:UNUSED_PAD src0_sel:WORD_1 src1_sel:WORD_1
	v_sub_u16_sdwa v127, v127, v137 dst_sel:BYTE_1 dst_unused:UNUSED_PAD src0_sel:DWORD src1_sel:BYTE_3
	v_bitop3_b16 v138, v138, v140, s23 bitop3:0xec
	v_bitop3_b16 v125, v125, v127, s23 bitop3:0xec
	v_lshlrev_b32_e32 v125, 16, v125
	v_or_b32_sdwa v125, v138, v125 dst_sel:DWORD dst_unused:UNUSED_PAD src0_sel:WORD_0 src1_sel:DWORD
	v_ashrrev_i32_e32 v138, s2, v141
	v_ashrrev_i32_e32 v127, s18, v139
	v_lshlrev_b32_e32 v138, 2, v138
	v_bfe_u32 v137, v127, 24, 2
	v_and_b32_e32 v127, 0x3030303, v127
	v_and_b32_e32 v138, 0x4040404, v138
	v_sub_u16_e32 v139, v127, v138
	v_sub_u16_sdwa v140, v127, v138 dst_sel:BYTE_1 dst_unused:UNUSED_PAD src0_sel:BYTE_1 src1_sel:BYTE_1
	v_sub_u16_sdwa v127, v127, v138 dst_sel:DWORD dst_unused:UNUSED_PAD src0_sel:WORD_1 src1_sel:WORD_1
	v_sub_u16_sdwa v137, v137, v138 dst_sel:BYTE_1 dst_unused:UNUSED_PAD src0_sel:DWORD src1_sel:BYTE_3
	v_bitop3_b16 v139, v139, v140, s23 bitop3:0xec
	v_bitop3_b16 v127, v127, v137, s23 bitop3:0xec
	v_lshlrev_b32_e32 v127, 16, v127
	v_or_b32_sdwa v137, v139, v127 dst_sel:DWORD dst_unused:UNUSED_PAD src0_sel:WORD_0 src1_sel:DWORD
	v_mov_b32_e32 v139, 0
	v_add_u32_e32 v138, s29, v113
	v_add3_u32 v127, s19, v109, v111
	v_dot4c_i32_i8_e32 v139, v131, v6
	v_mov_b32_e32 v6, 0
	ds_read_b32 v127, v127
	v_dot4c_i32_i8_e32 v6, v135, v2
	ds_read_u16 v2, v138 offset:2
	v_dot4c_i32_i8_e32 v139, v132, v7
	v_dot4c_i32_i8_e32 v139, v133, v8
	;; [unrolled: 1-line block ×5, first 2 shown]
	s_waitcnt lgkmcnt(0)
	v_lshrrev_b16_e32 v3, 8, v2
	v_bfe_i32 v2, v2, 0, 8
	v_dot4c_i32_i8_e32 v6, v137, v5
	v_bfe_i32 v5, v3, 0, 8
	v_mul_lo_u32 v4, v139, v2
	v_mad_u64_u32 v[2:3], s[30:31], v129, v130, v[128:129]
	v_mad_u64_u32 v[4:5], s[30:31], v6, v5, v[4:5]
	v_cvt_f32_i32_e32 v3, v4
	v_cvt_f32_i32_e32 v2, v2
	v_pk_mul_f32 v[6:7], v[124:125], v[126:127] op_sel_hi:[0,1]
	s_add_i32 s2, s2, 1
	s_cmp_lt_u32 s18, 6
	v_pk_fma_f32 v[40:41], v[6:7], v[2:3], v[40:41]
	s_mov_b32 s19, s18
	s_cbranch_scc1 .LBB190_11
; %bb.12:                               ;   in Loop: Header=BB190_5 Depth=1
	s_or_b32 s2, s27, 0x80
	s_cmp_ge_i32 s2, s5
	s_barrier
	s_cbranch_scc1 .LBB190_4
; %bb.13:                               ;   in Loop: Header=BB190_5 Depth=1
	v_add_u32_e32 v2, s28, v49
	v_cmp_gt_i32_e64 s[2:3], s8, v2
	s_and_b64 s[18:19], s[0:1], s[2:3]
	s_and_saveexec_b64 s[2:3], s[18:19]
	s_cbranch_execz .LBB190_15
; %bb.14:                               ;   in Loop: Header=BB190_5 Depth=1
	v_add_u32_e32 v2, v58, v2
	v_mad_i64_i32 v[2:3], s[18:19], v2, 36, v[56:57]
	global_load_dword v2, v[2:3], off offset:4
	s_waitcnt vmcnt(0)
	ds_write_b32 v47, v2
.LBB190_15:                             ;   in Loop: Header=BB190_5 Depth=1
	s_or_b64 exec, exec, s[2:3]
	s_and_saveexec_b64 s[18:19], vcc
	s_cbranch_execz .LBB190_18
; %bb.16:                               ;   in Loop: Header=BB190_5 Depth=1
	v_or_b32_e32 v2, 4, v122
	v_cmp_gt_i32_e64 s[2:3], s8, v2
	s_and_b64 s[2:3], s[0:1], s[2:3]
	s_and_b64 exec, exec, s[2:3]
	s_cbranch_execz .LBB190_18
; %bb.17:                               ;   in Loop: Header=BB190_5 Depth=1
	v_ashrrev_i32_e32 v123, 31, v122
	v_lshl_add_u64 v[2:3], v[58:59], 0, v[122:123]
	v_mad_u64_u32 v[4:5], s[2:3], v2, 36, s[14:15]
	v_mad_i32_i24 v5, v3, 36, v5
	global_load_dword v2, v[4:5], off offset:144
	s_waitcnt vmcnt(0)
	v_cvt_f32_f16_e32 v2, v2
	ds_write_b32 v79, v2
.LBB190_18:                             ;   in Loop: Header=BB190_5 Depth=1
	s_or_b64 exec, exec, s[18:19]
	s_mov_b32 s2, 8
	s_mov_b32 s29, 6
	;; [unrolled: 1-line block ×3, first 2 shown]
	v_mov_b32_e32 v121, v17
	v_mov_b32_e32 v123, v77
	s_waitcnt lgkmcnt(0)
	s_barrier
.LBB190_19:                             ;   Parent Loop BB190_5 Depth=1
                                        ; =>  This Inner Loop Header: Depth=2
	s_add_i32 s18, s29, 2
	s_lshr_b32 s33, s18, 4
	s_and_b32 s31, s18, 0x3ffffff8
	v_lshl_add_u32 v125, s31, 2, v55
	s_lshl_b32 s31, s33, 5
	s_addk_i32 s31, 0x4200
	v_add3_u32 v131, s31, v81, v83
	ds_read_b32 v124, v123
	ds_read_b128 v[6:9], v121
	ds_read_b128 v[2:5], v121 offset:16
	ds_read2_b32 v[126:127], v125 offset1:1
	ds_read2_b32 v[128:129], v131 offset1:1
	s_add_i32 s19, s29, -6
	s_and_b32 s30, s2, -16
	s_add_i32 s30, s29, s30
	s_waitcnt lgkmcnt(1)
	v_ashrrev_i32_e32 v126, s19, v126
	s_waitcnt lgkmcnt(0)
	v_ashrrev_i32_e32 v128, s3, v128
	v_lshlrev_b32_e32 v128, 2, v128
	v_bfe_u32 v130, v126, 24, 2
	v_and_b32_e32 v126, 0x3030303, v126
	v_and_b32_e32 v128, 0x4040404, v128
	v_sub_u16_e32 v132, v126, v128
	v_sub_u16_sdwa v133, v126, v128 dst_sel:BYTE_1 dst_unused:UNUSED_PAD src0_sel:BYTE_1 src1_sel:BYTE_1
	v_sub_u16_sdwa v126, v126, v128 dst_sel:DWORD dst_unused:UNUSED_PAD src0_sel:WORD_1 src1_sel:WORD_1
	v_sub_u16_sdwa v128, v130, v128 dst_sel:BYTE_1 dst_unused:UNUSED_PAD src0_sel:DWORD src1_sel:BYTE_3
	v_bitop3_b16 v132, v132, v133, s23 bitop3:0xec
	v_bitop3_b16 v126, v126, v128, s23 bitop3:0xec
	v_lshlrev_b32_e32 v126, 16, v126
	v_ashrrev_i32_e32 v128, s3, v129
	v_or_b32_sdwa v130, v132, v126 dst_sel:DWORD dst_unused:UNUSED_PAD src0_sel:WORD_0 src1_sel:DWORD
	v_ashrrev_i32_e32 v126, s19, v127
	v_lshlrev_b32_e32 v128, 2, v128
	v_bfe_u32 v127, v126, 24, 2
	v_and_b32_e32 v126, 0x3030303, v126
	v_and_b32_e32 v128, 0x4040404, v128
	v_sub_u16_e32 v129, v126, v128
	v_sub_u16_sdwa v132, v126, v128 dst_sel:BYTE_1 dst_unused:UNUSED_PAD src0_sel:BYTE_1 src1_sel:BYTE_1
	v_sub_u16_sdwa v126, v126, v128 dst_sel:DWORD dst_unused:UNUSED_PAD src0_sel:WORD_1 src1_sel:WORD_1
	v_sub_u16_sdwa v127, v127, v128 dst_sel:BYTE_1 dst_unused:UNUSED_PAD src0_sel:DWORD src1_sel:BYTE_3
	v_bitop3_b16 v129, v129, v132, s23 bitop3:0xec
	v_bitop3_b16 v126, v126, v127, s23 bitop3:0xec
	v_lshlrev_b32_e32 v126, 16, v126
	v_or_b32_sdwa v132, v129, v126 dst_sel:DWORD dst_unused:UNUSED_PAD src0_sel:WORD_0 src1_sel:DWORD
	ds_read2_b32 v[126:127], v125 offset0:2 offset1:3
	ds_read2_b32 v[128:129], v131 offset0:2 offset1:3
	s_lshl_b32 s29, s33, 2
	s_addk_i32 s29, 0x7380
	s_add_i32 s2, s2, 2
	s_waitcnt lgkmcnt(1)
	v_ashrrev_i32_e32 v126, s19, v126
	s_waitcnt lgkmcnt(0)
	v_ashrrev_i32_e32 v128, s3, v128
	v_lshlrev_b32_e32 v128, 2, v128
	v_bfe_u32 v133, v126, 24, 2
	v_and_b32_e32 v126, 0x3030303, v126
	v_and_b32_e32 v128, 0x4040404, v128
	v_sub_u16_e32 v134, v126, v128
	v_sub_u16_sdwa v135, v126, v128 dst_sel:BYTE_1 dst_unused:UNUSED_PAD src0_sel:BYTE_1 src1_sel:BYTE_1
	v_sub_u16_sdwa v126, v126, v128 dst_sel:DWORD dst_unused:UNUSED_PAD src0_sel:WORD_1 src1_sel:WORD_1
	v_sub_u16_sdwa v128, v133, v128 dst_sel:BYTE_1 dst_unused:UNUSED_PAD src0_sel:DWORD src1_sel:BYTE_3
	v_bitop3_b16 v134, v134, v135, s23 bitop3:0xec
	v_bitop3_b16 v126, v126, v128, s23 bitop3:0xec
	v_lshlrev_b32_e32 v126, 16, v126
	v_ashrrev_i32_e32 v128, s3, v129
	v_or_b32_sdwa v133, v134, v126 dst_sel:DWORD dst_unused:UNUSED_PAD src0_sel:WORD_0 src1_sel:DWORD
	v_ashrrev_i32_e32 v126, s19, v127
	v_lshlrev_b32_e32 v128, 2, v128
	v_bfe_u32 v127, v126, 24, 2
	v_and_b32_e32 v126, 0x3030303, v126
	v_and_b32_e32 v128, 0x4040404, v128
	v_sub_u16_e32 v129, v126, v128
	v_sub_u16_sdwa v134, v126, v128 dst_sel:BYTE_1 dst_unused:UNUSED_PAD src0_sel:BYTE_1 src1_sel:BYTE_1
	v_sub_u16_sdwa v126, v126, v128 dst_sel:DWORD dst_unused:UNUSED_PAD src0_sel:WORD_1 src1_sel:WORD_1
	v_sub_u16_sdwa v127, v127, v128 dst_sel:BYTE_1 dst_unused:UNUSED_PAD src0_sel:DWORD src1_sel:BYTE_3
	v_bitop3_b16 v129, v129, v134, s23 bitop3:0xec
	v_bitop3_b16 v126, v126, v127, s23 bitop3:0xec
	v_lshlrev_b32_e32 v126, 16, v126
	v_or_b32_sdwa v134, v129, v126 dst_sel:DWORD dst_unused:UNUSED_PAD src0_sel:WORD_0 src1_sel:DWORD
	ds_read2_b32 v[126:127], v125 offset0:4 offset1:5
	ds_read2_b32 v[128:129], v131 offset0:4 offset1:5
	v_add_u32_e32 v123, 4, v123
	v_add_u32_e32 v121, 32, v121
	s_waitcnt lgkmcnt(1)
	v_ashrrev_i32_e32 v126, s19, v126
	s_waitcnt lgkmcnt(0)
	v_ashrrev_i32_e32 v128, s3, v128
	v_lshlrev_b32_e32 v128, 2, v128
	v_bfe_u32 v135, v126, 24, 2
	v_and_b32_e32 v126, 0x3030303, v126
	v_and_b32_e32 v128, 0x4040404, v128
	v_sub_u16_e32 v136, v126, v128
	v_sub_u16_sdwa v137, v126, v128 dst_sel:BYTE_1 dst_unused:UNUSED_PAD src0_sel:BYTE_1 src1_sel:BYTE_1
	v_sub_u16_sdwa v126, v126, v128 dst_sel:DWORD dst_unused:UNUSED_PAD src0_sel:WORD_1 src1_sel:WORD_1
	v_sub_u16_sdwa v128, v135, v128 dst_sel:BYTE_1 dst_unused:UNUSED_PAD src0_sel:DWORD src1_sel:BYTE_3
	v_bitop3_b16 v136, v136, v137, s23 bitop3:0xec
	v_bitop3_b16 v126, v126, v128, s23 bitop3:0xec
	v_lshlrev_b32_e32 v126, 16, v126
	v_ashrrev_i32_e32 v128, s3, v129
	v_or_b32_sdwa v135, v136, v126 dst_sel:DWORD dst_unused:UNUSED_PAD src0_sel:WORD_0 src1_sel:DWORD
	v_ashrrev_i32_e32 v126, s19, v127
	v_lshlrev_b32_e32 v128, 2, v128
	v_bfe_u32 v127, v126, 24, 2
	v_and_b32_e32 v126, 0x3030303, v126
	v_and_b32_e32 v128, 0x4040404, v128
	v_sub_u16_e32 v129, v126, v128
	v_sub_u16_sdwa v136, v126, v128 dst_sel:BYTE_1 dst_unused:UNUSED_PAD src0_sel:BYTE_1 src1_sel:BYTE_1
	v_sub_u16_sdwa v126, v126, v128 dst_sel:DWORD dst_unused:UNUSED_PAD src0_sel:WORD_1 src1_sel:WORD_1
	v_sub_u16_sdwa v127, v127, v128 dst_sel:BYTE_1 dst_unused:UNUSED_PAD src0_sel:DWORD src1_sel:BYTE_3
	v_bitop3_b16 v129, v129, v136, s23 bitop3:0xec
	v_bitop3_b16 v126, v126, v127, s23 bitop3:0xec
	v_lshlrev_b32_e32 v126, 16, v126
	v_or_b32_sdwa v136, v129, v126 dst_sel:DWORD dst_unused:UNUSED_PAD src0_sel:WORD_0 src1_sel:DWORD
	ds_read2_b32 v[126:127], v125 offset0:6 offset1:7
	ds_read2_b32 v[128:129], v131 offset0:6 offset1:7
	s_waitcnt lgkmcnt(1)
	v_ashrrev_i32_e32 v126, s19, v126
	s_waitcnt lgkmcnt(0)
	v_ashrrev_i32_e32 v128, s3, v128
	v_lshlrev_b32_e32 v128, 2, v128
	v_bfe_u32 v137, v126, 24, 2
	v_and_b32_e32 v126, 0x3030303, v126
	v_and_b32_e32 v128, 0x4040404, v128
	v_sub_u16_e32 v131, v126, v128
	v_sub_u16_sdwa v138, v126, v128 dst_sel:BYTE_1 dst_unused:UNUSED_PAD src0_sel:BYTE_1 src1_sel:BYTE_1
	v_sub_u16_sdwa v126, v126, v128 dst_sel:DWORD dst_unused:UNUSED_PAD src0_sel:WORD_1 src1_sel:WORD_1
	v_sub_u16_sdwa v128, v137, v128 dst_sel:BYTE_1 dst_unused:UNUSED_PAD src0_sel:DWORD src1_sel:BYTE_3
	v_bitop3_b16 v131, v131, v138, s23 bitop3:0xec
	v_bitop3_b16 v126, v126, v128, s23 bitop3:0xec
	v_lshlrev_b32_e32 v126, 16, v126
	v_ashrrev_i32_e32 v129, s3, v129
	v_or_b32_sdwa v128, v131, v126 dst_sel:DWORD dst_unused:UNUSED_PAD src0_sel:WORD_0 src1_sel:DWORD
	v_ashrrev_i32_e32 v126, s19, v127
	v_lshlrev_b32_e32 v129, 2, v129
	v_bfe_u32 v127, v126, 24, 2
	v_and_b32_e32 v126, 0x3030303, v126
	v_and_b32_e32 v129, 0x4040404, v129
	v_sub_u16_e32 v131, v126, v129
	v_sub_u16_sdwa v137, v126, v129 dst_sel:BYTE_1 dst_unused:UNUSED_PAD src0_sel:BYTE_1 src1_sel:BYTE_1
	v_sub_u16_sdwa v126, v126, v129 dst_sel:DWORD dst_unused:UNUSED_PAD src0_sel:WORD_1 src1_sel:WORD_1
	v_sub_u16_sdwa v127, v127, v129 dst_sel:BYTE_1 dst_unused:UNUSED_PAD src0_sel:DWORD src1_sel:BYTE_3
	v_bitop3_b16 v131, v131, v137, s23 bitop3:0xec
	v_bitop3_b16 v126, v126, v127, s23 bitop3:0xec
	v_lshlrev_b32_e32 v126, 16, v126
	v_or_b32_sdwa v127, v131, v126 dst_sel:DWORD dst_unused:UNUSED_PAD src0_sel:WORD_0 src1_sel:DWORD
	v_mov_b32_e32 v131, 0
	v_dot4c_i32_i8_e32 v131, v130, v6
	v_dot4c_i32_i8_e32 v131, v132, v7
	;; [unrolled: 1-line block ×4, first 2 shown]
	v_mov_b32_e32 v134, 0
	v_dot4c_i32_i8_e32 v134, v135, v2
	v_dot4c_i32_i8_e32 v134, v136, v3
	v_add_u32_e32 v129, s30, v25
	v_dot4c_i32_i8_e32 v134, v128, v4
	v_dot4c_i32_i8_e32 v134, v127, v5
	ds_read_u16 v127, v129 offset:25346
	v_add3_u32 v126, s29, v119, v87
	v_add3_u32 v135, s31, v89, v91
	ds_read_b32 v126, v126
	ds_read2_b32 v[132:133], v135 offset1:1
	s_waitcnt lgkmcnt(2)
	v_lshrrev_b16_e32 v128, 8, v127
	v_bfe_i32 v127, v127, 0, 8
	v_bfe_i32 v129, v128, 0, 8
	v_mul_lo_u32 v128, v131, v127
	v_add_u32_e32 v127, 0x1080, v125
	ds_read2_b32 v[130:131], v127 offset1:1
	s_waitcnt lgkmcnt(1)
	v_ashrrev_i32_e32 v132, s3, v132
	v_lshlrev_b32_e32 v132, 2, v132
	v_and_b32_e32 v132, 0x4040404, v132
	v_mad_u64_u32 v[128:129], s[34:35], v134, v129, v[128:129]
	s_waitcnt lgkmcnt(0)
	v_ashrrev_i32_e32 v127, s19, v130
	v_bfe_u32 v130, v127, 24, 2
	v_and_b32_e32 v127, 0x3030303, v127
	v_sub_u16_e32 v136, v127, v132
	v_sub_u16_sdwa v137, v127, v132 dst_sel:BYTE_1 dst_unused:UNUSED_PAD src0_sel:BYTE_1 src1_sel:BYTE_1
	v_sub_u16_sdwa v127, v127, v132 dst_sel:DWORD dst_unused:UNUSED_PAD src0_sel:WORD_1 src1_sel:WORD_1
	v_sub_u16_sdwa v130, v130, v132 dst_sel:BYTE_1 dst_unused:UNUSED_PAD src0_sel:DWORD src1_sel:BYTE_3
	v_bitop3_b16 v136, v136, v137, s23 bitop3:0xec
	v_bitop3_b16 v127, v127, v130, s23 bitop3:0xec
	v_lshlrev_b32_e32 v127, 16, v127
	v_or_b32_sdwa v136, v136, v127 dst_sel:DWORD dst_unused:UNUSED_PAD src0_sel:WORD_0 src1_sel:DWORD
	v_ashrrev_i32_e32 v127, s19, v131
	v_ashrrev_i32_e32 v131, s3, v133
	v_lshlrev_b32_e32 v131, 2, v131
	v_bfe_u32 v130, v127, 24, 2
	v_and_b32_e32 v127, 0x3030303, v127
	v_and_b32_e32 v131, 0x4040404, v131
	v_sub_u16_e32 v132, v127, v131
	v_sub_u16_sdwa v133, v127, v131 dst_sel:BYTE_1 dst_unused:UNUSED_PAD src0_sel:BYTE_1 src1_sel:BYTE_1
	v_sub_u16_sdwa v127, v127, v131 dst_sel:DWORD dst_unused:UNUSED_PAD src0_sel:WORD_1 src1_sel:WORD_1
	v_sub_u16_sdwa v130, v130, v131 dst_sel:BYTE_1 dst_unused:UNUSED_PAD src0_sel:DWORD src1_sel:BYTE_3
	v_bitop3_b16 v132, v132, v133, s23 bitop3:0xec
	v_bitop3_b16 v127, v127, v130, s23 bitop3:0xec
	v_lshlrev_b32_e32 v127, 16, v127
	v_or_b32_sdwa v137, v132, v127 dst_sel:DWORD dst_unused:UNUSED_PAD src0_sel:WORD_0 src1_sel:DWORD
	v_add_u32_e32 v127, 0x1088, v125
	ds_read2_b32 v[130:131], v127 offset1:1
	ds_read2_b32 v[132:133], v135 offset0:2 offset1:3
	v_cvt_f32_i32_e32 v128, v128
	s_waitcnt lgkmcnt(1)
	v_ashrrev_i32_e32 v127, s19, v130
	s_waitcnt lgkmcnt(0)
	v_ashrrev_i32_e32 v132, s3, v132
	v_lshlrev_b32_e32 v132, 2, v132
	v_bfe_u32 v130, v127, 24, 2
	v_and_b32_e32 v127, 0x3030303, v127
	v_and_b32_e32 v132, 0x4040404, v132
	v_sub_u16_e32 v138, v127, v132
	v_sub_u16_sdwa v139, v127, v132 dst_sel:BYTE_1 dst_unused:UNUSED_PAD src0_sel:BYTE_1 src1_sel:BYTE_1
	v_sub_u16_sdwa v127, v127, v132 dst_sel:DWORD dst_unused:UNUSED_PAD src0_sel:WORD_1 src1_sel:WORD_1
	v_sub_u16_sdwa v130, v130, v132 dst_sel:BYTE_1 dst_unused:UNUSED_PAD src0_sel:DWORD src1_sel:BYTE_3
	v_bitop3_b16 v138, v138, v139, s23 bitop3:0xec
	v_bitop3_b16 v127, v127, v130, s23 bitop3:0xec
	v_lshlrev_b32_e32 v127, 16, v127
	v_or_b32_sdwa v138, v138, v127 dst_sel:DWORD dst_unused:UNUSED_PAD src0_sel:WORD_0 src1_sel:DWORD
	v_ashrrev_i32_e32 v127, s19, v131
	v_ashrrev_i32_e32 v131, s3, v133
	v_lshlrev_b32_e32 v131, 2, v131
	v_bfe_u32 v130, v127, 24, 2
	v_and_b32_e32 v127, 0x3030303, v127
	v_and_b32_e32 v131, 0x4040404, v131
	v_sub_u16_e32 v132, v127, v131
	v_sub_u16_sdwa v133, v127, v131 dst_sel:BYTE_1 dst_unused:UNUSED_PAD src0_sel:BYTE_1 src1_sel:BYTE_1
	v_sub_u16_sdwa v127, v127, v131 dst_sel:DWORD dst_unused:UNUSED_PAD src0_sel:WORD_1 src1_sel:WORD_1
	v_sub_u16_sdwa v130, v130, v131 dst_sel:BYTE_1 dst_unused:UNUSED_PAD src0_sel:DWORD src1_sel:BYTE_3
	v_bitop3_b16 v132, v132, v133, s23 bitop3:0xec
	v_bitop3_b16 v127, v127, v130, s23 bitop3:0xec
	v_lshlrev_b32_e32 v127, 16, v127
	v_or_b32_sdwa v139, v132, v127 dst_sel:DWORD dst_unused:UNUSED_PAD src0_sel:WORD_0 src1_sel:DWORD
	v_add_u32_e32 v127, 0x1090, v125
	ds_read2_b32 v[130:131], v127 offset1:1
	ds_read2_b32 v[132:133], v135 offset0:4 offset1:5
	s_waitcnt lgkmcnt(1)
	v_ashrrev_i32_e32 v127, s19, v130
	s_waitcnt lgkmcnt(0)
	v_ashrrev_i32_e32 v132, s3, v132
	v_lshlrev_b32_e32 v132, 2, v132
	v_bfe_u32 v130, v127, 24, 2
	v_and_b32_e32 v127, 0x3030303, v127
	v_and_b32_e32 v132, 0x4040404, v132
	v_sub_u16_e32 v140, v127, v132
	v_sub_u16_sdwa v141, v127, v132 dst_sel:BYTE_1 dst_unused:UNUSED_PAD src0_sel:BYTE_1 src1_sel:BYTE_1
	v_sub_u16_sdwa v127, v127, v132 dst_sel:DWORD dst_unused:UNUSED_PAD src0_sel:WORD_1 src1_sel:WORD_1
	v_sub_u16_sdwa v130, v130, v132 dst_sel:BYTE_1 dst_unused:UNUSED_PAD src0_sel:DWORD src1_sel:BYTE_3
	v_bitop3_b16 v140, v140, v141, s23 bitop3:0xec
	v_bitop3_b16 v127, v127, v130, s23 bitop3:0xec
	v_lshlrev_b32_e32 v127, 16, v127
	v_or_b32_sdwa v140, v140, v127 dst_sel:DWORD dst_unused:UNUSED_PAD src0_sel:WORD_0 src1_sel:DWORD
	v_ashrrev_i32_e32 v127, s19, v131
	v_ashrrev_i32_e32 v131, s3, v133
	v_lshlrev_b32_e32 v131, 2, v131
	v_bfe_u32 v130, v127, 24, 2
	v_and_b32_e32 v127, 0x3030303, v127
	v_and_b32_e32 v131, 0x4040404, v131
	v_sub_u16_e32 v132, v127, v131
	v_sub_u16_sdwa v133, v127, v131 dst_sel:BYTE_1 dst_unused:UNUSED_PAD src0_sel:BYTE_1 src1_sel:BYTE_1
	v_sub_u16_sdwa v127, v127, v131 dst_sel:DWORD dst_unused:UNUSED_PAD src0_sel:WORD_1 src1_sel:WORD_1
	v_sub_u16_sdwa v130, v130, v131 dst_sel:BYTE_1 dst_unused:UNUSED_PAD src0_sel:DWORD src1_sel:BYTE_3
	v_bitop3_b16 v132, v132, v133, s23 bitop3:0xec
	v_bitop3_b16 v127, v127, v130, s23 bitop3:0xec
	v_lshlrev_b32_e32 v127, 16, v127
	v_or_b32_sdwa v141, v132, v127 dst_sel:DWORD dst_unused:UNUSED_PAD src0_sel:WORD_0 src1_sel:DWORD
	v_add_u32_e32 v127, 0x1098, v125
	ds_read2_b32 v[130:131], v127 offset1:1
	ds_read2_b32 v[132:133], v135 offset0:6 offset1:7
	s_waitcnt lgkmcnt(1)
	v_ashrrev_i32_e32 v127, s19, v130
	s_waitcnt lgkmcnt(0)
	v_ashrrev_i32_e32 v132, s3, v132
	v_lshlrev_b32_e32 v132, 2, v132
	v_bfe_u32 v130, v127, 24, 2
	v_and_b32_e32 v127, 0x3030303, v127
	v_and_b32_e32 v132, 0x4040404, v132
	v_sub_u16_e32 v135, v127, v132
	v_sub_u16_sdwa v142, v127, v132 dst_sel:BYTE_1 dst_unused:UNUSED_PAD src0_sel:BYTE_1 src1_sel:BYTE_1
	v_sub_u16_sdwa v127, v127, v132 dst_sel:DWORD dst_unused:UNUSED_PAD src0_sel:WORD_1 src1_sel:WORD_1
	v_sub_u16_sdwa v130, v130, v132 dst_sel:BYTE_1 dst_unused:UNUSED_PAD src0_sel:DWORD src1_sel:BYTE_3
	v_bitop3_b16 v135, v135, v142, s23 bitop3:0xec
	v_bitop3_b16 v127, v127, v130, s23 bitop3:0xec
	v_lshlrev_b32_e32 v127, 16, v127
	v_or_b32_sdwa v132, v135, v127 dst_sel:DWORD dst_unused:UNUSED_PAD src0_sel:WORD_0 src1_sel:DWORD
	v_ashrrev_i32_e32 v127, s19, v131
	v_ashrrev_i32_e32 v131, s3, v133
	v_lshlrev_b32_e32 v131, 2, v131
	v_bfe_u32 v130, v127, 24, 2
	v_and_b32_e32 v127, 0x3030303, v127
	v_and_b32_e32 v131, 0x4040404, v131
	v_sub_u16_e32 v133, v127, v131
	v_sub_u16_sdwa v135, v127, v131 dst_sel:BYTE_1 dst_unused:UNUSED_PAD src0_sel:BYTE_1 src1_sel:BYTE_1
	v_sub_u16_sdwa v127, v127, v131 dst_sel:DWORD dst_unused:UNUSED_PAD src0_sel:WORD_1 src1_sel:WORD_1
	v_sub_u16_sdwa v130, v130, v131 dst_sel:BYTE_1 dst_unused:UNUSED_PAD src0_sel:DWORD src1_sel:BYTE_3
	v_bitop3_b16 v133, v133, v135, s23 bitop3:0xec
	v_bitop3_b16 v127, v127, v130, s23 bitop3:0xec
	v_lshlrev_b32_e32 v127, 16, v127
	v_or_b32_sdwa v131, v133, v127 dst_sel:DWORD dst_unused:UNUSED_PAD src0_sel:WORD_0 src1_sel:DWORD
	v_add_u32_e32 v130, s30, v23
	v_add3_u32 v127, s29, v93, v95
	ds_read_b32 v127, v127
	ds_read_u16 v130, v130 offset:26370
	v_mov_b32_e32 v133, 0
	v_dot4c_i32_i8_e32 v133, v136, v6
	v_dot4c_i32_i8_e32 v133, v137, v7
	;; [unrolled: 1-line block ×4, first 2 shown]
	s_waitcnt lgkmcnt(0)
	v_lshrrev_b16_e32 v135, 8, v130
	v_bfe_i32 v130, v130, 0, 8
	v_pk_mul_f32 v[126:127], v[124:125], v[126:127] op_sel_hi:[0,1]
	v_mul_lo_u32 v130, v133, v130
	v_mov_b32_e32 v133, 0
	v_dot4c_i32_i8_e32 v133, v140, v2
	v_dot4c_i32_i8_e32 v133, v141, v3
	;; [unrolled: 1-line block ×4, first 2 shown]
	v_bfe_i32 v131, v135, 0, 8
	s_nop 1
	v_mad_u64_u32 v[130:131], s[34:35], v133, v131, v[130:131]
	v_cvt_f32_i32_e32 v129, v130
	v_add3_u32 v131, s31, v97, v99
	v_pk_fma_f32 v[44:45], v[126:127], v[128:129], v[44:45]
	v_add_u32_e32 v126, 0x2100, v125
	ds_read2_b32 v[126:127], v126 offset1:1
	ds_read2_b32 v[128:129], v131 offset1:1
	s_waitcnt lgkmcnt(1)
	v_ashrrev_i32_e32 v126, s19, v126
	s_waitcnt lgkmcnt(0)
	v_ashrrev_i32_e32 v128, s3, v128
	v_lshlrev_b32_e32 v128, 2, v128
	v_bfe_u32 v130, v126, 24, 2
	v_and_b32_e32 v126, 0x3030303, v126
	v_and_b32_e32 v128, 0x4040404, v128
	v_sub_u16_e32 v132, v126, v128
	v_sub_u16_sdwa v133, v126, v128 dst_sel:BYTE_1 dst_unused:UNUSED_PAD src0_sel:BYTE_1 src1_sel:BYTE_1
	v_sub_u16_sdwa v126, v126, v128 dst_sel:DWORD dst_unused:UNUSED_PAD src0_sel:WORD_1 src1_sel:WORD_1
	v_sub_u16_sdwa v128, v130, v128 dst_sel:BYTE_1 dst_unused:UNUSED_PAD src0_sel:DWORD src1_sel:BYTE_3
	v_bitop3_b16 v132, v132, v133, s23 bitop3:0xec
	v_bitop3_b16 v126, v126, v128, s23 bitop3:0xec
	v_lshlrev_b32_e32 v126, 16, v126
	v_ashrrev_i32_e32 v128, s3, v129
	v_or_b32_sdwa v130, v132, v126 dst_sel:DWORD dst_unused:UNUSED_PAD src0_sel:WORD_0 src1_sel:DWORD
	v_ashrrev_i32_e32 v126, s19, v127
	v_lshlrev_b32_e32 v128, 2, v128
	v_bfe_u32 v127, v126, 24, 2
	v_and_b32_e32 v126, 0x3030303, v126
	v_and_b32_e32 v128, 0x4040404, v128
	v_sub_u16_e32 v129, v126, v128
	v_sub_u16_sdwa v132, v126, v128 dst_sel:BYTE_1 dst_unused:UNUSED_PAD src0_sel:BYTE_1 src1_sel:BYTE_1
	v_sub_u16_sdwa v126, v126, v128 dst_sel:DWORD dst_unused:UNUSED_PAD src0_sel:WORD_1 src1_sel:WORD_1
	v_sub_u16_sdwa v127, v127, v128 dst_sel:BYTE_1 dst_unused:UNUSED_PAD src0_sel:DWORD src1_sel:BYTE_3
	v_bitop3_b16 v129, v129, v132, s23 bitop3:0xec
	v_bitop3_b16 v126, v126, v127, s23 bitop3:0xec
	v_lshlrev_b32_e32 v126, 16, v126
	v_or_b32_sdwa v132, v129, v126 dst_sel:DWORD dst_unused:UNUSED_PAD src0_sel:WORD_0 src1_sel:DWORD
	v_add_u32_e32 v126, 0x2108, v125
	ds_read2_b32 v[126:127], v126 offset1:1
	ds_read2_b32 v[128:129], v131 offset0:2 offset1:3
	s_waitcnt lgkmcnt(1)
	v_ashrrev_i32_e32 v126, s19, v126
	s_waitcnt lgkmcnt(0)
	v_ashrrev_i32_e32 v128, s3, v128
	v_lshlrev_b32_e32 v128, 2, v128
	v_bfe_u32 v133, v126, 24, 2
	v_and_b32_e32 v126, 0x3030303, v126
	v_and_b32_e32 v128, 0x4040404, v128
	v_sub_u16_e32 v134, v126, v128
	v_sub_u16_sdwa v135, v126, v128 dst_sel:BYTE_1 dst_unused:UNUSED_PAD src0_sel:BYTE_1 src1_sel:BYTE_1
	v_sub_u16_sdwa v126, v126, v128 dst_sel:DWORD dst_unused:UNUSED_PAD src0_sel:WORD_1 src1_sel:WORD_1
	v_sub_u16_sdwa v128, v133, v128 dst_sel:BYTE_1 dst_unused:UNUSED_PAD src0_sel:DWORD src1_sel:BYTE_3
	v_bitop3_b16 v134, v134, v135, s23 bitop3:0xec
	v_bitop3_b16 v126, v126, v128, s23 bitop3:0xec
	v_lshlrev_b32_e32 v126, 16, v126
	v_ashrrev_i32_e32 v128, s3, v129
	v_or_b32_sdwa v133, v134, v126 dst_sel:DWORD dst_unused:UNUSED_PAD src0_sel:WORD_0 src1_sel:DWORD
	v_ashrrev_i32_e32 v126, s19, v127
	v_lshlrev_b32_e32 v128, 2, v128
	v_bfe_u32 v127, v126, 24, 2
	v_and_b32_e32 v126, 0x3030303, v126
	v_and_b32_e32 v128, 0x4040404, v128
	v_sub_u16_e32 v129, v126, v128
	v_sub_u16_sdwa v134, v126, v128 dst_sel:BYTE_1 dst_unused:UNUSED_PAD src0_sel:BYTE_1 src1_sel:BYTE_1
	v_sub_u16_sdwa v126, v126, v128 dst_sel:DWORD dst_unused:UNUSED_PAD src0_sel:WORD_1 src1_sel:WORD_1
	v_sub_u16_sdwa v127, v127, v128 dst_sel:BYTE_1 dst_unused:UNUSED_PAD src0_sel:DWORD src1_sel:BYTE_3
	v_bitop3_b16 v129, v129, v134, s23 bitop3:0xec
	v_bitop3_b16 v126, v126, v127, s23 bitop3:0xec
	v_lshlrev_b32_e32 v126, 16, v126
	v_or_b32_sdwa v134, v129, v126 dst_sel:DWORD dst_unused:UNUSED_PAD src0_sel:WORD_0 src1_sel:DWORD
	v_add_u32_e32 v126, 0x2110, v125
	ds_read2_b32 v[126:127], v126 offset1:1
	ds_read2_b32 v[128:129], v131 offset0:4 offset1:5
	;; [unrolled: 33-line block ×3, first 2 shown]
	s_waitcnt lgkmcnt(1)
	v_ashrrev_i32_e32 v126, s19, v126
	s_waitcnt lgkmcnt(0)
	v_ashrrev_i32_e32 v128, s3, v128
	v_lshlrev_b32_e32 v128, 2, v128
	v_bfe_u32 v137, v126, 24, 2
	v_and_b32_e32 v126, 0x3030303, v126
	v_and_b32_e32 v128, 0x4040404, v128
	v_sub_u16_e32 v131, v126, v128
	v_sub_u16_sdwa v138, v126, v128 dst_sel:BYTE_1 dst_unused:UNUSED_PAD src0_sel:BYTE_1 src1_sel:BYTE_1
	v_sub_u16_sdwa v126, v126, v128 dst_sel:DWORD dst_unused:UNUSED_PAD src0_sel:WORD_1 src1_sel:WORD_1
	v_sub_u16_sdwa v128, v137, v128 dst_sel:BYTE_1 dst_unused:UNUSED_PAD src0_sel:DWORD src1_sel:BYTE_3
	v_bitop3_b16 v131, v131, v138, s23 bitop3:0xec
	v_bitop3_b16 v126, v126, v128, s23 bitop3:0xec
	v_lshlrev_b32_e32 v126, 16, v126
	v_ashrrev_i32_e32 v129, s3, v129
	v_or_b32_sdwa v128, v131, v126 dst_sel:DWORD dst_unused:UNUSED_PAD src0_sel:WORD_0 src1_sel:DWORD
	v_ashrrev_i32_e32 v126, s19, v127
	v_lshlrev_b32_e32 v129, 2, v129
	v_bfe_u32 v127, v126, 24, 2
	v_and_b32_e32 v126, 0x3030303, v126
	v_and_b32_e32 v129, 0x4040404, v129
	v_sub_u16_e32 v131, v126, v129
	v_sub_u16_sdwa v137, v126, v129 dst_sel:BYTE_1 dst_unused:UNUSED_PAD src0_sel:BYTE_1 src1_sel:BYTE_1
	v_sub_u16_sdwa v126, v126, v129 dst_sel:DWORD dst_unused:UNUSED_PAD src0_sel:WORD_1 src1_sel:WORD_1
	v_sub_u16_sdwa v127, v127, v129 dst_sel:BYTE_1 dst_unused:UNUSED_PAD src0_sel:DWORD src1_sel:BYTE_3
	v_mov_b32_e32 v129, 0
	v_bitop3_b16 v126, v126, v127, s23 bitop3:0xec
	v_dot4c_i32_i8_e32 v129, v135, v2
	v_bitop3_b16 v131, v131, v137, s23 bitop3:0xec
	v_lshlrev_b32_e32 v126, 16, v126
	v_dot4c_i32_i8_e32 v129, v136, v3
	v_or_b32_sdwa v127, v131, v126 dst_sel:DWORD dst_unused:UNUSED_PAD src0_sel:WORD_0 src1_sel:DWORD
	v_add_u32_e32 v131, s30, v21
	v_dot4c_i32_i8_e32 v129, v128, v4
	v_dot4c_i32_i8_e32 v129, v127, v5
	ds_read_u16 v127, v131 offset:27394
	v_mov_b32_e32 v137, 0
	v_dot4c_i32_i8_e32 v137, v130, v6
	v_dot4c_i32_i8_e32 v137, v132, v7
	;; [unrolled: 1-line block ×4, first 2 shown]
	s_waitcnt lgkmcnt(0)
	v_lshrrev_b16_e32 v128, 8, v127
	v_bfe_i32 v127, v127, 0, 8
	v_add3_u32 v126, s29, v101, v103
	v_bfe_i32 v130, v128, 0, 8
	v_mul_lo_u32 v128, v137, v127
	v_add_u32_e32 v127, 0x3180, v125
	v_add3_u32 v136, s31, v105, v107
	ds_read_b32 v126, v126
	ds_read2_b32 v[132:133], v127 offset1:1
	ds_read2_b32 v[134:135], v136 offset1:1
	s_waitcnt lgkmcnt(1)
	v_ashrrev_i32_e32 v127, s19, v132
	s_waitcnt lgkmcnt(0)
	v_ashrrev_i32_e32 v132, s3, v134
	v_lshlrev_b32_e32 v132, 2, v132
	v_bfe_u32 v131, v127, 24, 2
	v_and_b32_e32 v127, 0x3030303, v127
	v_and_b32_e32 v132, 0x4040404, v132
	v_sub_u16_e32 v134, v127, v132
	v_sub_u16_sdwa v137, v127, v132 dst_sel:BYTE_1 dst_unused:UNUSED_PAD src0_sel:BYTE_1 src1_sel:BYTE_1
	v_sub_u16_sdwa v127, v127, v132 dst_sel:DWORD dst_unused:UNUSED_PAD src0_sel:WORD_1 src1_sel:WORD_1
	v_sub_u16_sdwa v131, v131, v132 dst_sel:BYTE_1 dst_unused:UNUSED_PAD src0_sel:DWORD src1_sel:BYTE_3
	v_bitop3_b16 v134, v134, v137, s23 bitop3:0xec
	v_bitop3_b16 v127, v127, v131, s23 bitop3:0xec
	v_lshlrev_b32_e32 v127, 16, v127
	v_or_b32_sdwa v131, v134, v127 dst_sel:DWORD dst_unused:UNUSED_PAD src0_sel:WORD_0 src1_sel:DWORD
	v_ashrrev_i32_e32 v127, s19, v133
	v_ashrrev_i32_e32 v133, s3, v135
	v_lshlrev_b32_e32 v133, 2, v133
	v_bfe_u32 v132, v127, 24, 2
	v_and_b32_e32 v127, 0x3030303, v127
	v_and_b32_e32 v133, 0x4040404, v133
	v_sub_u16_e32 v134, v127, v133
	v_sub_u16_sdwa v135, v127, v133 dst_sel:BYTE_1 dst_unused:UNUSED_PAD src0_sel:BYTE_1 src1_sel:BYTE_1
	v_sub_u16_sdwa v127, v127, v133 dst_sel:DWORD dst_unused:UNUSED_PAD src0_sel:WORD_1 src1_sel:WORD_1
	v_sub_u16_sdwa v132, v132, v133 dst_sel:BYTE_1 dst_unused:UNUSED_PAD src0_sel:DWORD src1_sel:BYTE_3
	v_bitop3_b16 v134, v134, v135, s23 bitop3:0xec
	v_bitop3_b16 v127, v127, v132, s23 bitop3:0xec
	v_lshlrev_b32_e32 v127, 16, v127
	v_or_b32_sdwa v137, v134, v127 dst_sel:DWORD dst_unused:UNUSED_PAD src0_sel:WORD_0 src1_sel:DWORD
	v_add_u32_e32 v127, 0x3188, v125
	ds_read2_b32 v[132:133], v127 offset1:1
	ds_read2_b32 v[134:135], v136 offset0:2 offset1:3
	s_waitcnt lgkmcnt(1)
	v_ashrrev_i32_e32 v127, s19, v132
	s_waitcnt lgkmcnt(0)
	v_ashrrev_i32_e32 v134, s3, v134
	v_lshlrev_b32_e32 v134, 2, v134
	v_bfe_u32 v132, v127, 24, 2
	v_and_b32_e32 v127, 0x3030303, v127
	v_and_b32_e32 v134, 0x4040404, v134
	v_sub_u16_e32 v138, v127, v134
	v_sub_u16_sdwa v139, v127, v134 dst_sel:BYTE_1 dst_unused:UNUSED_PAD src0_sel:BYTE_1 src1_sel:BYTE_1
	v_sub_u16_sdwa v127, v127, v134 dst_sel:DWORD dst_unused:UNUSED_PAD src0_sel:WORD_1 src1_sel:WORD_1
	v_sub_u16_sdwa v132, v132, v134 dst_sel:BYTE_1 dst_unused:UNUSED_PAD src0_sel:DWORD src1_sel:BYTE_3
	v_bitop3_b16 v138, v138, v139, s23 bitop3:0xec
	v_bitop3_b16 v127, v127, v132, s23 bitop3:0xec
	v_lshlrev_b32_e32 v127, 16, v127
	v_or_b32_sdwa v138, v138, v127 dst_sel:DWORD dst_unused:UNUSED_PAD src0_sel:WORD_0 src1_sel:DWORD
	v_ashrrev_i32_e32 v127, s19, v133
	v_ashrrev_i32_e32 v133, s3, v135
	v_lshlrev_b32_e32 v133, 2, v133
	v_bfe_u32 v132, v127, 24, 2
	v_and_b32_e32 v127, 0x3030303, v127
	v_and_b32_e32 v133, 0x4040404, v133
	v_sub_u16_e32 v134, v127, v133
	v_sub_u16_sdwa v135, v127, v133 dst_sel:BYTE_1 dst_unused:UNUSED_PAD src0_sel:BYTE_1 src1_sel:BYTE_1
	v_sub_u16_sdwa v127, v127, v133 dst_sel:DWORD dst_unused:UNUSED_PAD src0_sel:WORD_1 src1_sel:WORD_1
	v_sub_u16_sdwa v132, v132, v133 dst_sel:BYTE_1 dst_unused:UNUSED_PAD src0_sel:DWORD src1_sel:BYTE_3
	v_bitop3_b16 v134, v134, v135, s23 bitop3:0xec
	v_bitop3_b16 v127, v127, v132, s23 bitop3:0xec
	v_lshlrev_b32_e32 v127, 16, v127
	v_or_b32_sdwa v139, v134, v127 dst_sel:DWORD dst_unused:UNUSED_PAD src0_sel:WORD_0 src1_sel:DWORD
	v_add_u32_e32 v127, 0x3190, v125
	ds_read2_b32 v[132:133], v127 offset1:1
	ds_read2_b32 v[134:135], v136 offset0:4 offset1:5
	v_add_u32_e32 v125, 0x3198, v125
	s_waitcnt lgkmcnt(1)
	v_ashrrev_i32_e32 v127, s19, v132
	s_waitcnt lgkmcnt(0)
	v_ashrrev_i32_e32 v134, s3, v134
	v_lshlrev_b32_e32 v134, 2, v134
	v_bfe_u32 v132, v127, 24, 2
	v_and_b32_e32 v127, 0x3030303, v127
	v_and_b32_e32 v134, 0x4040404, v134
	v_sub_u16_e32 v140, v127, v134
	v_sub_u16_sdwa v141, v127, v134 dst_sel:BYTE_1 dst_unused:UNUSED_PAD src0_sel:BYTE_1 src1_sel:BYTE_1
	v_sub_u16_sdwa v127, v127, v134 dst_sel:DWORD dst_unused:UNUSED_PAD src0_sel:WORD_1 src1_sel:WORD_1
	v_sub_u16_sdwa v132, v132, v134 dst_sel:BYTE_1 dst_unused:UNUSED_PAD src0_sel:DWORD src1_sel:BYTE_3
	v_bitop3_b16 v140, v140, v141, s23 bitop3:0xec
	v_bitop3_b16 v127, v127, v132, s23 bitop3:0xec
	v_lshlrev_b32_e32 v127, 16, v127
	v_or_b32_sdwa v140, v140, v127 dst_sel:DWORD dst_unused:UNUSED_PAD src0_sel:WORD_0 src1_sel:DWORD
	v_ashrrev_i32_e32 v127, s19, v133
	v_ashrrev_i32_e32 v133, s3, v135
	v_lshlrev_b32_e32 v133, 2, v133
	v_bfe_u32 v132, v127, 24, 2
	v_and_b32_e32 v127, 0x3030303, v127
	v_and_b32_e32 v133, 0x4040404, v133
	v_sub_u16_e32 v134, v127, v133
	v_sub_u16_sdwa v135, v127, v133 dst_sel:BYTE_1 dst_unused:UNUSED_PAD src0_sel:BYTE_1 src1_sel:BYTE_1
	v_sub_u16_sdwa v127, v127, v133 dst_sel:DWORD dst_unused:UNUSED_PAD src0_sel:WORD_1 src1_sel:WORD_1
	v_sub_u16_sdwa v132, v132, v133 dst_sel:BYTE_1 dst_unused:UNUSED_PAD src0_sel:DWORD src1_sel:BYTE_3
	v_bitop3_b16 v134, v134, v135, s23 bitop3:0xec
	v_bitop3_b16 v127, v127, v132, s23 bitop3:0xec
	v_lshlrev_b32_e32 v127, 16, v127
	v_or_b32_sdwa v141, v134, v127 dst_sel:DWORD dst_unused:UNUSED_PAD src0_sel:WORD_0 src1_sel:DWORD
	ds_read2_b32 v[132:133], v125 offset1:1
	ds_read2_b32 v[134:135], v136 offset0:6 offset1:7
	s_waitcnt lgkmcnt(1)
	v_ashrrev_i32_e32 v125, s19, v132
	s_waitcnt lgkmcnt(0)
	v_ashrrev_i32_e32 v132, s3, v134
	v_lshlrev_b32_e32 v132, 2, v132
	v_bfe_u32 v127, v125, 24, 2
	v_and_b32_e32 v125, 0x3030303, v125
	v_and_b32_e32 v132, 0x4040404, v132
	v_sub_u16_e32 v134, v125, v132
	v_sub_u16_sdwa v136, v125, v132 dst_sel:BYTE_1 dst_unused:UNUSED_PAD src0_sel:BYTE_1 src1_sel:BYTE_1
	v_sub_u16_sdwa v125, v125, v132 dst_sel:DWORD dst_unused:UNUSED_PAD src0_sel:WORD_1 src1_sel:WORD_1
	v_sub_u16_sdwa v127, v127, v132 dst_sel:BYTE_1 dst_unused:UNUSED_PAD src0_sel:DWORD src1_sel:BYTE_3
	v_bitop3_b16 v134, v134, v136, s23 bitop3:0xec
	v_bitop3_b16 v125, v125, v127, s23 bitop3:0xec
	v_ashrrev_i32_e32 v127, s19, v133
	v_ashrrev_i32_e32 v133, s3, v135
	v_lshlrev_b32_e32 v133, 2, v133
	v_lshlrev_b32_e32 v125, 16, v125
	v_bfe_u32 v132, v127, 24, 2
	v_and_b32_e32 v127, 0x3030303, v127
	v_and_b32_e32 v133, 0x4040404, v133
	v_or_b32_sdwa v125, v134, v125 dst_sel:DWORD dst_unused:UNUSED_PAD src0_sel:WORD_0 src1_sel:DWORD
	v_sub_u16_e32 v134, v127, v133
	v_sub_u16_sdwa v135, v127, v133 dst_sel:BYTE_1 dst_unused:UNUSED_PAD src0_sel:BYTE_1 src1_sel:BYTE_1
	v_sub_u16_sdwa v127, v127, v133 dst_sel:DWORD dst_unused:UNUSED_PAD src0_sel:WORD_1 src1_sel:WORD_1
	v_sub_u16_sdwa v132, v132, v133 dst_sel:BYTE_1 dst_unused:UNUSED_PAD src0_sel:DWORD src1_sel:BYTE_3
	v_bitop3_b16 v134, v134, v135, s23 bitop3:0xec
	v_bitop3_b16 v127, v127, v132, s23 bitop3:0xec
	v_lshlrev_b32_e32 v127, 16, v127
	v_or_b32_sdwa v132, v134, v127 dst_sel:DWORD dst_unused:UNUSED_PAD src0_sel:WORD_0 src1_sel:DWORD
	v_mov_b32_e32 v134, 0
	v_add_u32_e32 v133, s30, v19
	v_add3_u32 v127, s29, v109, v111
	v_dot4c_i32_i8_e32 v134, v131, v6
	v_mov_b32_e32 v6, 0
	ds_read_b32 v127, v127
	v_dot4c_i32_i8_e32 v6, v140, v2
	ds_read_u16 v2, v133 offset:28418
	v_dot4c_i32_i8_e32 v134, v137, v7
	v_dot4c_i32_i8_e32 v134, v138, v8
	;; [unrolled: 1-line block ×5, first 2 shown]
	s_waitcnt lgkmcnt(0)
	v_lshrrev_b16_e32 v3, 8, v2
	v_bfe_i32 v2, v2, 0, 8
	v_dot4c_i32_i8_e32 v6, v132, v5
	v_bfe_i32 v5, v3, 0, 8
	v_mul_lo_u32 v4, v134, v2
	v_mad_u64_u32 v[2:3], s[30:31], v129, v130, v[128:129]
	v_mad_u64_u32 v[4:5], s[30:31], v6, v5, v[4:5]
	v_cvt_f32_i32_e32 v3, v4
	v_cvt_f32_i32_e32 v2, v2
	v_pk_mul_f32 v[6:7], v[124:125], v[126:127] op_sel_hi:[0,1]
	s_add_i32 s3, s3, 1
	s_cmp_lt_u32 s18, 14
	v_pk_fma_f32 v[40:41], v[6:7], v[2:3], v[40:41]
	s_mov_b32 s29, s18
	s_cbranch_scc1 .LBB190_19
; %bb.20:                               ;   in Loop: Header=BB190_5 Depth=1
	s_or_b32 s2, s27, 0x100
	s_cmp_ge_i32 s2, s5
	s_barrier
	s_cbranch_scc1 .LBB190_4
; %bb.21:                               ;   in Loop: Header=BB190_5 Depth=1
	v_add_u32_e32 v2, s28, v51
	v_cmp_gt_i32_e64 s[2:3], s8, v2
	s_and_b64 s[18:19], s[0:1], s[2:3]
	s_and_saveexec_b64 s[2:3], s[18:19]
	s_cbranch_execz .LBB190_23
; %bb.22:                               ;   in Loop: Header=BB190_5 Depth=1
	v_add_u32_e32 v2, v58, v2
	v_mad_i64_i32 v[2:3], s[18:19], v2, 36, v[56:57]
	global_load_dword v2, v[2:3], off offset:4
	s_waitcnt vmcnt(0)
	ds_write_b32 v47, v2
.LBB190_23:                             ;   in Loop: Header=BB190_5 Depth=1
	s_or_b64 exec, exec, s[2:3]
	s_and_saveexec_b64 s[18:19], vcc
	s_cbranch_execz .LBB190_26
; %bb.24:                               ;   in Loop: Header=BB190_5 Depth=1
	v_or_b32_e32 v2, 8, v122
	v_cmp_gt_i32_e64 s[2:3], s8, v2
	s_and_b64 s[2:3], s[0:1], s[2:3]
	s_and_b64 exec, exec, s[2:3]
	s_cbranch_execz .LBB190_26
; %bb.25:                               ;   in Loop: Header=BB190_5 Depth=1
	v_ashrrev_i32_e32 v123, 31, v122
	v_lshl_add_u64 v[2:3], v[58:59], 0, v[122:123]
	v_mad_u64_u32 v[4:5], s[2:3], v2, 36, s[14:15]
	v_mad_i32_i24 v5, v3, 36, v5
	global_load_dword v2, v[4:5], off offset:288
	s_waitcnt vmcnt(0)
	v_cvt_f32_f16_e32 v2, v2
	ds_write_b32 v79, v2
.LBB190_26:                             ;   in Loop: Header=BB190_5 Depth=1
	s_or_b64 exec, exec, s[18:19]
	s_mov_b32 s2, 16
	s_mov_b32 s29, 14
	;; [unrolled: 1-line block ×3, first 2 shown]
	v_mov_b32_e32 v121, v17
	v_mov_b32_e32 v123, v77
	s_waitcnt lgkmcnt(0)
	s_barrier
.LBB190_27:                             ;   Parent Loop BB190_5 Depth=1
                                        ; =>  This Inner Loop Header: Depth=2
	s_add_i32 s18, s29, 2
	s_lshr_b32 s33, s18, 4
	s_and_b32 s31, s18, 0x3ffffff8
	v_lshl_add_u32 v125, s31, 2, v55
	s_lshl_b32 s31, s33, 5
	s_addk_i32 s31, 0x4200
	v_add3_u32 v131, s31, v81, v83
	ds_read_b32 v124, v123
	ds_read_b128 v[6:9], v121
	ds_read_b128 v[2:5], v121 offset:16
	ds_read2_b32 v[126:127], v125 offset1:1
	ds_read2_b32 v[128:129], v131 offset1:1
	s_add_i32 s19, s29, -14
	s_and_b32 s30, s2, -16
	s_add_i32 s30, s29, s30
	s_waitcnt lgkmcnt(1)
	v_ashrrev_i32_e32 v126, s19, v126
	s_waitcnt lgkmcnt(0)
	v_ashrrev_i32_e32 v128, s3, v128
	v_lshlrev_b32_e32 v128, 2, v128
	v_bfe_u32 v130, v126, 24, 2
	v_and_b32_e32 v126, 0x3030303, v126
	v_and_b32_e32 v128, 0x4040404, v128
	v_sub_u16_e32 v132, v126, v128
	v_sub_u16_sdwa v133, v126, v128 dst_sel:BYTE_1 dst_unused:UNUSED_PAD src0_sel:BYTE_1 src1_sel:BYTE_1
	v_sub_u16_sdwa v126, v126, v128 dst_sel:DWORD dst_unused:UNUSED_PAD src0_sel:WORD_1 src1_sel:WORD_1
	v_sub_u16_sdwa v128, v130, v128 dst_sel:BYTE_1 dst_unused:UNUSED_PAD src0_sel:DWORD src1_sel:BYTE_3
	v_bitop3_b16 v132, v132, v133, s23 bitop3:0xec
	v_bitop3_b16 v126, v126, v128, s23 bitop3:0xec
	v_lshlrev_b32_e32 v126, 16, v126
	v_ashrrev_i32_e32 v128, s3, v129
	v_or_b32_sdwa v130, v132, v126 dst_sel:DWORD dst_unused:UNUSED_PAD src0_sel:WORD_0 src1_sel:DWORD
	v_ashrrev_i32_e32 v126, s19, v127
	v_lshlrev_b32_e32 v128, 2, v128
	v_bfe_u32 v127, v126, 24, 2
	v_and_b32_e32 v126, 0x3030303, v126
	v_and_b32_e32 v128, 0x4040404, v128
	v_sub_u16_e32 v129, v126, v128
	v_sub_u16_sdwa v132, v126, v128 dst_sel:BYTE_1 dst_unused:UNUSED_PAD src0_sel:BYTE_1 src1_sel:BYTE_1
	v_sub_u16_sdwa v126, v126, v128 dst_sel:DWORD dst_unused:UNUSED_PAD src0_sel:WORD_1 src1_sel:WORD_1
	v_sub_u16_sdwa v127, v127, v128 dst_sel:BYTE_1 dst_unused:UNUSED_PAD src0_sel:DWORD src1_sel:BYTE_3
	v_bitop3_b16 v129, v129, v132, s23 bitop3:0xec
	v_bitop3_b16 v126, v126, v127, s23 bitop3:0xec
	v_lshlrev_b32_e32 v126, 16, v126
	v_or_b32_sdwa v132, v129, v126 dst_sel:DWORD dst_unused:UNUSED_PAD src0_sel:WORD_0 src1_sel:DWORD
	ds_read2_b32 v[126:127], v125 offset0:2 offset1:3
	ds_read2_b32 v[128:129], v131 offset0:2 offset1:3
	s_lshl_b32 s29, s33, 2
	s_addk_i32 s29, 0x7380
	s_add_i32 s2, s2, 2
	s_waitcnt lgkmcnt(1)
	v_ashrrev_i32_e32 v126, s19, v126
	s_waitcnt lgkmcnt(0)
	v_ashrrev_i32_e32 v128, s3, v128
	v_lshlrev_b32_e32 v128, 2, v128
	v_bfe_u32 v133, v126, 24, 2
	v_and_b32_e32 v126, 0x3030303, v126
	v_and_b32_e32 v128, 0x4040404, v128
	v_sub_u16_e32 v134, v126, v128
	v_sub_u16_sdwa v135, v126, v128 dst_sel:BYTE_1 dst_unused:UNUSED_PAD src0_sel:BYTE_1 src1_sel:BYTE_1
	v_sub_u16_sdwa v126, v126, v128 dst_sel:DWORD dst_unused:UNUSED_PAD src0_sel:WORD_1 src1_sel:WORD_1
	v_sub_u16_sdwa v128, v133, v128 dst_sel:BYTE_1 dst_unused:UNUSED_PAD src0_sel:DWORD src1_sel:BYTE_3
	v_bitop3_b16 v134, v134, v135, s23 bitop3:0xec
	v_bitop3_b16 v126, v126, v128, s23 bitop3:0xec
	v_lshlrev_b32_e32 v126, 16, v126
	v_ashrrev_i32_e32 v128, s3, v129
	v_or_b32_sdwa v133, v134, v126 dst_sel:DWORD dst_unused:UNUSED_PAD src0_sel:WORD_0 src1_sel:DWORD
	v_ashrrev_i32_e32 v126, s19, v127
	v_lshlrev_b32_e32 v128, 2, v128
	v_bfe_u32 v127, v126, 24, 2
	v_and_b32_e32 v126, 0x3030303, v126
	v_and_b32_e32 v128, 0x4040404, v128
	v_sub_u16_e32 v129, v126, v128
	v_sub_u16_sdwa v134, v126, v128 dst_sel:BYTE_1 dst_unused:UNUSED_PAD src0_sel:BYTE_1 src1_sel:BYTE_1
	v_sub_u16_sdwa v126, v126, v128 dst_sel:DWORD dst_unused:UNUSED_PAD src0_sel:WORD_1 src1_sel:WORD_1
	v_sub_u16_sdwa v127, v127, v128 dst_sel:BYTE_1 dst_unused:UNUSED_PAD src0_sel:DWORD src1_sel:BYTE_3
	v_bitop3_b16 v129, v129, v134, s23 bitop3:0xec
	v_bitop3_b16 v126, v126, v127, s23 bitop3:0xec
	v_lshlrev_b32_e32 v126, 16, v126
	v_or_b32_sdwa v134, v129, v126 dst_sel:DWORD dst_unused:UNUSED_PAD src0_sel:WORD_0 src1_sel:DWORD
	ds_read2_b32 v[126:127], v125 offset0:4 offset1:5
	ds_read2_b32 v[128:129], v131 offset0:4 offset1:5
	v_add_u32_e32 v123, 4, v123
	v_add_u32_e32 v121, 32, v121
	s_waitcnt lgkmcnt(1)
	v_ashrrev_i32_e32 v126, s19, v126
	s_waitcnt lgkmcnt(0)
	v_ashrrev_i32_e32 v128, s3, v128
	v_lshlrev_b32_e32 v128, 2, v128
	v_bfe_u32 v135, v126, 24, 2
	v_and_b32_e32 v126, 0x3030303, v126
	v_and_b32_e32 v128, 0x4040404, v128
	v_sub_u16_e32 v136, v126, v128
	v_sub_u16_sdwa v137, v126, v128 dst_sel:BYTE_1 dst_unused:UNUSED_PAD src0_sel:BYTE_1 src1_sel:BYTE_1
	v_sub_u16_sdwa v126, v126, v128 dst_sel:DWORD dst_unused:UNUSED_PAD src0_sel:WORD_1 src1_sel:WORD_1
	v_sub_u16_sdwa v128, v135, v128 dst_sel:BYTE_1 dst_unused:UNUSED_PAD src0_sel:DWORD src1_sel:BYTE_3
	v_bitop3_b16 v136, v136, v137, s23 bitop3:0xec
	v_bitop3_b16 v126, v126, v128, s23 bitop3:0xec
	v_lshlrev_b32_e32 v126, 16, v126
	v_ashrrev_i32_e32 v128, s3, v129
	v_or_b32_sdwa v135, v136, v126 dst_sel:DWORD dst_unused:UNUSED_PAD src0_sel:WORD_0 src1_sel:DWORD
	v_ashrrev_i32_e32 v126, s19, v127
	v_lshlrev_b32_e32 v128, 2, v128
	v_bfe_u32 v127, v126, 24, 2
	v_and_b32_e32 v126, 0x3030303, v126
	v_and_b32_e32 v128, 0x4040404, v128
	v_sub_u16_e32 v129, v126, v128
	v_sub_u16_sdwa v136, v126, v128 dst_sel:BYTE_1 dst_unused:UNUSED_PAD src0_sel:BYTE_1 src1_sel:BYTE_1
	v_sub_u16_sdwa v126, v126, v128 dst_sel:DWORD dst_unused:UNUSED_PAD src0_sel:WORD_1 src1_sel:WORD_1
	v_sub_u16_sdwa v127, v127, v128 dst_sel:BYTE_1 dst_unused:UNUSED_PAD src0_sel:DWORD src1_sel:BYTE_3
	v_bitop3_b16 v129, v129, v136, s23 bitop3:0xec
	v_bitop3_b16 v126, v126, v127, s23 bitop3:0xec
	v_lshlrev_b32_e32 v126, 16, v126
	v_or_b32_sdwa v136, v129, v126 dst_sel:DWORD dst_unused:UNUSED_PAD src0_sel:WORD_0 src1_sel:DWORD
	ds_read2_b32 v[126:127], v125 offset0:6 offset1:7
	ds_read2_b32 v[128:129], v131 offset0:6 offset1:7
	s_waitcnt lgkmcnt(1)
	v_ashrrev_i32_e32 v126, s19, v126
	s_waitcnt lgkmcnt(0)
	v_ashrrev_i32_e32 v128, s3, v128
	v_lshlrev_b32_e32 v128, 2, v128
	v_bfe_u32 v137, v126, 24, 2
	v_and_b32_e32 v126, 0x3030303, v126
	v_and_b32_e32 v128, 0x4040404, v128
	v_sub_u16_e32 v131, v126, v128
	v_sub_u16_sdwa v138, v126, v128 dst_sel:BYTE_1 dst_unused:UNUSED_PAD src0_sel:BYTE_1 src1_sel:BYTE_1
	v_sub_u16_sdwa v126, v126, v128 dst_sel:DWORD dst_unused:UNUSED_PAD src0_sel:WORD_1 src1_sel:WORD_1
	v_sub_u16_sdwa v128, v137, v128 dst_sel:BYTE_1 dst_unused:UNUSED_PAD src0_sel:DWORD src1_sel:BYTE_3
	v_bitop3_b16 v131, v131, v138, s23 bitop3:0xec
	v_bitop3_b16 v126, v126, v128, s23 bitop3:0xec
	v_lshlrev_b32_e32 v126, 16, v126
	v_ashrrev_i32_e32 v129, s3, v129
	v_or_b32_sdwa v128, v131, v126 dst_sel:DWORD dst_unused:UNUSED_PAD src0_sel:WORD_0 src1_sel:DWORD
	v_ashrrev_i32_e32 v126, s19, v127
	v_lshlrev_b32_e32 v129, 2, v129
	v_bfe_u32 v127, v126, 24, 2
	v_and_b32_e32 v126, 0x3030303, v126
	v_and_b32_e32 v129, 0x4040404, v129
	v_sub_u16_e32 v131, v126, v129
	v_sub_u16_sdwa v137, v126, v129 dst_sel:BYTE_1 dst_unused:UNUSED_PAD src0_sel:BYTE_1 src1_sel:BYTE_1
	v_sub_u16_sdwa v126, v126, v129 dst_sel:DWORD dst_unused:UNUSED_PAD src0_sel:WORD_1 src1_sel:WORD_1
	v_sub_u16_sdwa v127, v127, v129 dst_sel:BYTE_1 dst_unused:UNUSED_PAD src0_sel:DWORD src1_sel:BYTE_3
	v_bitop3_b16 v131, v131, v137, s23 bitop3:0xec
	v_bitop3_b16 v126, v126, v127, s23 bitop3:0xec
	v_lshlrev_b32_e32 v126, 16, v126
	v_or_b32_sdwa v127, v131, v126 dst_sel:DWORD dst_unused:UNUSED_PAD src0_sel:WORD_0 src1_sel:DWORD
	v_mov_b32_e32 v131, 0
	v_dot4c_i32_i8_e32 v131, v130, v6
	v_dot4c_i32_i8_e32 v131, v132, v7
	;; [unrolled: 1-line block ×4, first 2 shown]
	v_mov_b32_e32 v134, 0
	v_dot4c_i32_i8_e32 v134, v135, v2
	v_dot4c_i32_i8_e32 v134, v136, v3
	v_add_u32_e32 v129, s30, v25
	v_dot4c_i32_i8_e32 v134, v128, v4
	v_dot4c_i32_i8_e32 v134, v127, v5
	ds_read_u16 v127, v129 offset:25330
	v_add3_u32 v126, s29, v119, v87
	v_add3_u32 v135, s31, v89, v91
	ds_read_b32 v126, v126
	ds_read2_b32 v[132:133], v135 offset1:1
	s_waitcnt lgkmcnt(2)
	v_lshrrev_b16_e32 v128, 8, v127
	v_bfe_i32 v127, v127, 0, 8
	v_bfe_i32 v129, v128, 0, 8
	v_mul_lo_u32 v128, v131, v127
	v_add_u32_e32 v127, 0x1080, v125
	ds_read2_b32 v[130:131], v127 offset1:1
	s_waitcnt lgkmcnt(1)
	v_ashrrev_i32_e32 v132, s3, v132
	v_lshlrev_b32_e32 v132, 2, v132
	v_and_b32_e32 v132, 0x4040404, v132
	v_mad_u64_u32 v[128:129], s[34:35], v134, v129, v[128:129]
	s_waitcnt lgkmcnt(0)
	v_ashrrev_i32_e32 v127, s19, v130
	v_bfe_u32 v130, v127, 24, 2
	v_and_b32_e32 v127, 0x3030303, v127
	v_sub_u16_e32 v136, v127, v132
	v_sub_u16_sdwa v137, v127, v132 dst_sel:BYTE_1 dst_unused:UNUSED_PAD src0_sel:BYTE_1 src1_sel:BYTE_1
	v_sub_u16_sdwa v127, v127, v132 dst_sel:DWORD dst_unused:UNUSED_PAD src0_sel:WORD_1 src1_sel:WORD_1
	v_sub_u16_sdwa v130, v130, v132 dst_sel:BYTE_1 dst_unused:UNUSED_PAD src0_sel:DWORD src1_sel:BYTE_3
	v_bitop3_b16 v136, v136, v137, s23 bitop3:0xec
	v_bitop3_b16 v127, v127, v130, s23 bitop3:0xec
	v_lshlrev_b32_e32 v127, 16, v127
	v_or_b32_sdwa v136, v136, v127 dst_sel:DWORD dst_unused:UNUSED_PAD src0_sel:WORD_0 src1_sel:DWORD
	v_ashrrev_i32_e32 v127, s19, v131
	v_ashrrev_i32_e32 v131, s3, v133
	v_lshlrev_b32_e32 v131, 2, v131
	v_bfe_u32 v130, v127, 24, 2
	v_and_b32_e32 v127, 0x3030303, v127
	v_and_b32_e32 v131, 0x4040404, v131
	v_sub_u16_e32 v132, v127, v131
	v_sub_u16_sdwa v133, v127, v131 dst_sel:BYTE_1 dst_unused:UNUSED_PAD src0_sel:BYTE_1 src1_sel:BYTE_1
	v_sub_u16_sdwa v127, v127, v131 dst_sel:DWORD dst_unused:UNUSED_PAD src0_sel:WORD_1 src1_sel:WORD_1
	v_sub_u16_sdwa v130, v130, v131 dst_sel:BYTE_1 dst_unused:UNUSED_PAD src0_sel:DWORD src1_sel:BYTE_3
	v_bitop3_b16 v132, v132, v133, s23 bitop3:0xec
	v_bitop3_b16 v127, v127, v130, s23 bitop3:0xec
	v_lshlrev_b32_e32 v127, 16, v127
	v_or_b32_sdwa v137, v132, v127 dst_sel:DWORD dst_unused:UNUSED_PAD src0_sel:WORD_0 src1_sel:DWORD
	v_add_u32_e32 v127, 0x1088, v125
	ds_read2_b32 v[130:131], v127 offset1:1
	ds_read2_b32 v[132:133], v135 offset0:2 offset1:3
	v_cvt_f32_i32_e32 v128, v128
	s_waitcnt lgkmcnt(1)
	v_ashrrev_i32_e32 v127, s19, v130
	s_waitcnt lgkmcnt(0)
	v_ashrrev_i32_e32 v132, s3, v132
	v_lshlrev_b32_e32 v132, 2, v132
	v_bfe_u32 v130, v127, 24, 2
	v_and_b32_e32 v127, 0x3030303, v127
	v_and_b32_e32 v132, 0x4040404, v132
	v_sub_u16_e32 v138, v127, v132
	v_sub_u16_sdwa v139, v127, v132 dst_sel:BYTE_1 dst_unused:UNUSED_PAD src0_sel:BYTE_1 src1_sel:BYTE_1
	v_sub_u16_sdwa v127, v127, v132 dst_sel:DWORD dst_unused:UNUSED_PAD src0_sel:WORD_1 src1_sel:WORD_1
	v_sub_u16_sdwa v130, v130, v132 dst_sel:BYTE_1 dst_unused:UNUSED_PAD src0_sel:DWORD src1_sel:BYTE_3
	v_bitop3_b16 v138, v138, v139, s23 bitop3:0xec
	v_bitop3_b16 v127, v127, v130, s23 bitop3:0xec
	v_lshlrev_b32_e32 v127, 16, v127
	v_or_b32_sdwa v138, v138, v127 dst_sel:DWORD dst_unused:UNUSED_PAD src0_sel:WORD_0 src1_sel:DWORD
	v_ashrrev_i32_e32 v127, s19, v131
	v_ashrrev_i32_e32 v131, s3, v133
	v_lshlrev_b32_e32 v131, 2, v131
	v_bfe_u32 v130, v127, 24, 2
	v_and_b32_e32 v127, 0x3030303, v127
	v_and_b32_e32 v131, 0x4040404, v131
	v_sub_u16_e32 v132, v127, v131
	v_sub_u16_sdwa v133, v127, v131 dst_sel:BYTE_1 dst_unused:UNUSED_PAD src0_sel:BYTE_1 src1_sel:BYTE_1
	v_sub_u16_sdwa v127, v127, v131 dst_sel:DWORD dst_unused:UNUSED_PAD src0_sel:WORD_1 src1_sel:WORD_1
	v_sub_u16_sdwa v130, v130, v131 dst_sel:BYTE_1 dst_unused:UNUSED_PAD src0_sel:DWORD src1_sel:BYTE_3
	v_bitop3_b16 v132, v132, v133, s23 bitop3:0xec
	v_bitop3_b16 v127, v127, v130, s23 bitop3:0xec
	v_lshlrev_b32_e32 v127, 16, v127
	v_or_b32_sdwa v139, v132, v127 dst_sel:DWORD dst_unused:UNUSED_PAD src0_sel:WORD_0 src1_sel:DWORD
	v_add_u32_e32 v127, 0x1090, v125
	ds_read2_b32 v[130:131], v127 offset1:1
	ds_read2_b32 v[132:133], v135 offset0:4 offset1:5
	s_waitcnt lgkmcnt(1)
	v_ashrrev_i32_e32 v127, s19, v130
	s_waitcnt lgkmcnt(0)
	v_ashrrev_i32_e32 v132, s3, v132
	v_lshlrev_b32_e32 v132, 2, v132
	v_bfe_u32 v130, v127, 24, 2
	v_and_b32_e32 v127, 0x3030303, v127
	v_and_b32_e32 v132, 0x4040404, v132
	v_sub_u16_e32 v140, v127, v132
	v_sub_u16_sdwa v141, v127, v132 dst_sel:BYTE_1 dst_unused:UNUSED_PAD src0_sel:BYTE_1 src1_sel:BYTE_1
	v_sub_u16_sdwa v127, v127, v132 dst_sel:DWORD dst_unused:UNUSED_PAD src0_sel:WORD_1 src1_sel:WORD_1
	v_sub_u16_sdwa v130, v130, v132 dst_sel:BYTE_1 dst_unused:UNUSED_PAD src0_sel:DWORD src1_sel:BYTE_3
	v_bitop3_b16 v140, v140, v141, s23 bitop3:0xec
	v_bitop3_b16 v127, v127, v130, s23 bitop3:0xec
	v_lshlrev_b32_e32 v127, 16, v127
	v_or_b32_sdwa v140, v140, v127 dst_sel:DWORD dst_unused:UNUSED_PAD src0_sel:WORD_0 src1_sel:DWORD
	v_ashrrev_i32_e32 v127, s19, v131
	v_ashrrev_i32_e32 v131, s3, v133
	v_lshlrev_b32_e32 v131, 2, v131
	v_bfe_u32 v130, v127, 24, 2
	v_and_b32_e32 v127, 0x3030303, v127
	v_and_b32_e32 v131, 0x4040404, v131
	v_sub_u16_e32 v132, v127, v131
	v_sub_u16_sdwa v133, v127, v131 dst_sel:BYTE_1 dst_unused:UNUSED_PAD src0_sel:BYTE_1 src1_sel:BYTE_1
	v_sub_u16_sdwa v127, v127, v131 dst_sel:DWORD dst_unused:UNUSED_PAD src0_sel:WORD_1 src1_sel:WORD_1
	v_sub_u16_sdwa v130, v130, v131 dst_sel:BYTE_1 dst_unused:UNUSED_PAD src0_sel:DWORD src1_sel:BYTE_3
	v_bitop3_b16 v132, v132, v133, s23 bitop3:0xec
	v_bitop3_b16 v127, v127, v130, s23 bitop3:0xec
	v_lshlrev_b32_e32 v127, 16, v127
	v_or_b32_sdwa v141, v132, v127 dst_sel:DWORD dst_unused:UNUSED_PAD src0_sel:WORD_0 src1_sel:DWORD
	v_add_u32_e32 v127, 0x1098, v125
	ds_read2_b32 v[130:131], v127 offset1:1
	ds_read2_b32 v[132:133], v135 offset0:6 offset1:7
	s_waitcnt lgkmcnt(1)
	v_ashrrev_i32_e32 v127, s19, v130
	s_waitcnt lgkmcnt(0)
	v_ashrrev_i32_e32 v132, s3, v132
	v_lshlrev_b32_e32 v132, 2, v132
	v_bfe_u32 v130, v127, 24, 2
	v_and_b32_e32 v127, 0x3030303, v127
	v_and_b32_e32 v132, 0x4040404, v132
	v_sub_u16_e32 v135, v127, v132
	v_sub_u16_sdwa v142, v127, v132 dst_sel:BYTE_1 dst_unused:UNUSED_PAD src0_sel:BYTE_1 src1_sel:BYTE_1
	v_sub_u16_sdwa v127, v127, v132 dst_sel:DWORD dst_unused:UNUSED_PAD src0_sel:WORD_1 src1_sel:WORD_1
	v_sub_u16_sdwa v130, v130, v132 dst_sel:BYTE_1 dst_unused:UNUSED_PAD src0_sel:DWORD src1_sel:BYTE_3
	v_bitop3_b16 v135, v135, v142, s23 bitop3:0xec
	v_bitop3_b16 v127, v127, v130, s23 bitop3:0xec
	v_lshlrev_b32_e32 v127, 16, v127
	v_or_b32_sdwa v132, v135, v127 dst_sel:DWORD dst_unused:UNUSED_PAD src0_sel:WORD_0 src1_sel:DWORD
	v_ashrrev_i32_e32 v127, s19, v131
	v_ashrrev_i32_e32 v131, s3, v133
	v_lshlrev_b32_e32 v131, 2, v131
	v_bfe_u32 v130, v127, 24, 2
	v_and_b32_e32 v127, 0x3030303, v127
	v_and_b32_e32 v131, 0x4040404, v131
	v_sub_u16_e32 v133, v127, v131
	v_sub_u16_sdwa v135, v127, v131 dst_sel:BYTE_1 dst_unused:UNUSED_PAD src0_sel:BYTE_1 src1_sel:BYTE_1
	v_sub_u16_sdwa v127, v127, v131 dst_sel:DWORD dst_unused:UNUSED_PAD src0_sel:WORD_1 src1_sel:WORD_1
	v_sub_u16_sdwa v130, v130, v131 dst_sel:BYTE_1 dst_unused:UNUSED_PAD src0_sel:DWORD src1_sel:BYTE_3
	v_bitop3_b16 v133, v133, v135, s23 bitop3:0xec
	v_bitop3_b16 v127, v127, v130, s23 bitop3:0xec
	v_lshlrev_b32_e32 v127, 16, v127
	v_or_b32_sdwa v131, v133, v127 dst_sel:DWORD dst_unused:UNUSED_PAD src0_sel:WORD_0 src1_sel:DWORD
	v_add_u32_e32 v130, s30, v23
	v_add3_u32 v127, s29, v93, v95
	ds_read_b32 v127, v127
	ds_read_u16 v130, v130 offset:26354
	v_mov_b32_e32 v133, 0
	v_dot4c_i32_i8_e32 v133, v136, v6
	v_dot4c_i32_i8_e32 v133, v137, v7
	;; [unrolled: 1-line block ×4, first 2 shown]
	s_waitcnt lgkmcnt(0)
	v_lshrrev_b16_e32 v135, 8, v130
	v_bfe_i32 v130, v130, 0, 8
	v_pk_mul_f32 v[126:127], v[124:125], v[126:127] op_sel_hi:[0,1]
	v_mul_lo_u32 v130, v133, v130
	v_mov_b32_e32 v133, 0
	v_dot4c_i32_i8_e32 v133, v140, v2
	v_dot4c_i32_i8_e32 v133, v141, v3
	;; [unrolled: 1-line block ×4, first 2 shown]
	v_bfe_i32 v131, v135, 0, 8
	s_nop 1
	v_mad_u64_u32 v[130:131], s[34:35], v133, v131, v[130:131]
	v_cvt_f32_i32_e32 v129, v130
	v_add3_u32 v131, s31, v97, v99
	v_pk_fma_f32 v[44:45], v[126:127], v[128:129], v[44:45]
	v_add_u32_e32 v126, 0x2100, v125
	ds_read2_b32 v[126:127], v126 offset1:1
	ds_read2_b32 v[128:129], v131 offset1:1
	s_waitcnt lgkmcnt(1)
	v_ashrrev_i32_e32 v126, s19, v126
	s_waitcnt lgkmcnt(0)
	v_ashrrev_i32_e32 v128, s3, v128
	v_lshlrev_b32_e32 v128, 2, v128
	v_bfe_u32 v130, v126, 24, 2
	v_and_b32_e32 v126, 0x3030303, v126
	v_and_b32_e32 v128, 0x4040404, v128
	v_sub_u16_e32 v132, v126, v128
	v_sub_u16_sdwa v133, v126, v128 dst_sel:BYTE_1 dst_unused:UNUSED_PAD src0_sel:BYTE_1 src1_sel:BYTE_1
	v_sub_u16_sdwa v126, v126, v128 dst_sel:DWORD dst_unused:UNUSED_PAD src0_sel:WORD_1 src1_sel:WORD_1
	v_sub_u16_sdwa v128, v130, v128 dst_sel:BYTE_1 dst_unused:UNUSED_PAD src0_sel:DWORD src1_sel:BYTE_3
	v_bitop3_b16 v132, v132, v133, s23 bitop3:0xec
	v_bitop3_b16 v126, v126, v128, s23 bitop3:0xec
	v_lshlrev_b32_e32 v126, 16, v126
	v_ashrrev_i32_e32 v128, s3, v129
	v_or_b32_sdwa v130, v132, v126 dst_sel:DWORD dst_unused:UNUSED_PAD src0_sel:WORD_0 src1_sel:DWORD
	v_ashrrev_i32_e32 v126, s19, v127
	v_lshlrev_b32_e32 v128, 2, v128
	v_bfe_u32 v127, v126, 24, 2
	v_and_b32_e32 v126, 0x3030303, v126
	v_and_b32_e32 v128, 0x4040404, v128
	v_sub_u16_e32 v129, v126, v128
	v_sub_u16_sdwa v132, v126, v128 dst_sel:BYTE_1 dst_unused:UNUSED_PAD src0_sel:BYTE_1 src1_sel:BYTE_1
	v_sub_u16_sdwa v126, v126, v128 dst_sel:DWORD dst_unused:UNUSED_PAD src0_sel:WORD_1 src1_sel:WORD_1
	v_sub_u16_sdwa v127, v127, v128 dst_sel:BYTE_1 dst_unused:UNUSED_PAD src0_sel:DWORD src1_sel:BYTE_3
	v_bitop3_b16 v129, v129, v132, s23 bitop3:0xec
	v_bitop3_b16 v126, v126, v127, s23 bitop3:0xec
	v_lshlrev_b32_e32 v126, 16, v126
	v_or_b32_sdwa v132, v129, v126 dst_sel:DWORD dst_unused:UNUSED_PAD src0_sel:WORD_0 src1_sel:DWORD
	v_add_u32_e32 v126, 0x2108, v125
	ds_read2_b32 v[126:127], v126 offset1:1
	ds_read2_b32 v[128:129], v131 offset0:2 offset1:3
	s_waitcnt lgkmcnt(1)
	v_ashrrev_i32_e32 v126, s19, v126
	s_waitcnt lgkmcnt(0)
	v_ashrrev_i32_e32 v128, s3, v128
	v_lshlrev_b32_e32 v128, 2, v128
	v_bfe_u32 v133, v126, 24, 2
	v_and_b32_e32 v126, 0x3030303, v126
	v_and_b32_e32 v128, 0x4040404, v128
	v_sub_u16_e32 v134, v126, v128
	v_sub_u16_sdwa v135, v126, v128 dst_sel:BYTE_1 dst_unused:UNUSED_PAD src0_sel:BYTE_1 src1_sel:BYTE_1
	v_sub_u16_sdwa v126, v126, v128 dst_sel:DWORD dst_unused:UNUSED_PAD src0_sel:WORD_1 src1_sel:WORD_1
	v_sub_u16_sdwa v128, v133, v128 dst_sel:BYTE_1 dst_unused:UNUSED_PAD src0_sel:DWORD src1_sel:BYTE_3
	v_bitop3_b16 v134, v134, v135, s23 bitop3:0xec
	v_bitop3_b16 v126, v126, v128, s23 bitop3:0xec
	v_lshlrev_b32_e32 v126, 16, v126
	v_ashrrev_i32_e32 v128, s3, v129
	v_or_b32_sdwa v133, v134, v126 dst_sel:DWORD dst_unused:UNUSED_PAD src0_sel:WORD_0 src1_sel:DWORD
	v_ashrrev_i32_e32 v126, s19, v127
	v_lshlrev_b32_e32 v128, 2, v128
	v_bfe_u32 v127, v126, 24, 2
	v_and_b32_e32 v126, 0x3030303, v126
	v_and_b32_e32 v128, 0x4040404, v128
	v_sub_u16_e32 v129, v126, v128
	v_sub_u16_sdwa v134, v126, v128 dst_sel:BYTE_1 dst_unused:UNUSED_PAD src0_sel:BYTE_1 src1_sel:BYTE_1
	v_sub_u16_sdwa v126, v126, v128 dst_sel:DWORD dst_unused:UNUSED_PAD src0_sel:WORD_1 src1_sel:WORD_1
	v_sub_u16_sdwa v127, v127, v128 dst_sel:BYTE_1 dst_unused:UNUSED_PAD src0_sel:DWORD src1_sel:BYTE_3
	v_bitop3_b16 v129, v129, v134, s23 bitop3:0xec
	v_bitop3_b16 v126, v126, v127, s23 bitop3:0xec
	v_lshlrev_b32_e32 v126, 16, v126
	v_or_b32_sdwa v134, v129, v126 dst_sel:DWORD dst_unused:UNUSED_PAD src0_sel:WORD_0 src1_sel:DWORD
	v_add_u32_e32 v126, 0x2110, v125
	ds_read2_b32 v[126:127], v126 offset1:1
	ds_read2_b32 v[128:129], v131 offset0:4 offset1:5
	s_waitcnt lgkmcnt(1)
	v_ashrrev_i32_e32 v126, s19, v126
	s_waitcnt lgkmcnt(0)
	v_ashrrev_i32_e32 v128, s3, v128
	v_lshlrev_b32_e32 v128, 2, v128
	v_bfe_u32 v135, v126, 24, 2
	v_and_b32_e32 v126, 0x3030303, v126
	v_and_b32_e32 v128, 0x4040404, v128
	v_sub_u16_e32 v136, v126, v128
	v_sub_u16_sdwa v137, v126, v128 dst_sel:BYTE_1 dst_unused:UNUSED_PAD src0_sel:BYTE_1 src1_sel:BYTE_1
	v_sub_u16_sdwa v126, v126, v128 dst_sel:DWORD dst_unused:UNUSED_PAD src0_sel:WORD_1 src1_sel:WORD_1
	v_sub_u16_sdwa v128, v135, v128 dst_sel:BYTE_1 dst_unused:UNUSED_PAD src0_sel:DWORD src1_sel:BYTE_3
	v_bitop3_b16 v136, v136, v137, s23 bitop3:0xec
	v_bitop3_b16 v126, v126, v128, s23 bitop3:0xec
	v_lshlrev_b32_e32 v126, 16, v126
	v_ashrrev_i32_e32 v128, s3, v129
	v_or_b32_sdwa v135, v136, v126 dst_sel:DWORD dst_unused:UNUSED_PAD src0_sel:WORD_0 src1_sel:DWORD
	v_ashrrev_i32_e32 v126, s19, v127
	v_lshlrev_b32_e32 v128, 2, v128
	v_bfe_u32 v127, v126, 24, 2
	v_and_b32_e32 v126, 0x3030303, v126
	v_and_b32_e32 v128, 0x4040404, v128
	v_sub_u16_e32 v129, v126, v128
	v_sub_u16_sdwa v136, v126, v128 dst_sel:BYTE_1 dst_unused:UNUSED_PAD src0_sel:BYTE_1 src1_sel:BYTE_1
	v_sub_u16_sdwa v126, v126, v128 dst_sel:DWORD dst_unused:UNUSED_PAD src0_sel:WORD_1 src1_sel:WORD_1
	v_sub_u16_sdwa v127, v127, v128 dst_sel:BYTE_1 dst_unused:UNUSED_PAD src0_sel:DWORD src1_sel:BYTE_3
	v_bitop3_b16 v129, v129, v136, s23 bitop3:0xec
	v_bitop3_b16 v126, v126, v127, s23 bitop3:0xec
	v_lshlrev_b32_e32 v126, 16, v126
	v_or_b32_sdwa v136, v129, v126 dst_sel:DWORD dst_unused:UNUSED_PAD src0_sel:WORD_0 src1_sel:DWORD
	v_add_u32_e32 v126, 0x2118, v125
	ds_read2_b32 v[126:127], v126 offset1:1
	ds_read2_b32 v[128:129], v131 offset0:6 offset1:7
	s_waitcnt lgkmcnt(1)
	v_ashrrev_i32_e32 v126, s19, v126
	s_waitcnt lgkmcnt(0)
	v_ashrrev_i32_e32 v128, s3, v128
	v_lshlrev_b32_e32 v128, 2, v128
	v_bfe_u32 v137, v126, 24, 2
	v_and_b32_e32 v126, 0x3030303, v126
	v_and_b32_e32 v128, 0x4040404, v128
	v_sub_u16_e32 v131, v126, v128
	v_sub_u16_sdwa v138, v126, v128 dst_sel:BYTE_1 dst_unused:UNUSED_PAD src0_sel:BYTE_1 src1_sel:BYTE_1
	v_sub_u16_sdwa v126, v126, v128 dst_sel:DWORD dst_unused:UNUSED_PAD src0_sel:WORD_1 src1_sel:WORD_1
	v_sub_u16_sdwa v128, v137, v128 dst_sel:BYTE_1 dst_unused:UNUSED_PAD src0_sel:DWORD src1_sel:BYTE_3
	v_bitop3_b16 v131, v131, v138, s23 bitop3:0xec
	v_bitop3_b16 v126, v126, v128, s23 bitop3:0xec
	v_lshlrev_b32_e32 v126, 16, v126
	v_ashrrev_i32_e32 v129, s3, v129
	v_or_b32_sdwa v128, v131, v126 dst_sel:DWORD dst_unused:UNUSED_PAD src0_sel:WORD_0 src1_sel:DWORD
	v_ashrrev_i32_e32 v126, s19, v127
	v_lshlrev_b32_e32 v129, 2, v129
	v_bfe_u32 v127, v126, 24, 2
	v_and_b32_e32 v126, 0x3030303, v126
	v_and_b32_e32 v129, 0x4040404, v129
	v_sub_u16_e32 v131, v126, v129
	v_sub_u16_sdwa v137, v126, v129 dst_sel:BYTE_1 dst_unused:UNUSED_PAD src0_sel:BYTE_1 src1_sel:BYTE_1
	v_sub_u16_sdwa v126, v126, v129 dst_sel:DWORD dst_unused:UNUSED_PAD src0_sel:WORD_1 src1_sel:WORD_1
	v_sub_u16_sdwa v127, v127, v129 dst_sel:BYTE_1 dst_unused:UNUSED_PAD src0_sel:DWORD src1_sel:BYTE_3
	v_mov_b32_e32 v129, 0
	v_bitop3_b16 v126, v126, v127, s23 bitop3:0xec
	v_dot4c_i32_i8_e32 v129, v135, v2
	v_bitop3_b16 v131, v131, v137, s23 bitop3:0xec
	v_lshlrev_b32_e32 v126, 16, v126
	v_dot4c_i32_i8_e32 v129, v136, v3
	v_or_b32_sdwa v127, v131, v126 dst_sel:DWORD dst_unused:UNUSED_PAD src0_sel:WORD_0 src1_sel:DWORD
	v_add_u32_e32 v131, s30, v21
	v_dot4c_i32_i8_e32 v129, v128, v4
	v_dot4c_i32_i8_e32 v129, v127, v5
	ds_read_u16 v127, v131 offset:27378
	v_mov_b32_e32 v137, 0
	v_dot4c_i32_i8_e32 v137, v130, v6
	v_dot4c_i32_i8_e32 v137, v132, v7
	;; [unrolled: 1-line block ×4, first 2 shown]
	s_waitcnt lgkmcnt(0)
	v_lshrrev_b16_e32 v128, 8, v127
	v_bfe_i32 v127, v127, 0, 8
	v_add3_u32 v126, s29, v101, v103
	v_bfe_i32 v130, v128, 0, 8
	v_mul_lo_u32 v128, v137, v127
	v_add_u32_e32 v127, 0x3180, v125
	v_add3_u32 v136, s31, v105, v107
	ds_read_b32 v126, v126
	ds_read2_b32 v[132:133], v127 offset1:1
	ds_read2_b32 v[134:135], v136 offset1:1
	s_waitcnt lgkmcnt(1)
	v_ashrrev_i32_e32 v127, s19, v132
	s_waitcnt lgkmcnt(0)
	v_ashrrev_i32_e32 v132, s3, v134
	v_lshlrev_b32_e32 v132, 2, v132
	v_bfe_u32 v131, v127, 24, 2
	v_and_b32_e32 v127, 0x3030303, v127
	v_and_b32_e32 v132, 0x4040404, v132
	v_sub_u16_e32 v134, v127, v132
	v_sub_u16_sdwa v137, v127, v132 dst_sel:BYTE_1 dst_unused:UNUSED_PAD src0_sel:BYTE_1 src1_sel:BYTE_1
	v_sub_u16_sdwa v127, v127, v132 dst_sel:DWORD dst_unused:UNUSED_PAD src0_sel:WORD_1 src1_sel:WORD_1
	v_sub_u16_sdwa v131, v131, v132 dst_sel:BYTE_1 dst_unused:UNUSED_PAD src0_sel:DWORD src1_sel:BYTE_3
	v_bitop3_b16 v134, v134, v137, s23 bitop3:0xec
	v_bitop3_b16 v127, v127, v131, s23 bitop3:0xec
	v_lshlrev_b32_e32 v127, 16, v127
	v_or_b32_sdwa v131, v134, v127 dst_sel:DWORD dst_unused:UNUSED_PAD src0_sel:WORD_0 src1_sel:DWORD
	v_ashrrev_i32_e32 v127, s19, v133
	v_ashrrev_i32_e32 v133, s3, v135
	v_lshlrev_b32_e32 v133, 2, v133
	v_bfe_u32 v132, v127, 24, 2
	v_and_b32_e32 v127, 0x3030303, v127
	v_and_b32_e32 v133, 0x4040404, v133
	v_sub_u16_e32 v134, v127, v133
	v_sub_u16_sdwa v135, v127, v133 dst_sel:BYTE_1 dst_unused:UNUSED_PAD src0_sel:BYTE_1 src1_sel:BYTE_1
	v_sub_u16_sdwa v127, v127, v133 dst_sel:DWORD dst_unused:UNUSED_PAD src0_sel:WORD_1 src1_sel:WORD_1
	v_sub_u16_sdwa v132, v132, v133 dst_sel:BYTE_1 dst_unused:UNUSED_PAD src0_sel:DWORD src1_sel:BYTE_3
	v_bitop3_b16 v134, v134, v135, s23 bitop3:0xec
	v_bitop3_b16 v127, v127, v132, s23 bitop3:0xec
	v_lshlrev_b32_e32 v127, 16, v127
	v_or_b32_sdwa v137, v134, v127 dst_sel:DWORD dst_unused:UNUSED_PAD src0_sel:WORD_0 src1_sel:DWORD
	v_add_u32_e32 v127, 0x3188, v125
	ds_read2_b32 v[132:133], v127 offset1:1
	ds_read2_b32 v[134:135], v136 offset0:2 offset1:3
	s_waitcnt lgkmcnt(1)
	v_ashrrev_i32_e32 v127, s19, v132
	s_waitcnt lgkmcnt(0)
	v_ashrrev_i32_e32 v134, s3, v134
	v_lshlrev_b32_e32 v134, 2, v134
	v_bfe_u32 v132, v127, 24, 2
	v_and_b32_e32 v127, 0x3030303, v127
	v_and_b32_e32 v134, 0x4040404, v134
	v_sub_u16_e32 v138, v127, v134
	v_sub_u16_sdwa v139, v127, v134 dst_sel:BYTE_1 dst_unused:UNUSED_PAD src0_sel:BYTE_1 src1_sel:BYTE_1
	v_sub_u16_sdwa v127, v127, v134 dst_sel:DWORD dst_unused:UNUSED_PAD src0_sel:WORD_1 src1_sel:WORD_1
	v_sub_u16_sdwa v132, v132, v134 dst_sel:BYTE_1 dst_unused:UNUSED_PAD src0_sel:DWORD src1_sel:BYTE_3
	v_bitop3_b16 v138, v138, v139, s23 bitop3:0xec
	v_bitop3_b16 v127, v127, v132, s23 bitop3:0xec
	v_lshlrev_b32_e32 v127, 16, v127
	v_or_b32_sdwa v138, v138, v127 dst_sel:DWORD dst_unused:UNUSED_PAD src0_sel:WORD_0 src1_sel:DWORD
	v_ashrrev_i32_e32 v127, s19, v133
	v_ashrrev_i32_e32 v133, s3, v135
	v_lshlrev_b32_e32 v133, 2, v133
	v_bfe_u32 v132, v127, 24, 2
	v_and_b32_e32 v127, 0x3030303, v127
	v_and_b32_e32 v133, 0x4040404, v133
	v_sub_u16_e32 v134, v127, v133
	v_sub_u16_sdwa v135, v127, v133 dst_sel:BYTE_1 dst_unused:UNUSED_PAD src0_sel:BYTE_1 src1_sel:BYTE_1
	v_sub_u16_sdwa v127, v127, v133 dst_sel:DWORD dst_unused:UNUSED_PAD src0_sel:WORD_1 src1_sel:WORD_1
	v_sub_u16_sdwa v132, v132, v133 dst_sel:BYTE_1 dst_unused:UNUSED_PAD src0_sel:DWORD src1_sel:BYTE_3
	v_bitop3_b16 v134, v134, v135, s23 bitop3:0xec
	v_bitop3_b16 v127, v127, v132, s23 bitop3:0xec
	v_lshlrev_b32_e32 v127, 16, v127
	v_or_b32_sdwa v139, v134, v127 dst_sel:DWORD dst_unused:UNUSED_PAD src0_sel:WORD_0 src1_sel:DWORD
	v_add_u32_e32 v127, 0x3190, v125
	ds_read2_b32 v[132:133], v127 offset1:1
	ds_read2_b32 v[134:135], v136 offset0:4 offset1:5
	v_add_u32_e32 v125, 0x3198, v125
	s_waitcnt lgkmcnt(1)
	v_ashrrev_i32_e32 v127, s19, v132
	s_waitcnt lgkmcnt(0)
	v_ashrrev_i32_e32 v134, s3, v134
	v_lshlrev_b32_e32 v134, 2, v134
	v_bfe_u32 v132, v127, 24, 2
	v_and_b32_e32 v127, 0x3030303, v127
	v_and_b32_e32 v134, 0x4040404, v134
	v_sub_u16_e32 v140, v127, v134
	v_sub_u16_sdwa v141, v127, v134 dst_sel:BYTE_1 dst_unused:UNUSED_PAD src0_sel:BYTE_1 src1_sel:BYTE_1
	v_sub_u16_sdwa v127, v127, v134 dst_sel:DWORD dst_unused:UNUSED_PAD src0_sel:WORD_1 src1_sel:WORD_1
	v_sub_u16_sdwa v132, v132, v134 dst_sel:BYTE_1 dst_unused:UNUSED_PAD src0_sel:DWORD src1_sel:BYTE_3
	v_bitop3_b16 v140, v140, v141, s23 bitop3:0xec
	v_bitop3_b16 v127, v127, v132, s23 bitop3:0xec
	v_lshlrev_b32_e32 v127, 16, v127
	v_or_b32_sdwa v140, v140, v127 dst_sel:DWORD dst_unused:UNUSED_PAD src0_sel:WORD_0 src1_sel:DWORD
	v_ashrrev_i32_e32 v127, s19, v133
	v_ashrrev_i32_e32 v133, s3, v135
	v_lshlrev_b32_e32 v133, 2, v133
	v_bfe_u32 v132, v127, 24, 2
	v_and_b32_e32 v127, 0x3030303, v127
	v_and_b32_e32 v133, 0x4040404, v133
	v_sub_u16_e32 v134, v127, v133
	v_sub_u16_sdwa v135, v127, v133 dst_sel:BYTE_1 dst_unused:UNUSED_PAD src0_sel:BYTE_1 src1_sel:BYTE_1
	v_sub_u16_sdwa v127, v127, v133 dst_sel:DWORD dst_unused:UNUSED_PAD src0_sel:WORD_1 src1_sel:WORD_1
	v_sub_u16_sdwa v132, v132, v133 dst_sel:BYTE_1 dst_unused:UNUSED_PAD src0_sel:DWORD src1_sel:BYTE_3
	v_bitop3_b16 v134, v134, v135, s23 bitop3:0xec
	v_bitop3_b16 v127, v127, v132, s23 bitop3:0xec
	v_lshlrev_b32_e32 v127, 16, v127
	v_or_b32_sdwa v141, v134, v127 dst_sel:DWORD dst_unused:UNUSED_PAD src0_sel:WORD_0 src1_sel:DWORD
	ds_read2_b32 v[132:133], v125 offset1:1
	ds_read2_b32 v[134:135], v136 offset0:6 offset1:7
	s_waitcnt lgkmcnt(1)
	v_ashrrev_i32_e32 v125, s19, v132
	s_waitcnt lgkmcnt(0)
	v_ashrrev_i32_e32 v132, s3, v134
	v_lshlrev_b32_e32 v132, 2, v132
	v_bfe_u32 v127, v125, 24, 2
	v_and_b32_e32 v125, 0x3030303, v125
	v_and_b32_e32 v132, 0x4040404, v132
	v_sub_u16_e32 v134, v125, v132
	v_sub_u16_sdwa v136, v125, v132 dst_sel:BYTE_1 dst_unused:UNUSED_PAD src0_sel:BYTE_1 src1_sel:BYTE_1
	v_sub_u16_sdwa v125, v125, v132 dst_sel:DWORD dst_unused:UNUSED_PAD src0_sel:WORD_1 src1_sel:WORD_1
	v_sub_u16_sdwa v127, v127, v132 dst_sel:BYTE_1 dst_unused:UNUSED_PAD src0_sel:DWORD src1_sel:BYTE_3
	v_bitop3_b16 v134, v134, v136, s23 bitop3:0xec
	v_bitop3_b16 v125, v125, v127, s23 bitop3:0xec
	v_ashrrev_i32_e32 v127, s19, v133
	v_ashrrev_i32_e32 v133, s3, v135
	v_lshlrev_b32_e32 v133, 2, v133
	v_lshlrev_b32_e32 v125, 16, v125
	v_bfe_u32 v132, v127, 24, 2
	v_and_b32_e32 v127, 0x3030303, v127
	v_and_b32_e32 v133, 0x4040404, v133
	v_or_b32_sdwa v125, v134, v125 dst_sel:DWORD dst_unused:UNUSED_PAD src0_sel:WORD_0 src1_sel:DWORD
	v_sub_u16_e32 v134, v127, v133
	v_sub_u16_sdwa v135, v127, v133 dst_sel:BYTE_1 dst_unused:UNUSED_PAD src0_sel:BYTE_1 src1_sel:BYTE_1
	v_sub_u16_sdwa v127, v127, v133 dst_sel:DWORD dst_unused:UNUSED_PAD src0_sel:WORD_1 src1_sel:WORD_1
	v_sub_u16_sdwa v132, v132, v133 dst_sel:BYTE_1 dst_unused:UNUSED_PAD src0_sel:DWORD src1_sel:BYTE_3
	v_bitop3_b16 v134, v134, v135, s23 bitop3:0xec
	v_bitop3_b16 v127, v127, v132, s23 bitop3:0xec
	v_lshlrev_b32_e32 v127, 16, v127
	v_or_b32_sdwa v132, v134, v127 dst_sel:DWORD dst_unused:UNUSED_PAD src0_sel:WORD_0 src1_sel:DWORD
	v_mov_b32_e32 v134, 0
	v_add_u32_e32 v133, s30, v19
	v_add3_u32 v127, s29, v109, v111
	v_dot4c_i32_i8_e32 v134, v131, v6
	v_mov_b32_e32 v6, 0
	ds_read_b32 v127, v127
	v_dot4c_i32_i8_e32 v6, v140, v2
	ds_read_u16 v2, v133 offset:28402
	v_dot4c_i32_i8_e32 v134, v137, v7
	v_dot4c_i32_i8_e32 v134, v138, v8
	;; [unrolled: 1-line block ×5, first 2 shown]
	s_waitcnt lgkmcnt(0)
	v_lshrrev_b16_e32 v3, 8, v2
	v_bfe_i32 v2, v2, 0, 8
	v_dot4c_i32_i8_e32 v6, v132, v5
	v_bfe_i32 v5, v3, 0, 8
	v_mul_lo_u32 v4, v134, v2
	v_mad_u64_u32 v[2:3], s[30:31], v129, v130, v[128:129]
	v_mad_u64_u32 v[4:5], s[30:31], v6, v5, v[4:5]
	v_cvt_f32_i32_e32 v3, v4
	v_cvt_f32_i32_e32 v2, v2
	v_pk_mul_f32 v[6:7], v[124:125], v[126:127] op_sel_hi:[0,1]
	s_add_i32 s3, s3, 1
	s_cmp_lt_u32 s18, 22
	v_pk_fma_f32 v[40:41], v[6:7], v[2:3], v[40:41]
	s_mov_b32 s29, s18
	s_cbranch_scc1 .LBB190_27
; %bb.28:                               ;   in Loop: Header=BB190_5 Depth=1
	s_or_b32 s2, s27, 0x180
	s_cmp_ge_i32 s2, s5
	s_barrier
	s_cbranch_scc1 .LBB190_4
; %bb.29:                               ;   in Loop: Header=BB190_5 Depth=1
	v_add_u32_e32 v2, s28, v53
	v_cmp_gt_i32_e64 s[2:3], s8, v2
	s_and_b64 s[18:19], s[0:1], s[2:3]
	s_and_saveexec_b64 s[2:3], s[18:19]
	s_cbranch_execz .LBB190_31
; %bb.30:                               ;   in Loop: Header=BB190_5 Depth=1
	v_add_u32_e32 v2, v58, v2
	v_mad_i64_i32 v[2:3], s[18:19], v2, 36, v[56:57]
	global_load_dword v2, v[2:3], off offset:4
	s_waitcnt vmcnt(0)
	ds_write_b32 v47, v2
.LBB190_31:                             ;   in Loop: Header=BB190_5 Depth=1
	s_or_b64 exec, exec, s[2:3]
	s_and_saveexec_b64 s[18:19], vcc
	s_cbranch_execz .LBB190_34
; %bb.32:                               ;   in Loop: Header=BB190_5 Depth=1
	v_or_b32_e32 v2, 12, v122
	v_cmp_gt_i32_e64 s[2:3], s8, v2
	s_and_b64 s[2:3], s[0:1], s[2:3]
	s_and_b64 exec, exec, s[2:3]
	s_cbranch_execz .LBB190_34
; %bb.33:                               ;   in Loop: Header=BB190_5 Depth=1
	v_ashrrev_i32_e32 v123, 31, v122
	v_lshl_add_u64 v[2:3], v[58:59], 0, v[122:123]
	v_mad_u64_u32 v[4:5], s[2:3], v2, 36, s[14:15]
	v_mad_i32_i24 v5, v3, 36, v5
	global_load_dword v2, v[4:5], off offset:432
	s_waitcnt vmcnt(0)
	v_cvt_f32_f16_e32 v2, v2
	ds_write_b32 v79, v2
.LBB190_34:                             ;   in Loop: Header=BB190_5 Depth=1
	s_or_b64 exec, exec, s[18:19]
	s_mov_b32 s2, 24
	s_mov_b32 s27, 22
	;; [unrolled: 1-line block ×3, first 2 shown]
	v_mov_b32_e32 v121, v17
	v_mov_b32_e32 v123, v77
	s_waitcnt lgkmcnt(0)
	s_barrier
.LBB190_35:                             ;   Parent Loop BB190_5 Depth=1
                                        ; =>  This Inner Loop Header: Depth=2
	s_add_i32 s18, s27, 2
	s_lshr_b32 s30, s18, 4
	s_and_b32 s29, s18, 0x3ffffff8
	v_lshl_add_u32 v127, s29, 2, v55
	s_lshl_b32 s29, s30, 5
	s_addk_i32 s29, 0x4200
	v_add3_u32 v130, s29, v81, v83
	ds_read_b32 v122, v123
	ds_read_b128 v[6:9], v121
	ds_read_b128 v[2:5], v121 offset:16
	ds_read2_b32 v[124:125], v127 offset1:1
	ds_read2_b32 v[128:129], v130 offset1:1
	s_sub_i32 s19, s27, 22
	s_and_b32 s28, s2, -16
	s_add_i32 s28, s27, s28
	s_waitcnt lgkmcnt(1)
	v_ashrrev_i32_e32 v124, s19, v124
	s_waitcnt lgkmcnt(0)
	v_ashrrev_i32_e32 v128, s3, v128
	v_lshlrev_b32_e32 v128, 2, v128
	v_bfe_u32 v126, v124, 24, 2
	v_and_b32_e32 v124, 0x3030303, v124
	v_and_b32_e32 v128, 0x4040404, v128
	v_sub_u16_e32 v131, v124, v128
	v_sub_u16_sdwa v132, v124, v128 dst_sel:BYTE_1 dst_unused:UNUSED_PAD src0_sel:BYTE_1 src1_sel:BYTE_1
	v_sub_u16_sdwa v124, v124, v128 dst_sel:DWORD dst_unused:UNUSED_PAD src0_sel:WORD_1 src1_sel:WORD_1
	v_sub_u16_sdwa v126, v126, v128 dst_sel:BYTE_1 dst_unused:UNUSED_PAD src0_sel:DWORD src1_sel:BYTE_3
	v_bitop3_b16 v131, v131, v132, s23 bitop3:0xec
	v_bitop3_b16 v124, v124, v126, s23 bitop3:0xec
	v_lshlrev_b32_e32 v124, 16, v124
	v_ashrrev_i32_e32 v128, s3, v129
	v_or_b32_sdwa v126, v131, v124 dst_sel:DWORD dst_unused:UNUSED_PAD src0_sel:WORD_0 src1_sel:DWORD
	v_ashrrev_i32_e32 v124, s19, v125
	v_lshlrev_b32_e32 v128, 2, v128
	v_bfe_u32 v125, v124, 24, 2
	v_and_b32_e32 v124, 0x3030303, v124
	v_and_b32_e32 v128, 0x4040404, v128
	v_sub_u16_e32 v129, v124, v128
	v_sub_u16_sdwa v131, v124, v128 dst_sel:BYTE_1 dst_unused:UNUSED_PAD src0_sel:BYTE_1 src1_sel:BYTE_1
	v_sub_u16_sdwa v124, v124, v128 dst_sel:DWORD dst_unused:UNUSED_PAD src0_sel:WORD_1 src1_sel:WORD_1
	v_sub_u16_sdwa v125, v125, v128 dst_sel:BYTE_1 dst_unused:UNUSED_PAD src0_sel:DWORD src1_sel:BYTE_3
	v_bitop3_b16 v129, v129, v131, s23 bitop3:0xec
	v_bitop3_b16 v124, v124, v125, s23 bitop3:0xec
	v_lshlrev_b32_e32 v124, 16, v124
	v_or_b32_sdwa v131, v129, v124 dst_sel:DWORD dst_unused:UNUSED_PAD src0_sel:WORD_0 src1_sel:DWORD
	ds_read2_b32 v[124:125], v127 offset0:2 offset1:3
	ds_read2_b32 v[128:129], v130 offset0:2 offset1:3
	s_lshl_b32 s27, s30, 2
	s_addk_i32 s27, 0x7380
	s_add_i32 s2, s2, 2
	s_waitcnt lgkmcnt(1)
	v_ashrrev_i32_e32 v124, s19, v124
	s_waitcnt lgkmcnt(0)
	v_ashrrev_i32_e32 v128, s3, v128
	v_lshlrev_b32_e32 v128, 2, v128
	v_bfe_u32 v132, v124, 24, 2
	v_and_b32_e32 v124, 0x3030303, v124
	v_and_b32_e32 v128, 0x4040404, v128
	v_sub_u16_e32 v133, v124, v128
	v_sub_u16_sdwa v134, v124, v128 dst_sel:BYTE_1 dst_unused:UNUSED_PAD src0_sel:BYTE_1 src1_sel:BYTE_1
	v_sub_u16_sdwa v124, v124, v128 dst_sel:DWORD dst_unused:UNUSED_PAD src0_sel:WORD_1 src1_sel:WORD_1
	v_sub_u16_sdwa v128, v132, v128 dst_sel:BYTE_1 dst_unused:UNUSED_PAD src0_sel:DWORD src1_sel:BYTE_3
	v_bitop3_b16 v133, v133, v134, s23 bitop3:0xec
	v_bitop3_b16 v124, v124, v128, s23 bitop3:0xec
	v_lshlrev_b32_e32 v124, 16, v124
	v_ashrrev_i32_e32 v128, s3, v129
	v_or_b32_sdwa v132, v133, v124 dst_sel:DWORD dst_unused:UNUSED_PAD src0_sel:WORD_0 src1_sel:DWORD
	v_ashrrev_i32_e32 v124, s19, v125
	v_lshlrev_b32_e32 v128, 2, v128
	v_bfe_u32 v125, v124, 24, 2
	v_and_b32_e32 v124, 0x3030303, v124
	v_and_b32_e32 v128, 0x4040404, v128
	v_sub_u16_e32 v129, v124, v128
	v_sub_u16_sdwa v133, v124, v128 dst_sel:BYTE_1 dst_unused:UNUSED_PAD src0_sel:BYTE_1 src1_sel:BYTE_1
	v_sub_u16_sdwa v124, v124, v128 dst_sel:DWORD dst_unused:UNUSED_PAD src0_sel:WORD_1 src1_sel:WORD_1
	v_sub_u16_sdwa v125, v125, v128 dst_sel:BYTE_1 dst_unused:UNUSED_PAD src0_sel:DWORD src1_sel:BYTE_3
	v_bitop3_b16 v129, v129, v133, s23 bitop3:0xec
	v_bitop3_b16 v124, v124, v125, s23 bitop3:0xec
	v_lshlrev_b32_e32 v124, 16, v124
	v_or_b32_sdwa v133, v129, v124 dst_sel:DWORD dst_unused:UNUSED_PAD src0_sel:WORD_0 src1_sel:DWORD
	ds_read2_b32 v[124:125], v127 offset0:4 offset1:5
	ds_read2_b32 v[128:129], v130 offset0:4 offset1:5
	v_add_u32_e32 v121, 32, v121
	s_waitcnt lgkmcnt(1)
	v_ashrrev_i32_e32 v124, s19, v124
	s_waitcnt lgkmcnt(0)
	v_ashrrev_i32_e32 v128, s3, v128
	v_lshlrev_b32_e32 v128, 2, v128
	v_bfe_u32 v134, v124, 24, 2
	v_and_b32_e32 v124, 0x3030303, v124
	v_and_b32_e32 v128, 0x4040404, v128
	v_sub_u16_e32 v135, v124, v128
	v_sub_u16_sdwa v136, v124, v128 dst_sel:BYTE_1 dst_unused:UNUSED_PAD src0_sel:BYTE_1 src1_sel:BYTE_1
	v_sub_u16_sdwa v124, v124, v128 dst_sel:DWORD dst_unused:UNUSED_PAD src0_sel:WORD_1 src1_sel:WORD_1
	v_sub_u16_sdwa v128, v134, v128 dst_sel:BYTE_1 dst_unused:UNUSED_PAD src0_sel:DWORD src1_sel:BYTE_3
	v_bitop3_b16 v135, v135, v136, s23 bitop3:0xec
	v_bitop3_b16 v124, v124, v128, s23 bitop3:0xec
	v_lshlrev_b32_e32 v124, 16, v124
	v_ashrrev_i32_e32 v128, s3, v129
	v_or_b32_sdwa v134, v135, v124 dst_sel:DWORD dst_unused:UNUSED_PAD src0_sel:WORD_0 src1_sel:DWORD
	v_ashrrev_i32_e32 v124, s19, v125
	v_lshlrev_b32_e32 v128, 2, v128
	v_bfe_u32 v125, v124, 24, 2
	v_and_b32_e32 v124, 0x3030303, v124
	v_and_b32_e32 v128, 0x4040404, v128
	v_sub_u16_e32 v129, v124, v128
	v_sub_u16_sdwa v135, v124, v128 dst_sel:BYTE_1 dst_unused:UNUSED_PAD src0_sel:BYTE_1 src1_sel:BYTE_1
	v_sub_u16_sdwa v124, v124, v128 dst_sel:DWORD dst_unused:UNUSED_PAD src0_sel:WORD_1 src1_sel:WORD_1
	v_sub_u16_sdwa v125, v125, v128 dst_sel:BYTE_1 dst_unused:UNUSED_PAD src0_sel:DWORD src1_sel:BYTE_3
	v_bitop3_b16 v129, v129, v135, s23 bitop3:0xec
	v_bitop3_b16 v124, v124, v125, s23 bitop3:0xec
	v_lshlrev_b32_e32 v124, 16, v124
	v_or_b32_sdwa v135, v129, v124 dst_sel:DWORD dst_unused:UNUSED_PAD src0_sel:WORD_0 src1_sel:DWORD
	ds_read2_b32 v[124:125], v127 offset0:6 offset1:7
	ds_read2_b32 v[128:129], v130 offset0:6 offset1:7
	s_waitcnt lgkmcnt(1)
	v_ashrrev_i32_e32 v124, s19, v124
	s_waitcnt lgkmcnt(0)
	v_ashrrev_i32_e32 v128, s3, v128
	v_lshlrev_b32_e32 v128, 2, v128
	v_bfe_u32 v136, v124, 24, 2
	v_and_b32_e32 v124, 0x3030303, v124
	v_and_b32_e32 v128, 0x4040404, v128
	v_sub_u16_e32 v130, v124, v128
	v_sub_u16_sdwa v137, v124, v128 dst_sel:BYTE_1 dst_unused:UNUSED_PAD src0_sel:BYTE_1 src1_sel:BYTE_1
	v_sub_u16_sdwa v124, v124, v128 dst_sel:DWORD dst_unused:UNUSED_PAD src0_sel:WORD_1 src1_sel:WORD_1
	v_sub_u16_sdwa v128, v136, v128 dst_sel:BYTE_1 dst_unused:UNUSED_PAD src0_sel:DWORD src1_sel:BYTE_3
	v_bitop3_b16 v130, v130, v137, s23 bitop3:0xec
	v_bitop3_b16 v124, v124, v128, s23 bitop3:0xec
	v_lshlrev_b32_e32 v124, 16, v124
	v_ashrrev_i32_e32 v129, s3, v129
	v_or_b32_sdwa v128, v130, v124 dst_sel:DWORD dst_unused:UNUSED_PAD src0_sel:WORD_0 src1_sel:DWORD
	v_ashrrev_i32_e32 v124, s19, v125
	v_lshlrev_b32_e32 v129, 2, v129
	v_bfe_u32 v125, v124, 24, 2
	v_and_b32_e32 v124, 0x3030303, v124
	v_and_b32_e32 v129, 0x4040404, v129
	v_sub_u16_e32 v130, v124, v129
	v_sub_u16_sdwa v136, v124, v129 dst_sel:BYTE_1 dst_unused:UNUSED_PAD src0_sel:BYTE_1 src1_sel:BYTE_1
	v_sub_u16_sdwa v124, v124, v129 dst_sel:DWORD dst_unused:UNUSED_PAD src0_sel:WORD_1 src1_sel:WORD_1
	v_sub_u16_sdwa v125, v125, v129 dst_sel:BYTE_1 dst_unused:UNUSED_PAD src0_sel:DWORD src1_sel:BYTE_3
	v_bitop3_b16 v130, v130, v136, s23 bitop3:0xec
	v_bitop3_b16 v124, v124, v125, s23 bitop3:0xec
	v_lshlrev_b32_e32 v124, 16, v124
	v_or_b32_sdwa v125, v130, v124 dst_sel:DWORD dst_unused:UNUSED_PAD src0_sel:WORD_0 src1_sel:DWORD
	v_mov_b32_e32 v130, 0
	v_dot4c_i32_i8_e32 v130, v126, v6
	v_dot4c_i32_i8_e32 v130, v131, v7
	;; [unrolled: 1-line block ×3, first 2 shown]
	v_mov_b32_e32 v132, 0
	v_dot4c_i32_i8_e32 v132, v134, v2
	v_dot4c_i32_i8_e32 v132, v135, v3
	v_add_u32_e32 v129, s28, v25
	v_dot4c_i32_i8_e32 v132, v128, v4
	v_dot4c_i32_i8_e32 v132, v125, v5
	ds_read_u16 v125, v129 offset:25330
	v_dot4c_i32_i8_e32 v130, v133, v9
	v_add3_u32 v124, s27, v119, v87
	v_add3_u32 v134, s29, v89, v91
	ds_read_b32 v124, v124
	s_waitcnt lgkmcnt(1)
	v_lshrrev_b16_e32 v126, 8, v125
	v_bfe_i32 v125, v125, 0, 8
	v_bfe_i32 v133, v126, 0, 8
	v_mul_lo_u32 v126, v130, v125
	v_add_u32_e32 v125, 0x1080, v127
	ds_read2_b32 v[128:129], v125 offset1:1
	ds_read2_b32 v[130:131], v134 offset1:1
	s_waitcnt lgkmcnt(1)
	v_ashrrev_i32_e32 v125, s19, v128
	s_waitcnt lgkmcnt(0)
	v_ashrrev_i32_e32 v130, s3, v130
	v_lshlrev_b32_e32 v130, 2, v130
	v_bfe_u32 v128, v125, 24, 2
	v_and_b32_e32 v125, 0x3030303, v125
	v_and_b32_e32 v130, 0x4040404, v130
	v_sub_u16_e32 v135, v125, v130
	v_sub_u16_sdwa v136, v125, v130 dst_sel:BYTE_1 dst_unused:UNUSED_PAD src0_sel:BYTE_1 src1_sel:BYTE_1
	v_sub_u16_sdwa v125, v125, v130 dst_sel:DWORD dst_unused:UNUSED_PAD src0_sel:WORD_1 src1_sel:WORD_1
	v_sub_u16_sdwa v128, v128, v130 dst_sel:BYTE_1 dst_unused:UNUSED_PAD src0_sel:DWORD src1_sel:BYTE_3
	v_bitop3_b16 v135, v135, v136, s23 bitop3:0xec
	v_bitop3_b16 v125, v125, v128, s23 bitop3:0xec
	v_lshlrev_b32_e32 v125, 16, v125
	v_or_b32_sdwa v135, v135, v125 dst_sel:DWORD dst_unused:UNUSED_PAD src0_sel:WORD_0 src1_sel:DWORD
	v_ashrrev_i32_e32 v125, s19, v129
	v_ashrrev_i32_e32 v129, s3, v131
	v_lshlrev_b32_e32 v129, 2, v129
	v_bfe_u32 v128, v125, 24, 2
	v_and_b32_e32 v125, 0x3030303, v125
	v_and_b32_e32 v129, 0x4040404, v129
	v_sub_u16_e32 v130, v125, v129
	v_sub_u16_sdwa v131, v125, v129 dst_sel:BYTE_1 dst_unused:UNUSED_PAD src0_sel:BYTE_1 src1_sel:BYTE_1
	v_sub_u16_sdwa v125, v125, v129 dst_sel:DWORD dst_unused:UNUSED_PAD src0_sel:WORD_1 src1_sel:WORD_1
	v_sub_u16_sdwa v128, v128, v129 dst_sel:BYTE_1 dst_unused:UNUSED_PAD src0_sel:DWORD src1_sel:BYTE_3
	v_bitop3_b16 v130, v130, v131, s23 bitop3:0xec
	v_bitop3_b16 v125, v125, v128, s23 bitop3:0xec
	v_lshlrev_b32_e32 v125, 16, v125
	v_or_b32_sdwa v136, v130, v125 dst_sel:DWORD dst_unused:UNUSED_PAD src0_sel:WORD_0 src1_sel:DWORD
	v_add_u32_e32 v125, 0x1088, v127
	ds_read2_b32 v[128:129], v125 offset1:1
	ds_read2_b32 v[130:131], v134 offset0:2 offset1:3
	s_waitcnt lgkmcnt(1)
	v_ashrrev_i32_e32 v125, s19, v128
	s_waitcnt lgkmcnt(0)
	v_ashrrev_i32_e32 v130, s3, v130
	v_lshlrev_b32_e32 v130, 2, v130
	v_bfe_u32 v128, v125, 24, 2
	v_and_b32_e32 v125, 0x3030303, v125
	v_and_b32_e32 v130, 0x4040404, v130
	v_sub_u16_e32 v137, v125, v130
	v_sub_u16_sdwa v138, v125, v130 dst_sel:BYTE_1 dst_unused:UNUSED_PAD src0_sel:BYTE_1 src1_sel:BYTE_1
	v_sub_u16_sdwa v125, v125, v130 dst_sel:DWORD dst_unused:UNUSED_PAD src0_sel:WORD_1 src1_sel:WORD_1
	v_sub_u16_sdwa v128, v128, v130 dst_sel:BYTE_1 dst_unused:UNUSED_PAD src0_sel:DWORD src1_sel:BYTE_3
	v_bitop3_b16 v137, v137, v138, s23 bitop3:0xec
	v_bitop3_b16 v125, v125, v128, s23 bitop3:0xec
	v_lshlrev_b32_e32 v125, 16, v125
	v_or_b32_sdwa v137, v137, v125 dst_sel:DWORD dst_unused:UNUSED_PAD src0_sel:WORD_0 src1_sel:DWORD
	v_ashrrev_i32_e32 v125, s19, v129
	v_ashrrev_i32_e32 v129, s3, v131
	v_lshlrev_b32_e32 v129, 2, v129
	v_bfe_u32 v128, v125, 24, 2
	v_and_b32_e32 v125, 0x3030303, v125
	v_and_b32_e32 v129, 0x4040404, v129
	v_sub_u16_e32 v130, v125, v129
	v_sub_u16_sdwa v131, v125, v129 dst_sel:BYTE_1 dst_unused:UNUSED_PAD src0_sel:BYTE_1 src1_sel:BYTE_1
	v_sub_u16_sdwa v125, v125, v129 dst_sel:DWORD dst_unused:UNUSED_PAD src0_sel:WORD_1 src1_sel:WORD_1
	v_sub_u16_sdwa v128, v128, v129 dst_sel:BYTE_1 dst_unused:UNUSED_PAD src0_sel:DWORD src1_sel:BYTE_3
	v_bitop3_b16 v130, v130, v131, s23 bitop3:0xec
	v_bitop3_b16 v125, v125, v128, s23 bitop3:0xec
	v_lshlrev_b32_e32 v125, 16, v125
	v_or_b32_sdwa v138, v130, v125 dst_sel:DWORD dst_unused:UNUSED_PAD src0_sel:WORD_0 src1_sel:DWORD
	v_add_u32_e32 v125, 0x1090, v127
	ds_read2_b32 v[128:129], v125 offset1:1
	ds_read2_b32 v[130:131], v134 offset0:4 offset1:5
	;; [unrolled: 33-line block ×3, first 2 shown]
	s_waitcnt lgkmcnt(1)
	v_ashrrev_i32_e32 v125, s19, v128
	s_waitcnt lgkmcnt(0)
	v_ashrrev_i32_e32 v130, s3, v130
	v_lshlrev_b32_e32 v130, 2, v130
	v_bfe_u32 v128, v125, 24, 2
	v_and_b32_e32 v125, 0x3030303, v125
	v_and_b32_e32 v130, 0x4040404, v130
	v_sub_u16_e32 v134, v125, v130
	v_sub_u16_sdwa v141, v125, v130 dst_sel:BYTE_1 dst_unused:UNUSED_PAD src0_sel:BYTE_1 src1_sel:BYTE_1
	v_sub_u16_sdwa v125, v125, v130 dst_sel:DWORD dst_unused:UNUSED_PAD src0_sel:WORD_1 src1_sel:WORD_1
	v_sub_u16_sdwa v128, v128, v130 dst_sel:BYTE_1 dst_unused:UNUSED_PAD src0_sel:DWORD src1_sel:BYTE_3
	v_bitop3_b16 v134, v134, v141, s23 bitop3:0xec
	v_bitop3_b16 v125, v125, v128, s23 bitop3:0xec
	v_lshlrev_b32_e32 v125, 16, v125
	v_or_b32_sdwa v130, v134, v125 dst_sel:DWORD dst_unused:UNUSED_PAD src0_sel:WORD_0 src1_sel:DWORD
	v_ashrrev_i32_e32 v125, s19, v129
	v_ashrrev_i32_e32 v129, s3, v131
	v_lshlrev_b32_e32 v129, 2, v129
	v_bfe_u32 v128, v125, 24, 2
	v_and_b32_e32 v125, 0x3030303, v125
	v_and_b32_e32 v129, 0x4040404, v129
	v_sub_u16_e32 v131, v125, v129
	v_sub_u16_sdwa v134, v125, v129 dst_sel:BYTE_1 dst_unused:UNUSED_PAD src0_sel:BYTE_1 src1_sel:BYTE_1
	v_sub_u16_sdwa v125, v125, v129 dst_sel:DWORD dst_unused:UNUSED_PAD src0_sel:WORD_1 src1_sel:WORD_1
	v_sub_u16_sdwa v128, v128, v129 dst_sel:BYTE_1 dst_unused:UNUSED_PAD src0_sel:DWORD src1_sel:BYTE_3
	v_bitop3_b16 v131, v131, v134, s23 bitop3:0xec
	v_bitop3_b16 v125, v125, v128, s23 bitop3:0xec
	v_lshlrev_b32_e32 v125, 16, v125
	v_or_b32_sdwa v129, v131, v125 dst_sel:DWORD dst_unused:UNUSED_PAD src0_sel:WORD_0 src1_sel:DWORD
	v_add_u32_e32 v128, s28, v23
	v_add3_u32 v125, s27, v93, v95
	ds_read_b32 v125, v125
	ds_read_u16 v128, v128 offset:26354
	v_mov_b32_e32 v131, 0
	v_dot4c_i32_i8_e32 v131, v135, v6
	v_mov_b32_e32 v135, 0
	v_dot4c_i32_i8_e32 v131, v136, v7
	v_dot4c_i32_i8_e32 v135, v139, v2
	;; [unrolled: 1-line block ×5, first 2 shown]
	s_waitcnt lgkmcnt(0)
	v_lshrrev_b16_e32 v134, 8, v128
	v_bfe_i32 v128, v128, 0, 8
	v_dot4c_i32_i8_e32 v135, v130, v4
	v_mul_lo_u32 v128, v131, v128
	v_dot4c_i32_i8_e32 v135, v129, v5
	v_bfe_i32 v129, v134, 0, 8
	v_mad_u64_u32 v[130:131], s[30:31], v132, v133, v[126:127]
	s_nop 0
	v_mad_u64_u32 v[128:129], s[30:31], v135, v129, v[128:129]
	v_cvt_f32_i32_e32 v129, v128
	v_cvt_f32_i32_e32 v128, v130
	v_pk_mul_f32 v[124:125], v[122:123], v[124:125] op_sel_hi:[0,1]
	v_add3_u32 v130, s29, v97, v99
	v_pk_fma_f32 v[44:45], v[124:125], v[128:129], v[44:45]
	v_add_u32_e32 v124, 0x2100, v127
	ds_read2_b32 v[124:125], v124 offset1:1
	ds_read2_b32 v[128:129], v130 offset1:1
	s_waitcnt lgkmcnt(1)
	v_ashrrev_i32_e32 v124, s19, v124
	s_waitcnt lgkmcnt(0)
	v_ashrrev_i32_e32 v128, s3, v128
	v_lshlrev_b32_e32 v128, 2, v128
	v_bfe_u32 v126, v124, 24, 2
	v_and_b32_e32 v124, 0x3030303, v124
	v_and_b32_e32 v128, 0x4040404, v128
	v_sub_u16_e32 v131, v124, v128
	v_sub_u16_sdwa v132, v124, v128 dst_sel:BYTE_1 dst_unused:UNUSED_PAD src0_sel:BYTE_1 src1_sel:BYTE_1
	v_sub_u16_sdwa v124, v124, v128 dst_sel:DWORD dst_unused:UNUSED_PAD src0_sel:WORD_1 src1_sel:WORD_1
	v_sub_u16_sdwa v126, v126, v128 dst_sel:BYTE_1 dst_unused:UNUSED_PAD src0_sel:DWORD src1_sel:BYTE_3
	v_bitop3_b16 v131, v131, v132, s23 bitop3:0xec
	v_bitop3_b16 v124, v124, v126, s23 bitop3:0xec
	v_lshlrev_b32_e32 v124, 16, v124
	v_ashrrev_i32_e32 v128, s3, v129
	v_or_b32_sdwa v126, v131, v124 dst_sel:DWORD dst_unused:UNUSED_PAD src0_sel:WORD_0 src1_sel:DWORD
	v_ashrrev_i32_e32 v124, s19, v125
	v_lshlrev_b32_e32 v128, 2, v128
	v_bfe_u32 v125, v124, 24, 2
	v_and_b32_e32 v124, 0x3030303, v124
	v_and_b32_e32 v128, 0x4040404, v128
	v_sub_u16_e32 v129, v124, v128
	v_sub_u16_sdwa v131, v124, v128 dst_sel:BYTE_1 dst_unused:UNUSED_PAD src0_sel:BYTE_1 src1_sel:BYTE_1
	v_sub_u16_sdwa v124, v124, v128 dst_sel:DWORD dst_unused:UNUSED_PAD src0_sel:WORD_1 src1_sel:WORD_1
	v_sub_u16_sdwa v125, v125, v128 dst_sel:BYTE_1 dst_unused:UNUSED_PAD src0_sel:DWORD src1_sel:BYTE_3
	v_bitop3_b16 v129, v129, v131, s23 bitop3:0xec
	v_bitop3_b16 v124, v124, v125, s23 bitop3:0xec
	v_lshlrev_b32_e32 v124, 16, v124
	v_or_b32_sdwa v131, v129, v124 dst_sel:DWORD dst_unused:UNUSED_PAD src0_sel:WORD_0 src1_sel:DWORD
	v_add_u32_e32 v124, 0x2108, v127
	ds_read2_b32 v[124:125], v124 offset1:1
	ds_read2_b32 v[128:129], v130 offset0:2 offset1:3
	s_waitcnt lgkmcnt(1)
	v_ashrrev_i32_e32 v124, s19, v124
	s_waitcnt lgkmcnt(0)
	v_ashrrev_i32_e32 v128, s3, v128
	v_lshlrev_b32_e32 v128, 2, v128
	v_bfe_u32 v132, v124, 24, 2
	v_and_b32_e32 v124, 0x3030303, v124
	v_and_b32_e32 v128, 0x4040404, v128
	v_sub_u16_e32 v133, v124, v128
	v_sub_u16_sdwa v134, v124, v128 dst_sel:BYTE_1 dst_unused:UNUSED_PAD src0_sel:BYTE_1 src1_sel:BYTE_1
	v_sub_u16_sdwa v124, v124, v128 dst_sel:DWORD dst_unused:UNUSED_PAD src0_sel:WORD_1 src1_sel:WORD_1
	v_sub_u16_sdwa v128, v132, v128 dst_sel:BYTE_1 dst_unused:UNUSED_PAD src0_sel:DWORD src1_sel:BYTE_3
	v_bitop3_b16 v133, v133, v134, s23 bitop3:0xec
	v_bitop3_b16 v124, v124, v128, s23 bitop3:0xec
	v_lshlrev_b32_e32 v124, 16, v124
	v_ashrrev_i32_e32 v128, s3, v129
	v_or_b32_sdwa v132, v133, v124 dst_sel:DWORD dst_unused:UNUSED_PAD src0_sel:WORD_0 src1_sel:DWORD
	v_ashrrev_i32_e32 v124, s19, v125
	v_lshlrev_b32_e32 v128, 2, v128
	v_bfe_u32 v125, v124, 24, 2
	v_and_b32_e32 v124, 0x3030303, v124
	v_and_b32_e32 v128, 0x4040404, v128
	v_sub_u16_e32 v129, v124, v128
	v_sub_u16_sdwa v133, v124, v128 dst_sel:BYTE_1 dst_unused:UNUSED_PAD src0_sel:BYTE_1 src1_sel:BYTE_1
	v_sub_u16_sdwa v124, v124, v128 dst_sel:DWORD dst_unused:UNUSED_PAD src0_sel:WORD_1 src1_sel:WORD_1
	v_sub_u16_sdwa v125, v125, v128 dst_sel:BYTE_1 dst_unused:UNUSED_PAD src0_sel:DWORD src1_sel:BYTE_3
	v_bitop3_b16 v129, v129, v133, s23 bitop3:0xec
	v_bitop3_b16 v124, v124, v125, s23 bitop3:0xec
	v_lshlrev_b32_e32 v124, 16, v124
	v_or_b32_sdwa v133, v129, v124 dst_sel:DWORD dst_unused:UNUSED_PAD src0_sel:WORD_0 src1_sel:DWORD
	v_add_u32_e32 v124, 0x2110, v127
	ds_read2_b32 v[124:125], v124 offset1:1
	ds_read2_b32 v[128:129], v130 offset0:4 offset1:5
	;; [unrolled: 33-line block ×3, first 2 shown]
	s_waitcnt lgkmcnt(1)
	v_ashrrev_i32_e32 v124, s19, v124
	s_waitcnt lgkmcnt(0)
	v_ashrrev_i32_e32 v128, s3, v128
	v_lshlrev_b32_e32 v128, 2, v128
	v_bfe_u32 v136, v124, 24, 2
	v_and_b32_e32 v124, 0x3030303, v124
	v_and_b32_e32 v128, 0x4040404, v128
	v_sub_u16_e32 v130, v124, v128
	v_sub_u16_sdwa v137, v124, v128 dst_sel:BYTE_1 dst_unused:UNUSED_PAD src0_sel:BYTE_1 src1_sel:BYTE_1
	v_sub_u16_sdwa v124, v124, v128 dst_sel:DWORD dst_unused:UNUSED_PAD src0_sel:WORD_1 src1_sel:WORD_1
	v_sub_u16_sdwa v128, v136, v128 dst_sel:BYTE_1 dst_unused:UNUSED_PAD src0_sel:DWORD src1_sel:BYTE_3
	v_bitop3_b16 v130, v130, v137, s23 bitop3:0xec
	v_bitop3_b16 v124, v124, v128, s23 bitop3:0xec
	v_lshlrev_b32_e32 v124, 16, v124
	v_ashrrev_i32_e32 v128, s3, v129
	v_or_b32_sdwa v130, v130, v124 dst_sel:DWORD dst_unused:UNUSED_PAD src0_sel:WORD_0 src1_sel:DWORD
	v_ashrrev_i32_e32 v124, s19, v125
	v_lshlrev_b32_e32 v128, 2, v128
	v_bfe_u32 v125, v124, 24, 2
	v_and_b32_e32 v124, 0x3030303, v124
	v_and_b32_e32 v128, 0x4040404, v128
	v_sub_u16_e32 v129, v124, v128
	v_sub_u16_sdwa v136, v124, v128 dst_sel:BYTE_1 dst_unused:UNUSED_PAD src0_sel:BYTE_1 src1_sel:BYTE_1
	v_sub_u16_sdwa v124, v124, v128 dst_sel:DWORD dst_unused:UNUSED_PAD src0_sel:WORD_1 src1_sel:WORD_1
	v_sub_u16_sdwa v125, v125, v128 dst_sel:BYTE_1 dst_unused:UNUSED_PAD src0_sel:DWORD src1_sel:BYTE_3
	v_mov_b32_e32 v128, 0
	v_bitop3_b16 v124, v124, v125, s23 bitop3:0xec
	v_dot4c_i32_i8_e32 v128, v134, v2
	v_bitop3_b16 v129, v129, v136, s23 bitop3:0xec
	v_lshlrev_b32_e32 v124, 16, v124
	v_dot4c_i32_i8_e32 v128, v135, v3
	v_or_b32_sdwa v125, v129, v124 dst_sel:DWORD dst_unused:UNUSED_PAD src0_sel:WORD_0 src1_sel:DWORD
	v_add_u32_e32 v129, s28, v21
	v_dot4c_i32_i8_e32 v128, v130, v4
	v_dot4c_i32_i8_e32 v128, v125, v5
	ds_read_u16 v125, v129 offset:27378
	v_mov_b32_e32 v136, 0
	v_dot4c_i32_i8_e32 v136, v126, v6
	v_dot4c_i32_i8_e32 v136, v131, v7
	;; [unrolled: 1-line block ×4, first 2 shown]
	s_waitcnt lgkmcnt(0)
	v_lshrrev_b16_e32 v126, 8, v125
	v_bfe_i32 v125, v125, 0, 8
	v_add3_u32 v124, s27, v101, v103
	v_bfe_i32 v129, v126, 0, 8
	v_mul_lo_u32 v126, v136, v125
	v_add_u32_e32 v125, 0x3180, v127
	v_add3_u32 v136, s29, v105, v107
	ds_read_b32 v124, v124
	ds_read2_b32 v[130:131], v125 offset1:1
	ds_read2_b32 v[132:133], v136 offset1:1
	s_waitcnt lgkmcnt(1)
	v_ashrrev_i32_e32 v125, s19, v130
	s_waitcnt lgkmcnt(0)
	v_ashrrev_i32_e32 v132, s3, v132
	v_lshlrev_b32_e32 v132, 2, v132
	v_bfe_u32 v130, v125, 24, 2
	v_and_b32_e32 v125, 0x3030303, v125
	v_and_b32_e32 v132, 0x4040404, v132
	v_sub_u16_e32 v134, v125, v132
	v_sub_u16_sdwa v135, v125, v132 dst_sel:BYTE_1 dst_unused:UNUSED_PAD src0_sel:BYTE_1 src1_sel:BYTE_1
	v_sub_u16_sdwa v125, v125, v132 dst_sel:DWORD dst_unused:UNUSED_PAD src0_sel:WORD_1 src1_sel:WORD_1
	v_sub_u16_sdwa v130, v130, v132 dst_sel:BYTE_1 dst_unused:UNUSED_PAD src0_sel:DWORD src1_sel:BYTE_3
	v_bitop3_b16 v134, v134, v135, s23 bitop3:0xec
	v_bitop3_b16 v125, v125, v130, s23 bitop3:0xec
	v_lshlrev_b32_e32 v125, 16, v125
	v_ashrrev_i32_e32 v132, s3, v133
	v_or_b32_sdwa v130, v134, v125 dst_sel:DWORD dst_unused:UNUSED_PAD src0_sel:WORD_0 src1_sel:DWORD
	v_ashrrev_i32_e32 v125, s19, v131
	v_lshlrev_b32_e32 v132, 2, v132
	v_bfe_u32 v131, v125, 24, 2
	v_and_b32_e32 v125, 0x3030303, v125
	v_and_b32_e32 v132, 0x4040404, v132
	v_sub_u16_e32 v133, v125, v132
	v_sub_u16_sdwa v134, v125, v132 dst_sel:BYTE_1 dst_unused:UNUSED_PAD src0_sel:BYTE_1 src1_sel:BYTE_1
	v_sub_u16_sdwa v125, v125, v132 dst_sel:DWORD dst_unused:UNUSED_PAD src0_sel:WORD_1 src1_sel:WORD_1
	v_sub_u16_sdwa v131, v131, v132 dst_sel:BYTE_1 dst_unused:UNUSED_PAD src0_sel:DWORD src1_sel:BYTE_3
	v_bitop3_b16 v133, v133, v134, s23 bitop3:0xec
	v_bitop3_b16 v125, v125, v131, s23 bitop3:0xec
	v_lshlrev_b32_e32 v125, 16, v125
	v_or_b32_sdwa v131, v133, v125 dst_sel:DWORD dst_unused:UNUSED_PAD src0_sel:WORD_0 src1_sel:DWORD
	v_add_u32_e32 v125, 0x3188, v127
	ds_read2_b32 v[132:133], v125 offset1:1
	ds_read2_b32 v[134:135], v136 offset0:2 offset1:3
	s_waitcnt lgkmcnt(1)
	v_ashrrev_i32_e32 v125, s19, v132
	s_waitcnt lgkmcnt(0)
	v_ashrrev_i32_e32 v134, s3, v134
	v_lshlrev_b32_e32 v134, 2, v134
	v_bfe_u32 v132, v125, 24, 2
	v_and_b32_e32 v125, 0x3030303, v125
	v_and_b32_e32 v134, 0x4040404, v134
	v_sub_u16_e32 v137, v125, v134
	v_sub_u16_sdwa v138, v125, v134 dst_sel:BYTE_1 dst_unused:UNUSED_PAD src0_sel:BYTE_1 src1_sel:BYTE_1
	v_sub_u16_sdwa v125, v125, v134 dst_sel:DWORD dst_unused:UNUSED_PAD src0_sel:WORD_1 src1_sel:WORD_1
	v_sub_u16_sdwa v132, v132, v134 dst_sel:BYTE_1 dst_unused:UNUSED_PAD src0_sel:DWORD src1_sel:BYTE_3
	v_bitop3_b16 v137, v137, v138, s23 bitop3:0xec
	v_bitop3_b16 v125, v125, v132, s23 bitop3:0xec
	v_lshlrev_b32_e32 v125, 16, v125
	v_or_b32_sdwa v137, v137, v125 dst_sel:DWORD dst_unused:UNUSED_PAD src0_sel:WORD_0 src1_sel:DWORD
	v_ashrrev_i32_e32 v125, s19, v133
	v_ashrrev_i32_e32 v133, s3, v135
	v_lshlrev_b32_e32 v133, 2, v133
	v_bfe_u32 v132, v125, 24, 2
	v_and_b32_e32 v125, 0x3030303, v125
	v_and_b32_e32 v133, 0x4040404, v133
	v_sub_u16_e32 v134, v125, v133
	v_sub_u16_sdwa v135, v125, v133 dst_sel:BYTE_1 dst_unused:UNUSED_PAD src0_sel:BYTE_1 src1_sel:BYTE_1
	v_sub_u16_sdwa v125, v125, v133 dst_sel:DWORD dst_unused:UNUSED_PAD src0_sel:WORD_1 src1_sel:WORD_1
	v_sub_u16_sdwa v132, v132, v133 dst_sel:BYTE_1 dst_unused:UNUSED_PAD src0_sel:DWORD src1_sel:BYTE_3
	v_bitop3_b16 v134, v134, v135, s23 bitop3:0xec
	v_bitop3_b16 v125, v125, v132, s23 bitop3:0xec
	v_lshlrev_b32_e32 v125, 16, v125
	v_or_b32_sdwa v138, v134, v125 dst_sel:DWORD dst_unused:UNUSED_PAD src0_sel:WORD_0 src1_sel:DWORD
	v_add_u32_e32 v125, 0x3190, v127
	ds_read2_b32 v[132:133], v125 offset1:1
	ds_read2_b32 v[134:135], v136 offset0:4 offset1:5
	s_waitcnt lgkmcnt(1)
	v_ashrrev_i32_e32 v125, s19, v132
	s_waitcnt lgkmcnt(0)
	v_ashrrev_i32_e32 v134, s3, v134
	v_lshlrev_b32_e32 v134, 2, v134
	v_bfe_u32 v132, v125, 24, 2
	v_and_b32_e32 v125, 0x3030303, v125
	v_and_b32_e32 v134, 0x4040404, v134
	v_sub_u16_e32 v139, v125, v134
	v_sub_u16_sdwa v140, v125, v134 dst_sel:BYTE_1 dst_unused:UNUSED_PAD src0_sel:BYTE_1 src1_sel:BYTE_1
	v_sub_u16_sdwa v125, v125, v134 dst_sel:DWORD dst_unused:UNUSED_PAD src0_sel:WORD_1 src1_sel:WORD_1
	v_sub_u16_sdwa v132, v132, v134 dst_sel:BYTE_1 dst_unused:UNUSED_PAD src0_sel:DWORD src1_sel:BYTE_3
	v_bitop3_b16 v139, v139, v140, s23 bitop3:0xec
	v_bitop3_b16 v125, v125, v132, s23 bitop3:0xec
	v_lshlrev_b32_e32 v125, 16, v125
	v_or_b32_sdwa v139, v139, v125 dst_sel:DWORD dst_unused:UNUSED_PAD src0_sel:WORD_0 src1_sel:DWORD
	v_ashrrev_i32_e32 v125, s19, v133
	;; [unrolled: 33-line block ×3, first 2 shown]
	v_ashrrev_i32_e32 v133, s3, v135
	v_lshlrev_b32_e32 v133, 2, v133
	v_bfe_u32 v132, v125, 24, 2
	v_and_b32_e32 v125, 0x3030303, v125
	v_and_b32_e32 v133, 0x4040404, v133
	v_sub_u16_e32 v134, v125, v133
	v_sub_u16_sdwa v135, v125, v133 dst_sel:BYTE_1 dst_unused:UNUSED_PAD src0_sel:BYTE_1 src1_sel:BYTE_1
	v_sub_u16_sdwa v125, v125, v133 dst_sel:DWORD dst_unused:UNUSED_PAD src0_sel:WORD_1 src1_sel:WORD_1
	v_sub_u16_sdwa v132, v132, v133 dst_sel:BYTE_1 dst_unused:UNUSED_PAD src0_sel:DWORD src1_sel:BYTE_3
	v_bitop3_b16 v134, v134, v135, s23 bitop3:0xec
	v_bitop3_b16 v125, v125, v132, s23 bitop3:0xec
	v_lshlrev_b32_e32 v125, 16, v125
	v_or_b32_sdwa v132, v134, v125 dst_sel:DWORD dst_unused:UNUSED_PAD src0_sel:WORD_0 src1_sel:DWORD
	v_mov_b32_e32 v134, 0
	v_add_u32_e32 v133, s28, v19
	v_add3_u32 v125, s27, v109, v111
	v_dot4c_i32_i8_e32 v134, v130, v6
	v_mov_b32_e32 v6, 0
	ds_read_b32 v125, v125
	v_dot4c_i32_i8_e32 v6, v139, v2
	ds_read_u16 v2, v133 offset:28402
	v_dot4c_i32_i8_e32 v134, v131, v7
	v_dot4c_i32_i8_e32 v134, v137, v8
	;; [unrolled: 1-line block ×5, first 2 shown]
	s_waitcnt lgkmcnt(0)
	v_lshrrev_b16_e32 v3, 8, v2
	v_bfe_i32 v2, v2, 0, 8
	v_dot4c_i32_i8_e32 v6, v132, v5
	v_bfe_i32 v5, v3, 0, 8
	v_mul_lo_u32 v4, v134, v2
	v_mad_u64_u32 v[2:3], s[28:29], v128, v129, v[126:127]
	v_mad_u64_u32 v[4:5], s[28:29], v6, v5, v[4:5]
	v_cvt_f32_i32_e32 v3, v4
	v_cvt_f32_i32_e32 v2, v2
	v_pk_mul_f32 v[6:7], v[122:123], v[124:125] op_sel_hi:[0,1]
	s_add_i32 s3, s3, 1
	v_add_u32_e32 v123, 4, v123
	v_pk_fma_f32 v[40:41], v[6:7], v[2:3], v[40:41]
	s_cmp_lt_u32 s18, 30
	s_mov_b32 s27, s18
	s_cbranch_scc1 .LBB190_35
; %bb.36:                               ;   in Loop: Header=BB190_5 Depth=1
	s_barrier
	s_branch .LBB190_4
.LBB190_37:
	s_mul_i32 s0, s10, s7
	s_waitcnt vmcnt(0)
	v_cmp_gt_i32_e32 vcc, s0, v1
	s_and_saveexec_b64 s[0:1], vcc
	s_cbranch_execz .LBB190_46
; %bb.38:
	v_and_b32_e32 v0, 0x3ff, v0
	v_add_u32_e32 v2, s11, v0
	v_mul_lo_u32 v0, v1, s9
	v_cmp_gt_u32_e32 vcc, s9, v2
	s_and_saveexec_b64 s[0:1], vcc
	s_cbranch_execz .LBB190_40
; %bb.39:
	v_add_u32_e32 v4, v0, v2
	v_mov_b32_e32 v5, 0
	v_lshl_add_u64 v[4:5], v[4:5], 2, s[16:17]
	global_store_dword v[4:5], v44, off
.LBB190_40:
	s_or_b64 exec, exec, s[0:1]
	v_add_u32_e32 v1, 32, v2
	v_cmp_gt_u32_e32 vcc, s9, v1
	s_and_saveexec_b64 s[0:1], vcc
	s_cbranch_execz .LBB190_42
; %bb.41:
	v_add_u32_e32 v4, v0, v1
	v_mov_b32_e32 v5, 0
	v_lshl_add_u64 v[4:5], v[4:5], 2, s[16:17]
	global_store_dword v[4:5], v45, off
.LBB190_42:
	s_or_b64 exec, exec, s[0:1]
	v_add_u32_e32 v1, 64, v2
	;; [unrolled: 11-line block ×3, first 2 shown]
	v_cmp_gt_u32_e32 vcc, s9, v1
	s_and_b64 exec, exec, vcc
	s_cbranch_execz .LBB190_46
; %bb.45:
	v_add_u32_e32 v0, v0, v1
	v_mov_b32_e32 v1, 0
	v_lshl_add_u64 v[0:1], v[0:1], 2, s[16:17]
	global_store_dword v[0:1], v41, off
.LBB190_46:
	s_endpgm
	.section	.rodata,"a",@progbits
	.p2align	6, 0x0
	.amdhsa_kernel _ZL8moe_q3_KIfLb1EEvPKvS1_PT_PKiS5_S5_iiiiiii
		.amdhsa_group_segment_fixed_size 31776
		.amdhsa_private_segment_fixed_size 0
		.amdhsa_kernarg_size 76
		.amdhsa_user_sgpr_count 2
		.amdhsa_user_sgpr_dispatch_ptr 0
		.amdhsa_user_sgpr_queue_ptr 0
		.amdhsa_user_sgpr_kernarg_segment_ptr 1
		.amdhsa_user_sgpr_dispatch_id 0
		.amdhsa_user_sgpr_kernarg_preload_length 0
		.amdhsa_user_sgpr_kernarg_preload_offset 0
		.amdhsa_user_sgpr_private_segment_size 0
		.amdhsa_uses_dynamic_stack 0
		.amdhsa_enable_private_segment 0
		.amdhsa_system_sgpr_workgroup_id_x 1
		.amdhsa_system_sgpr_workgroup_id_y 1
		.amdhsa_system_sgpr_workgroup_id_z 0
		.amdhsa_system_sgpr_workgroup_info 0
		.amdhsa_system_vgpr_workitem_id 1
		.amdhsa_next_free_vgpr 152
		.amdhsa_next_free_sgpr 96
		.amdhsa_accum_offset 152
		.amdhsa_reserve_vcc 1
		.amdhsa_float_round_mode_32 0
		.amdhsa_float_round_mode_16_64 0
		.amdhsa_float_denorm_mode_32 3
		.amdhsa_float_denorm_mode_16_64 3
		.amdhsa_dx10_clamp 1
		.amdhsa_ieee_mode 1
		.amdhsa_fp16_overflow 0
		.amdhsa_tg_split 0
		.amdhsa_exception_fp_ieee_invalid_op 0
		.amdhsa_exception_fp_denorm_src 0
		.amdhsa_exception_fp_ieee_div_zero 0
		.amdhsa_exception_fp_ieee_overflow 0
		.amdhsa_exception_fp_ieee_underflow 0
		.amdhsa_exception_fp_ieee_inexact 0
		.amdhsa_exception_int_div_zero 0
	.end_amdhsa_kernel
	.section	.text._ZL8moe_q3_KIfLb1EEvPKvS1_PT_PKiS5_S5_iiiiiii,"axG",@progbits,_ZL8moe_q3_KIfLb1EEvPKvS1_PT_PKiS5_S5_iiiiiii,comdat
.Lfunc_end190:
	.size	_ZL8moe_q3_KIfLb1EEvPKvS1_PT_PKiS5_S5_iiiiiii, .Lfunc_end190-_ZL8moe_q3_KIfLb1EEvPKvS1_PT_PKiS5_S5_iiiiiii
                                        ; -- End function
	.set _ZL8moe_q3_KIfLb1EEvPKvS1_PT_PKiS5_S5_iiiiiii.num_vgpr, 152
	.set _ZL8moe_q3_KIfLb1EEvPKvS1_PT_PKiS5_S5_iiiiiii.num_agpr, 0
	.set _ZL8moe_q3_KIfLb1EEvPKvS1_PT_PKiS5_S5_iiiiiii.numbered_sgpr, 36
	.set _ZL8moe_q3_KIfLb1EEvPKvS1_PT_PKiS5_S5_iiiiiii.num_named_barrier, 0
	.set _ZL8moe_q3_KIfLb1EEvPKvS1_PT_PKiS5_S5_iiiiiii.private_seg_size, 0
	.set _ZL8moe_q3_KIfLb1EEvPKvS1_PT_PKiS5_S5_iiiiiii.uses_vcc, 1
	.set _ZL8moe_q3_KIfLb1EEvPKvS1_PT_PKiS5_S5_iiiiiii.uses_flat_scratch, 0
	.set _ZL8moe_q3_KIfLb1EEvPKvS1_PT_PKiS5_S5_iiiiiii.has_dyn_sized_stack, 0
	.set _ZL8moe_q3_KIfLb1EEvPKvS1_PT_PKiS5_S5_iiiiiii.has_recursion, 0
	.set _ZL8moe_q3_KIfLb1EEvPKvS1_PT_PKiS5_S5_iiiiiii.has_indirect_call, 0
	.section	.AMDGPU.csdata,"",@progbits
; Kernel info:
; codeLenInByte = 20660
; TotalNumSgprs: 42
; NumVgprs: 152
; NumAgprs: 0
; TotalNumVgprs: 152
; ScratchSize: 0
; MemoryBound: 0
; FloatMode: 240
; IeeeMode: 1
; LDSByteSize: 31776 bytes/workgroup (compile time only)
; SGPRBlocks: 12
; VGPRBlocks: 18
; NumSGPRsForWavesPerEU: 102
; NumVGPRsForWavesPerEU: 152
; AccumOffset: 152
; Occupancy: 3
; WaveLimiterHint : 1
; COMPUTE_PGM_RSRC2:SCRATCH_EN: 0
; COMPUTE_PGM_RSRC2:USER_SGPR: 2
; COMPUTE_PGM_RSRC2:TRAP_HANDLER: 0
; COMPUTE_PGM_RSRC2:TGID_X_EN: 1
; COMPUTE_PGM_RSRC2:TGID_Y_EN: 1
; COMPUTE_PGM_RSRC2:TGID_Z_EN: 0
; COMPUTE_PGM_RSRC2:TIDIG_COMP_CNT: 1
; COMPUTE_PGM_RSRC3_GFX90A:ACCUM_OFFSET: 37
; COMPUTE_PGM_RSRC3_GFX90A:TG_SPLIT: 0
	.section	.text._ZL8moe_q4_KIfLb0EEvPKvS1_PT_PKiS5_S5_iiiiiii,"axG",@progbits,_ZL8moe_q4_KIfLb0EEvPKvS1_PT_PKiS5_S5_iiiiiii,comdat
	.globl	_ZL8moe_q4_KIfLb0EEvPKvS1_PT_PKiS5_S5_iiiiiii ; -- Begin function _ZL8moe_q4_KIfLb0EEvPKvS1_PT_PKiS5_S5_iiiiiii
	.p2align	8
	.type	_ZL8moe_q4_KIfLb0EEvPKvS1_PT_PKiS5_S5_iiiiiii,@function
_ZL8moe_q4_KIfLb0EEvPKvS1_PT_PKiS5_S5_iiiiiii: ; @_ZL8moe_q4_KIfLb0EEvPKvS1_PT_PKiS5_S5_iiiiiii
; %bb.0:
	s_load_dwordx4 s[4:7], s[0:1], 0x18
	s_mov_b32 s8, s3
	s_mov_b32 s9, 0
	s_lshl_b64 s[10:11], s[8:9], 2
	s_waitcnt lgkmcnt(0)
	s_add_u32 s6, s6, s10
	s_addc_u32 s7, s7, s11
	s_load_dword s3, s[6:7], 0x0
	s_waitcnt lgkmcnt(0)
	s_cmpk_gt_u32 s3, 0xff
	s_cbranch_scc1 .LBB191_26
; %bb.1:
	s_load_dwordx2 s[6:7], s[0:1], 0x28
	s_waitcnt lgkmcnt(0)
	s_load_dword s7, s[6:7], 0x0
	s_lshl_b32 s6, s8, 3
	s_waitcnt lgkmcnt(0)
	s_cmp_gt_u32 s6, s7
	s_cbranch_scc1 .LBB191_26
; %bb.2:
	v_bfe_u32 v2, v0, 10, 10
	v_mov_b32_e32 v4, s4
	v_mov_b32_e32 v5, s5
	v_add_u32_e32 v40, s6, v2
	v_mov_b32_e32 v41, 0
	v_lshl_add_u64 v[4:5], v[40:41], 2, v[4:5]
	global_load_dword v1, v[4:5], off
	s_load_dwordx2 s[14:15], s[0:1], 0x30
	s_load_dwordx2 s[12:13], s[0:1], 0x10
	s_load_dwordx4 s[4:7], s[0:1], 0x3c
	s_lshl_b32 s22, s2, 7
	v_mov_b32_e32 v40, v41
	s_waitcnt lgkmcnt(0)
	s_cmpk_lt_i32 s15, 0x100
	v_mov_b32_e32 v23, v41
	v_mov_b32_e32 v22, v41
	s_cbranch_scc1 .LBB191_17
; %bb.3:
	s_load_dwordx4 s[8:11], s[0:1], 0x0
	s_ashr_i32 s0, s15, 31
	s_lshr_b32 s0, s0, 24
	s_add_i32 s0, s15, s0
	s_ashr_i32 s23, s0, 8
	s_ashr_i32 s0, s5, 31
	s_lshr_b32 s0, s0, 27
	s_add_i32 s0, s5, s0
	v_and_b32_e32 v24, 0x3ff, v0
	s_ashr_i32 s5, s0, 5
	v_lshlrev_b32_e32 v6, 2, v24
	s_movk_i32 s0, 0x84
	v_mad_u32_u24 v84, v2, s0, v6
	s_lshl_b32 s0, s23, 3
	v_mov_b32_e32 v4, s0
	v_mad_i32_i24 v8, s23, v2, v4
	v_add_u32_e32 v10, s0, v8
	v_add_u32_e32 v12, s0, v10
	;; [unrolled: 1-line block ×11, first 2 shown]
	v_lshl_add_u32 v4, v2, 5, v24
	v_add_u32_e32 v34, s0, v33
	v_and_b32_e32 v5, 0x7f, v4
	v_lshrrev_b32_e32 v4, 3, v4
	v_and_b32_e32 v11, 3, v0
	v_add_u32_e32 v35, s0, v34
	v_mul_i32_i24_e32 v36, s23, v5
	v_and_b32_e32 v4, 12, v4
	v_lshlrev_b32_e32 v5, 2, v5
	s_movk_i32 s0, 0x4e40
	v_add_u32_e32 v13, 0xfe, v11
	v_add3_u32 v85, v5, v4, s0
	v_lshlrev_b32_e32 v4, 3, v2
	v_bfe_u32 v5, v0, 2, 8
	v_and_b32_e32 v13, 0xff, v13
	v_cmp_gt_u32_e32 vcc, 2, v11
	v_add_u32_e32 v9, v5, v4
	v_add_u16_e32 v4, v5, v4
	v_cndmask_b32_e32 v13, v13, v11, vcc
	v_cmp_ne_u32_e32 vcc, 0, v11
	s_mul_i32 s16, s3, s14
	v_cmp_lt_u32_e64 s[2:3], 1, v11
	v_addc_co_u32_e32 v37, vcc, 0, v13, vcc
	v_lshlrev_b32_e32 v87, 1, v13
	v_and_b32_e32 v13, 0x7f, v9
	v_lshlrev_b32_e32 v11, 2, v11
	v_lshrrev_b16_e32 v4, 1, v4
	v_mul_i32_i24_e32 v38, s23, v13
	v_lshl_or_b32 v13, v13, 4, v11
	v_and_b32_e32 v4, 60, v4
	s_movk_i32 s1, 0x4200
	v_add3_u32 v88, v13, v4, s1
	v_mov_b32_e32 v4, 0x7f
	v_bitop3_b32 v4, v9, 64, v4 bitop3:0x6c
	v_lshl_or_b32 v5, v4, 4, v11
	v_mov_b32_e32 v11, 0x4a40
	v_and_b32_e32 v9, 31, v0
	v_lshl_add_u32 v90, v2, 7, v11
	v_bfe_u32 v93, v0, 3, 7
	v_bfe_u32 v3, v0, 5, 5
	v_lshl_add_u32 v91, v9, 2, v90
	v_add_u32_e32 v9, v93, v6
	v_mov_b32_e32 v11, 0x4200
	v_lshl_add_u32 v94, v9, 2, v11
	v_lshlrev_b32_e32 v9, 2, v3
	v_add3_u32 v95, v9, v6, s0
	v_add_u32_e32 v9, 32, v24
	v_lshrrev_b32_e32 v96, 3, v9
	v_lshl_add_u32 v9, v9, 2, v96
	v_lshl_add_u32 v97, v9, 2, v11
	v_and_b32_e32 v9, 60, v96
	v_add3_u32 v98, v6, v9, s0
	v_add_u32_e32 v9, 64, v24
	v_lshrrev_b32_e32 v13, 3, v9
	v_and_b32_e32 v15, 4, v6
	v_lshl_add_u32 v9, v9, 2, v13
	s_abs_i32 s18, s7
	v_cndmask_b32_e64 v86, 0, v15, s[2:3]
	v_lshl_add_u32 v99, v9, 2, v11
	v_and_b32_e32 v9, 60, v13
	v_cvt_f32_u32_e32 v15, s18
	v_add3_u32 v100, v6, v9, s0
	v_add_u32_e32 v9, 0x60, v24
	v_lshrrev_b32_e32 v13, 3, v9
	v_lshl_add_u32 v9, v9, 2, v13
	v_lshl_add_u32 v101, v9, 2, v11
	v_rcp_iflag_f32_e32 v11, v15
	v_and_b32_e32 v9, 60, v13
	v_add3_u32 v102, v6, v9, s0
	s_sub_i32 s0, 0, s18
	v_mul_f32_e32 v9, 0x4f7ffffe, v11
	v_cvt_u32_f32_e32 v9, v9
	s_waitcnt vmcnt(0)
	v_sub_u32_e32 v11, 0, v1
	v_mul_i32_i24_e32 v39, s23, v4
	v_lshrrev_b32_e32 v4, 1, v4
	v_mul_lo_u32 v13, s0, v9
	v_mul_hi_u32 v13, v9, v13
	v_max_i32_e32 v11, v1, v11
	v_add_u32_e32 v9, v9, v13
	s_mul_i32 s14, s23, s22
	v_mov_b32_e32 v23, 0
	v_and_b32_e32 v4, 60, v4
	v_mul_hi_u32 v9, v11, v9
	v_add3_u32 v89, v5, v4, s1
	v_and_b32_e32 v4, 28, v6
	v_mov_b32_e32 v5, v23
	v_mul_lo_u32 v13, v9, s18
	s_mul_hi_i32 s21, s14, 0x90
	s_mul_i32 s20, s14, 0x90
	v_sub_u32_e32 v11, v11, v13
	s_waitcnt lgkmcnt(0)
	v_lshl_add_u64 v[26:27], s[10:11], 0, v[4:5]
	s_movk_i32 s26, 0x90
	v_mov_b64_e32 v[4:5], s[20:21]
	v_add_u32_e32 v13, 1, v9
	v_cmp_le_u32_e64 s[0:1], s18, v11
	v_mad_u64_u32 v[4:5], s[24:25], v3, s26, v[4:5]
	v_and_b32_e32 v22, 0x7c, v6
	v_cndmask_b32_e64 v9, v9, v13, s[0:1]
	v_subrev_u32_e32 v13, s18, v11
	v_mad_u64_u32 v[28:29], s[24:25], v25, s26, v[4:5]
	v_cndmask_b32_e64 v11, v11, v13, s[0:1]
	v_lshl_add_u64 v[40:41], v[28:29], 0, v[22:23]
	v_mad_u64_u32 v[28:29], s[24:25], v30, s26, v[4:5]
	v_add_u32_e32 v74, 0x5050, v6
	v_xor_b32_e32 v6, s7, v1
	v_add_u32_e32 v13, 1, v9
	v_cmp_le_u32_e64 s[0:1], s18, v11
	v_lshl_add_u64 v[52:53], v[28:29], 0, v[22:23]
	v_mad_u64_u32 v[28:29], s[24:25], v31, s26, v[4:5]
	v_ashrrev_i32_e32 v6, 31, v6
	v_cndmask_b32_e64 v9, v9, v13, s[0:1]
	v_lshl_add_u64 v[54:55], v[28:29], 0, v[22:23]
	v_mad_u64_u32 v[28:29], s[24:25], v32, s26, v[4:5]
	v_xor_b32_e32 v9, v9, v6
	v_lshl_add_u64 v[56:57], v[28:29], 0, v[22:23]
	v_mad_u64_u32 v[28:29], s[24:25], v33, s26, v[4:5]
	v_mul_i32_i24_e32 v7, s23, v2
	v_sub_u32_e32 v42, v9, v6
	v_lshl_add_u64 v[58:59], v[28:29], 0, v[22:23]
	v_mad_u64_u32 v[28:29], s[24:25], v34, s26, v[4:5]
	v_cmp_gt_u32_e32 vcc, 4, v24
	v_cmp_gt_i32_e64 s[0:1], s4, v42
	v_mad_u64_u32 v[6:7], s[24:25], v7, s26, v[4:5]
	v_mad_u64_u32 v[8:9], s[24:25], v8, s26, v[4:5]
	;; [unrolled: 1-line block ×8, first 2 shown]
	v_lshl_add_u64 v[60:61], v[28:29], 0, v[22:23]
	v_mad_u64_u32 v[28:29], s[24:25], v35, s26, v[4:5]
	s_ashr_i32 s17, s16, 31
	s_and_b64 s[18:19], vcc, s[0:1]
	v_lshl_add_u64 v[6:7], v[6:7], 0, v[22:23]
	s_mul_i32 s24, s23, 0x78
	v_lshl_add_u64 v[8:9], v[8:9], 0, v[22:23]
	v_mov_b32_e32 v3, s24
	s_add_u32 s20, s8, s20
	v_lshl_add_u64 v[6:7], s[8:9], 0, v[6:7]
	v_lshlrev_b32_e32 v92, 4, v2
	v_lshl_add_u64 v[10:11], v[10:11], 0, v[22:23]
	v_mad_i32_i24 v2, s23, v2, v3
	s_addc_u32 s21, s9, s21
	v_lshl_add_u64 v[32:33], v[6:7], 0, 16
	v_lshl_add_u64 v[6:7], s[8:9], 0, v[8:9]
	;; [unrolled: 1-line block ×3, first 2 shown]
	v_mad_u64_u32 v[2:3], s[24:25], v2, s26, v[4:5]
	v_mov_b64_e32 v[4:5], s[20:21]
	v_lshl_add_u64 v[34:35], v[6:7], 0, 16
	v_lshl_add_u64 v[6:7], s[8:9], 0, v[10:11]
	;; [unrolled: 1-line block ×8, first 2 shown]
	v_mad_u64_u32 v[28:29], s[20:21], v36, s26, v[4:5]
	v_lshlrev_b32_e32 v22, 2, v37
	v_lshl_add_u64 v[36:37], v[6:7], 0, 16
	v_lshl_add_u64 v[6:7], s[8:9], 0, v[12:13]
	v_mad_u64_u32 v[4:5], s[20:21], v38, s26, 0
	v_mov_b32_e32 v25, 0x90
	v_mad_u64_u32 v[30:31], s[20:21], v39, s26, 0
	v_lshl_add_u64 v[38:39], v[6:7], 0, 16
	v_lshl_add_u64 v[6:7], s[8:9], 0, v[14:15]
	v_mad_i64_i32 v[72:73], s[20:21], s14, v25, v[30:31]
	v_mul_lo_u32 v30, v42, s5
	v_lshl_add_u64 v[42:43], v[6:7], 0, 16
	v_lshl_add_u64 v[6:7], s[8:9], 0, v[16:17]
	;; [unrolled: 1-line block ×22, first 2 shown]
	v_cndmask_b32_e64 v2, 0, 1, s[2:3]
	v_mad_i64_i32 v[4:5], s[20:21], s14, v25, v[4:5]
	v_lshl_add_u64 v[62:63], v[6:7], 0, 16
	v_lshlrev_b32_e32 v6, 2, v2
	v_or_b32_e32 v2, v4, v6
	v_mov_b32_e32 v3, v5
	v_lshl_add_u64 v[2:3], s[8:9], 0, v[2:3]
	v_lshl_add_u64 v[66:67], v[2:3], 0, 4
	;; [unrolled: 1-line block ×5, first 2 shown]
	v_or_b32_e32 v2, v72, v6
	v_mov_b32_e32 v3, v73
	v_lshl_add_u64 v[2:3], s[8:9], 0, v[2:3]
	v_lshl_add_u64 v[70:71], v[2:3], 0, 4
	;; [unrolled: 1-line block ×4, first 2 shown]
	v_mul_u32_u24_e32 v112, 0x84, v24
	v_ashrrev_i32_e32 v31, 31, v30
	v_lshl_add_u64 v[72:73], v[2:3], 0, 4
	s_movk_i32 s14, 0x80
	s_mov_b32 s24, 0x30303030
	v_add_u32_e32 v103, v74, v92
	s_mov_b64 s[8:9], 0x90
	v_mov_b32_e32 v22, v23
	v_mov_b32_e32 v40, v23
	;; [unrolled: 1-line block ×3, first 2 shown]
	v_add_u32_e32 v104, 0x2100, v84
	v_add_u32_e32 v105, 0x2520, v84
	;; [unrolled: 1-line block ×32, first 2 shown]
	s_branch .LBB191_6
.LBB191_4:                              ;   in Loop: Header=BB191_6 Depth=1
	s_or_b64 exec, exec, s[20:21]
	s_waitcnt lgkmcnt(0)
	s_barrier
	ds_read2_b32 v[74:75], v112 offset0:16 offset1:17
	ds_read_b128 v[14:17], v90
	ds_read_b128 v[10:13], v90 offset:16
	ds_read_b128 v[6:9], v90 offset:32
	;; [unrolled: 1-line block ×4, first 2 shown]
	ds_read2_b32 v[76:77], v112 offset0:18 offset1:19
	s_waitcnt lgkmcnt(6)
	v_and_b32_e32 v25, 0xf0f0f0f, v74
	v_mov_b32_e32 v137, 0
	s_waitcnt lgkmcnt(5)
	v_dot4c_i32_i8_e32 v137, v25, v14
	v_and_b32_e32 v25, 0xf0f0f0f, v75
	ds_read2_b32 v[78:79], v112 offset0:20 offset1:21
	ds_read2_b32 v[80:81], v112 offset0:22 offset1:23
	;; [unrolled: 1-line block ×3, first 2 shown]
	v_dot4c_i32_i8_e32 v137, v25, v15
	s_waitcnt lgkmcnt(3)
	v_and_b32_e32 v25, 0xf0f0f0f, v76
	v_dot4c_i32_i8_e32 v137, v25, v16
	v_and_b32_e32 v25, 0xf0f0f0f, v77
	v_dot4c_i32_i8_e32 v137, v25, v17
	s_waitcnt lgkmcnt(2)
	v_and_b32_e32 v25, 0xf0f0f0f, v78
	v_dot4c_i32_i8_e32 v137, v25, v10
	v_and_b32_e32 v25, 0xf0f0f0f, v79
	v_dot4c_i32_i8_e32 v137, v25, v11
	s_waitcnt lgkmcnt(1)
	v_and_b32_e32 v25, 0xf0f0f0f, v80
	v_dot4c_i32_i8_e32 v137, v25, v12
	v_and_b32_e32 v25, 0xf0f0f0f, v81
	v_dot4c_i32_i8_e32 v137, v25, v13
	v_lshrrev_b32_e32 v25, 4, v74
	v_and_b32_e32 v25, 0xf0f0f0f, v25
	v_mov_b32_e32 v149, 0
	v_dot4c_i32_i8_e32 v149, v25, v6
	v_lshrrev_b32_e32 v25, 4, v75
	v_and_b32_e32 v25, 0xf0f0f0f, v25
	v_dot4c_i32_i8_e32 v149, v25, v7
	v_lshrrev_b32_e32 v25, 4, v76
	v_and_b32_e32 v25, 0xf0f0f0f, v25
	;; [unrolled: 3-line block ×3, first 2 shown]
	v_add_u32_e32 v74, 0x10c0, v112
	v_dot4c_i32_i8_e32 v149, v25, v9
	v_lshrrev_b32_e32 v25, 4, v78
	ds_read2_b32 v[74:75], v74 offset1:1
	v_and_b32_e32 v25, 0xf0f0f0f, v25
	v_dot4c_i32_i8_e32 v149, v25, v2
	v_lshrrev_b32_e32 v25, 4, v79
	v_and_b32_e32 v25, 0xf0f0f0f, v25
	v_dot4c_i32_i8_e32 v149, v25, v3
	v_lshrrev_b32_e32 v25, 4, v80
	v_and_b32_e32 v25, 0xf0f0f0f, v25
	s_waitcnt lgkmcnt(0)
	v_and_b32_e32 v76, 0xf0f0f0f, v74
	v_mov_b32_e32 v153, 0
	v_dot4c_i32_i8_e32 v149, v25, v4
	v_lshrrev_b32_e32 v25, 4, v81
	v_dot4c_i32_i8_e32 v153, v76, v14
	v_and_b32_e32 v76, 0xf0f0f0f, v75
	v_and_b32_e32 v25, 0xf0f0f0f, v25
	v_dot4c_i32_i8_e32 v153, v76, v15
	v_add_u32_e32 v76, 0x10c8, v112
	v_dot4c_i32_i8_e32 v149, v25, v5
	ds_read_b32 v152, v98 offset:128
	ds_read_b32 v25, v100 offset:256
	;; [unrolled: 1-line block ×3, first 2 shown]
	ds_read2_b32 v[76:77], v76 offset1:1
	v_lshrrev_b32_e32 v74, 4, v74
	v_and_b32_e32 v74, 0xf0f0f0f, v74
	v_mov_b32_e32 v154, 0
	v_dot4c_i32_i8_e32 v154, v74, v6
	v_lshrrev_b32_e32 v74, 4, v75
	v_and_b32_e32 v74, 0xf0f0f0f, v74
	v_add_u32_e32 v78, 0x10d0, v112
	v_add_u32_e32 v80, 0x10d8, v112
	;; [unrolled: 1-line block ×3, first 2 shown]
	v_dot4c_i32_i8_e32 v154, v74, v7
	s_waitcnt lgkmcnt(0)
	v_lshrrev_b32_e32 v74, 4, v76
	ds_read2_b32 v[78:79], v78 offset1:1
	ds_read2_b32 v[80:81], v80 offset1:1
	;; [unrolled: 1-line block ×3, first 2 shown]
	v_and_b32_e32 v74, 0xf0f0f0f, v74
	v_dot4c_i32_i8_e32 v154, v74, v8
	v_lshrrev_b32_e32 v74, 4, v77
	v_and_b32_e32 v74, 0xf0f0f0f, v74
	v_dot4c_i32_i8_e32 v154, v74, v9
	s_waitcnt lgkmcnt(2)
	v_lshrrev_b32_e32 v74, 4, v78
	v_and_b32_e32 v74, 0xf0f0f0f, v74
	v_dot4c_i32_i8_e32 v154, v74, v2
	v_lshrrev_b32_e32 v74, 4, v79
	v_and_b32_e32 v74, 0xf0f0f0f, v74
	v_dot4c_i32_i8_e32 v154, v74, v3
	s_waitcnt lgkmcnt(1)
	v_lshrrev_b32_e32 v74, 4, v80
	v_and_b32_e32 v74, 0xf0f0f0f, v74
	v_dot4c_i32_i8_e32 v154, v74, v4
	v_lshrrev_b32_e32 v74, 4, v81
	v_and_b32_e32 v74, 0xf0f0f0f, v74
	v_and_b32_e32 v140, 0xf0f0f0f, v76
	v_dot4c_i32_i8_e32 v154, v74, v5
	s_waitcnt lgkmcnt(0)
	v_and_b32_e32 v74, 0xf0f0f0f, v82
	v_mov_b32_e32 v75, 0
	v_dot4c_i32_i8_e32 v153, v140, v16
	v_and_b32_e32 v140, 0xf0f0f0f, v77
	v_dot4c_i32_i8_e32 v75, v74, v14
	v_and_b32_e32 v74, 0xf0f0f0f, v83
	;; [unrolled: 2-line block ×3, first 2 shown]
	v_dot4c_i32_i8_e32 v75, v74, v15
	v_add_u32_e32 v74, 0x2148, v112
	v_dot4c_i32_i8_e32 v153, v140, v10
	v_and_b32_e32 v140, 0xf0f0f0f, v79
	ds_read2_b32 v[78:79], v74 offset1:1
	v_lshrrev_b32_e32 v82, 4, v82
	v_dot4c_i32_i8_e32 v153, v140, v11
	v_and_b32_e32 v140, 0xf0f0f0f, v80
	v_and_b32_e32 v82, 0xf0f0f0f, v82
	v_mov_b32_e32 v145, 0
	v_dot4c_i32_i8_e32 v153, v140, v12
	v_and_b32_e32 v140, 0xf0f0f0f, v81
	v_add_u32_e32 v74, 0x2150, v112
	v_dot4c_i32_i8_e32 v145, v82, v6
	v_lshrrev_b32_e32 v82, 4, v83
	v_dot4c_i32_i8_e32 v153, v140, v13
	v_add_u32_e32 v76, 0x2158, v112
	v_add_u32_e32 v77, 0x31c0, v112
	ds_read2_b32 v[80:81], v74 offset1:1
	ds_read2_b32 v[140:141], v76 offset1:1
	;; [unrolled: 1-line block ×3, first 2 shown]
	s_waitcnt lgkmcnt(3)
	v_and_b32_e32 v74, 0xf0f0f0f, v78
	v_and_b32_e32 v82, 0xf0f0f0f, v82
	v_lshrrev_b32_e32 v78, 4, v78
	v_dot4c_i32_i8_e32 v145, v82, v7
	v_and_b32_e32 v78, 0xf0f0f0f, v78
	v_dot4c_i32_i8_e32 v145, v78, v8
	v_lshrrev_b32_e32 v78, 4, v79
	v_and_b32_e32 v78, 0xf0f0f0f, v78
	v_dot4c_i32_i8_e32 v75, v74, v16
	v_and_b32_e32 v74, 0xf0f0f0f, v79
	v_dot4c_i32_i8_e32 v145, v78, v9
	s_waitcnt lgkmcnt(2)
	v_lshrrev_b32_e32 v78, 4, v80
	v_dot4c_i32_i8_e32 v75, v74, v17
	v_and_b32_e32 v74, 0xf0f0f0f, v80
	v_and_b32_e32 v78, 0xf0f0f0f, v78
	s_waitcnt lgkmcnt(0)
	v_and_b32_e32 v80, 0xf0f0f0f, v142
	v_mov_b32_e32 v156, 0
	v_dot4c_i32_i8_e32 v145, v78, v2
	v_lshrrev_b32_e32 v78, 4, v81
	v_dot4c_i32_i8_e32 v156, v80, v14
	v_and_b32_e32 v14, 0xf0f0f0f, v143
	ds_read2_b32 v[76:77], v99 offset0:1 offset1:3
	v_and_b32_e32 v78, 0xf0f0f0f, v78
	v_dot4c_i32_i8_e32 v156, v14, v15
	v_add_u32_e32 v14, 0x31c8, v112
	v_dot4c_i32_i8_e32 v145, v78, v3
	v_lshrrev_b32_e32 v78, 4, v140
	ds_read2_b32 v[14:15], v14 offset1:1
	v_and_b32_e32 v78, 0xf0f0f0f, v78
	v_dot4c_i32_i8_e32 v75, v74, v10
	v_and_b32_e32 v74, 0xf0f0f0f, v81
	v_dot4c_i32_i8_e32 v145, v78, v4
	v_lshrrev_b32_e32 v78, 4, v141
	v_dot4c_i32_i8_e32 v75, v74, v11
	v_and_b32_e32 v74, 0xf0f0f0f, v140
	v_and_b32_e32 v78, 0xf0f0f0f, v78
	v_add_u32_e32 v80, 0x31d0, v112
	v_add_u32_e32 v82, 0x31d8, v112
	;; [unrolled: 1-line block ×3, first 2 shown]
	v_dot4c_i32_i8_e32 v75, v74, v12
	v_and_b32_e32 v74, 0xf0f0f0f, v141
	v_dot4c_i32_i8_e32 v145, v78, v5
	s_waitcnt lgkmcnt(1)
	v_bfe_u32 v78, v76, 8, 8
	ds_read2_b32 v[80:81], v80 offset1:1
	ds_read2_b32 v[82:83], v82 offset1:1
	;; [unrolled: 1-line block ×3, first 2 shown]
	v_mul_lo_u32 v78, v145, v78
	s_waitcnt lgkmcnt(3)
	v_and_b32_e32 v145, 0xf0f0f0f, v14
	v_dot4c_i32_i8_e32 v156, v145, v16
	v_and_b32_e32 v16, 0xf0f0f0f, v15
	v_dot4c_i32_i8_e32 v156, v16, v17
	s_waitcnt lgkmcnt(2)
	v_and_b32_e32 v16, 0xf0f0f0f, v80
	v_dot4c_i32_i8_e32 v156, v16, v10
	v_and_b32_e32 v10, 0xf0f0f0f, v81
	v_dot4c_i32_i8_e32 v156, v10, v11
	;; [unrolled: 5-line block ×3, first 2 shown]
	v_lshrrev_b32_e32 v10, 4, v142
	v_and_b32_e32 v10, 0xf0f0f0f, v10
	v_mov_b32_e32 v157, 0
	v_dot4c_i32_i8_e32 v157, v10, v6
	v_lshrrev_b32_e32 v6, 4, v143
	v_and_b32_e32 v6, 0xf0f0f0f, v6
	v_dot4c_i32_i8_e32 v157, v6, v7
	v_lshrrev_b32_e32 v6, 4, v14
	v_and_b32_e32 v6, 0xf0f0f0f, v6
	;; [unrolled: 3-line block ×7, first 2 shown]
	v_dot4c_i32_i8_e32 v75, v74, v13
	v_dot4c_i32_i8_e32 v157, v2, v5
	ds_read_b128 v[10:13], v90 offset:64
	ds_read_b128 v[14:17], v90 offset:80
	;; [unrolled: 1-line block ×4, first 2 shown]
	ds_read2_b32 v[142:143], v112 offset0:26 offset1:27
	v_cvt_f32_f16_e32 v6, v144
	v_cvt_f32_f16_sdwa v8, v144 dst_sel:DWORD dst_unused:UNUSED_PAD src0_sel:WORD_1
	v_and_b32_e32 v7, 0xf0f0f0f, v138
	v_mov_b32_e32 v158, 0
	ds_read_b32 v159, v95
	ds_read2_b32 v[144:145], v112 offset0:28 offset1:29
	ds_read2_b32 v[146:147], v112 offset0:30 offset1:31
	s_waitcnt lgkmcnt(7)
	v_dot4c_i32_i8_e32 v158, v7, v10
	v_and_b32_e32 v7, 0xf0f0f0f, v139
	v_dot4c_i32_i8_e32 v158, v7, v11
	s_waitcnt lgkmcnt(3)
	v_and_b32_e32 v7, 0xf0f0f0f, v142
	v_dot4c_i32_i8_e32 v158, v7, v12
	v_and_b32_e32 v7, 0xf0f0f0f, v143
	v_dot4c_i32_i8_e32 v158, v7, v13
	s_waitcnt lgkmcnt(1)
	v_and_b32_e32 v7, 0xf0f0f0f, v144
	;; [unrolled: 5-line block ×3, first 2 shown]
	v_dot4c_i32_i8_e32 v158, v7, v16
	v_and_b32_e32 v7, 0xf0f0f0f, v147
	v_dot4c_i32_i8_e32 v158, v7, v17
	v_lshrrev_b32_e32 v7, 4, v138
	v_and_b32_e32 v7, 0xf0f0f0f, v7
	v_mov_b32_e32 v160, 0
	v_dot4c_i32_i8_e32 v160, v7, v80
	v_lshrrev_b32_e32 v7, 4, v139
	v_and_b32_e32 v7, 0xf0f0f0f, v7
	v_dot4c_i32_i8_e32 v160, v7, v81
	v_lshrrev_b32_e32 v7, 4, v142
	v_and_b32_e32 v7, 0xf0f0f0f, v7
	;; [unrolled: 3-line block ×7, first 2 shown]
	v_dot4c_i32_i8_e32 v160, v7, v5
	v_and_b32_e32 v7, 0xf0f0f0f, v140
	v_mov_b32_e32 v161, 0
	v_dot4c_i32_i8_e32 v161, v7, v10
	v_and_b32_e32 v7, 0xf0f0f0f, v141
	v_dot4c_i32_i8_e32 v161, v7, v11
	v_add_u32_e32 v7, 0x10e8, v112
	ds_read2_b32 v[138:139], v7 offset1:1
	v_add_u32_e32 v7, 0x10f0, v112
	v_add_u32_e32 v146, 0x2160, v112
	;; [unrolled: 1-line block ×3, first 2 shown]
	ds_read2_b32 v[142:143], v7 offset1:1
	ds_read2_b32 v[144:145], v9 offset1:1
	;; [unrolled: 1-line block ×3, first 2 shown]
	s_waitcnt lgkmcnt(3)
	v_and_b32_e32 v7, 0xf0f0f0f, v138
	v_dot4c_i32_i8_e32 v161, v7, v12
	v_and_b32_e32 v7, 0xf0f0f0f, v139
	v_dot4c_i32_i8_e32 v161, v7, v13
	s_waitcnt lgkmcnt(2)
	v_and_b32_e32 v7, 0xf0f0f0f, v142
	v_dot4c_i32_i8_e32 v161, v7, v14
	v_and_b32_e32 v7, 0xf0f0f0f, v143
	v_dot4c_i32_i8_e32 v161, v7, v15
	;; [unrolled: 5-line block ×3, first 2 shown]
	v_lshrrev_b32_e32 v7, 4, v140
	v_and_b32_e32 v7, 0xf0f0f0f, v7
	v_mov_b32_e32 v162, 0
	v_dot4c_i32_i8_e32 v162, v7, v80
	v_lshrrev_b32_e32 v7, 4, v141
	v_and_b32_e32 v7, 0xf0f0f0f, v7
	v_dot4c_i32_i8_e32 v162, v7, v81
	v_lshrrev_b32_e32 v7, 4, v138
	v_and_b32_e32 v7, 0xf0f0f0f, v7
	;; [unrolled: 3-line block ×7, first 2 shown]
	v_dot4c_i32_i8_e32 v162, v7, v5
	s_waitcnt lgkmcnt(0)
	v_and_b32_e32 v7, 0xf0f0f0f, v146
	v_mov_b32_e32 v9, 0
	v_dot4c_i32_i8_e32 v9, v7, v10
	v_and_b32_e32 v7, 0xf0f0f0f, v147
	v_dot4c_i32_i8_e32 v9, v7, v11
	v_add_u32_e32 v7, 0x2168, v112
	ds_read2_b32 v[138:139], v7 offset1:1
	v_add_u32_e32 v7, 0x2170, v112
	v_add_u32_e32 v142, 0x2178, v112
	;; [unrolled: 1-line block ×3, first 2 shown]
	ds_read2_b32 v[140:141], v7 offset1:1
	ds_read2_b32 v[142:143], v142 offset1:1
	;; [unrolled: 1-line block ×3, first 2 shown]
	s_waitcnt lgkmcnt(3)
	v_and_b32_e32 v7, 0xf0f0f0f, v138
	v_dot4c_i32_i8_e32 v9, v7, v12
	v_and_b32_e32 v7, 0xf0f0f0f, v139
	v_dot4c_i32_i8_e32 v9, v7, v13
	s_waitcnt lgkmcnt(2)
	v_and_b32_e32 v7, 0xf0f0f0f, v140
	v_dot4c_i32_i8_e32 v9, v7, v14
	v_and_b32_e32 v7, 0xf0f0f0f, v141
	v_dot4c_i32_i8_e32 v9, v7, v15
	s_waitcnt lgkmcnt(1)
	v_and_b32_e32 v7, 0xf0f0f0f, v142
	v_dot4c_i32_i8_e32 v9, v7, v16
	v_and_b32_e32 v7, 0xf0f0f0f, v143
	v_dot4c_i32_i8_e32 v9, v7, v17
	v_bfe_u32 v7, v76, 16, 8
	v_lshrrev_b32_e32 v155, 24, v76
	v_and_b32_e32 v74, 0xff, v76
	v_mul_lo_u32 v7, v9, v7
	v_cvt_f32_i32_e32 v148, v7
	v_lshrrev_b32_e32 v7, 4, v146
	v_and_b32_e32 v7, 0xf0f0f0f, v7
	v_mov_b32_e32 v76, 0
	v_dot4c_i32_i8_e32 v76, v7, v80
	v_lshrrev_b32_e32 v7, 4, v147
	v_and_b32_e32 v7, 0xf0f0f0f, v7
	v_dot4c_i32_i8_e32 v76, v7, v81
	v_lshrrev_b32_e32 v7, 4, v138
	v_and_b32_e32 v7, 0xf0f0f0f, v7
	v_dot4c_i32_i8_e32 v76, v7, v82
	v_lshrrev_b32_e32 v7, 4, v139
	v_and_b32_e32 v7, 0xf0f0f0f, v7
	v_dot4c_i32_i8_e32 v76, v7, v83
	v_lshrrev_b32_e32 v7, 4, v140
	v_and_b32_e32 v7, 0xf0f0f0f, v7
	v_dot4c_i32_i8_e32 v76, v7, v2
	v_lshrrev_b32_e32 v7, 4, v141
	v_and_b32_e32 v7, 0xf0f0f0f, v7
	v_dot4c_i32_i8_e32 v76, v7, v3
	v_lshrrev_b32_e32 v7, 4, v142
	v_and_b32_e32 v7, 0xf0f0f0f, v7
	v_dot4c_i32_i8_e32 v76, v7, v4
	v_lshrrev_b32_e32 v7, 4, v143
	v_and_b32_e32 v7, 0xf0f0f0f, v7
	v_dot4c_i32_i8_e32 v76, v7, v5
	s_waitcnt lgkmcnt(0)
	v_and_b32_e32 v7, 0xf0f0f0f, v144
	v_mov_b32_e32 v9, 0
	v_dot4c_i32_i8_e32 v9, v7, v10
	v_and_b32_e32 v7, 0xf0f0f0f, v145
	v_dot4c_i32_i8_e32 v9, v7, v11
	v_add_u32_e32 v7, 0x31e8, v112
	ds_read2_b32 v[10:11], v7 offset1:1
	v_add_u32_e32 v7, 0x31f0, v112
	v_cvt_f32_f16_e32 v138, v18
	v_cvt_f32_f16_sdwa v140, v18 dst_sel:DWORD dst_unused:UNUSED_PAD src0_sel:WORD_1
	v_add_u32_e32 v18, 0x31f8, v112
	ds_read2_b32 v[146:147], v7 offset1:1
	ds_read2_b32 v[150:151], v18 offset1:1
	s_waitcnt lgkmcnt(2)
	v_and_b32_e32 v7, 0xf0f0f0f, v10
	v_dot4c_i32_i8_e32 v9, v7, v12
	v_and_b32_e32 v7, 0xf0f0f0f, v11
	v_dot4c_i32_i8_e32 v9, v7, v13
	ds_read2_b32 v[12:13], v101 offset0:1 offset1:3
	s_waitcnt lgkmcnt(2)
	v_and_b32_e32 v7, 0xf0f0f0f, v146
	v_dot4c_i32_i8_e32 v9, v7, v14
	v_and_b32_e32 v7, 0xf0f0f0f, v147
	v_dot4c_i32_i8_e32 v9, v7, v15
	s_waitcnt lgkmcnt(1)
	v_and_b32_e32 v7, 0xf0f0f0f, v150
	v_dot4c_i32_i8_e32 v9, v7, v16
	v_and_b32_e32 v7, 0xf0f0f0f, v151
	v_dot4c_i32_i8_e32 v9, v7, v17
	s_waitcnt lgkmcnt(0)
	v_and_b32_e32 v7, 0xff, v12
	v_bfe_u32 v14, v12, 16, 8
	v_mul_lo_u32 v7, v156, v7
	v_mul_lo_u32 v9, v9, v14
	v_cvt_f32_i32_e32 v14, v7
	v_lshrrev_b32_e32 v7, 4, v144
	v_cvt_f32_i32_e32 v15, v9
	v_and_b32_e32 v7, 0xf0f0f0f, v7
	v_mov_b32_e32 v9, 0
	v_dot4c_i32_i8_e32 v9, v7, v80
	v_lshrrev_b32_e32 v7, 4, v145
	v_and_b32_e32 v7, 0xf0f0f0f, v7
	v_dot4c_i32_i8_e32 v9, v7, v81
	v_lshrrev_b32_e32 v7, 4, v10
	v_and_b32_e32 v7, 0xf0f0f0f, v7
	;; [unrolled: 3-line block ×7, first 2 shown]
	v_dot4c_i32_i8_e32 v9, v2, v5
	v_lshrrev_b32_e32 v2, 24, v12
	v_bfe_u32 v3, v12, 8, 8
	v_cvt_f32_f16_e32 v139, v20
	v_mul_lo_u32 v4, v157, v3
	v_mul_lo_u32 v2, v9, v2
	v_cvt_f32_f16_e32 v143, v21
	v_cvt_f32_f16_e32 v142, v19
	v_cvt_f32_i32_e32 v3, v2
	v_cvt_f32_i32_e32 v2, v4
	v_cvt_f32_f16_sdwa v141, v20 dst_sel:DWORD dst_unused:UNUSED_PAD src0_sel:WORD_1
	v_cvt_f32_f16_sdwa v17, v21 dst_sel:DWORD dst_unused:UNUSED_PAD src0_sel:WORD_1
	;; [unrolled: 1-line block ×3, first 2 shown]
	v_pk_fma_f32 v[14:15], v[138:139], v[14:15], 0 op_sel_hi:[1,1,0]
	v_cvt_f32_ubyte2_e32 v5, v13
	v_cvt_f32_ubyte0_e32 v4, v13
	v_pk_fma_f32 v[2:3], v[142:143], v[2:3], v[14:15]
	v_cvt_f32_ubyte3_e32 v11, v13
	v_cvt_f32_ubyte1_e32 v10, v13
	ds_read2_b32 v[12:13], v94 offset0:1 offset1:3
	ds_read2_b32 v[14:15], v97 offset0:1 offset1:3
	v_pk_fma_f32 v[4:5], v[140:141], v[4:5], 0 op_sel_hi:[1,1,0]
	v_cvt_f32_f16_sdwa v21, v152 dst_sel:DWORD dst_unused:UNUSED_PAD src0_sel:WORD_1
	v_pk_fma_f32 v[4:5], v[16:17], v[10:11], v[4:5]
	s_waitcnt lgkmcnt(1)
	v_lshrrev_b32_e32 v144, 24, v12
	v_pk_mul_f32 v[4:5], v[4:5], v[8:9] op_sel_hi:[1,0]
	s_waitcnt lgkmcnt(0)
	v_bfe_u32 v8, v14, 8, 8
	v_pk_fma_f32 v[2:3], v[2:3], v[6:7], v[4:5] op_sel_hi:[1,0,1] neg_lo:[0,0,1] neg_hi:[0,0,1]
	v_and_b32_e32 v4, 0xff, v14
	v_and_b32_e32 v5, 0xff, v12
	v_mul_lo_u32 v6, v137, v5
	v_mul_lo_u32 v4, v153, v4
	v_bfe_u32 v9, v12, 8, 8
	v_cvt_f32_i32_e32 v5, v4
	v_cvt_f32_i32_e32 v4, v6
	v_mul_lo_u32 v10, v149, v9
	v_mul_lo_u32 v8, v154, v8
	v_lshrrev_b32_e32 v145, 24, v14
	v_cvt_f32_i32_e32 v9, v8
	v_cvt_f32_i32_e32 v8, v10
	v_cvt_f32_f16_sdwa v20, v159 dst_sel:DWORD dst_unused:UNUSED_PAD src0_sel:WORD_1
	v_bfe_u32 v14, v14, 16, 8
	v_bfe_u32 v12, v12, 16, 8
	v_cvt_f32_ubyte0_e32 v7, v15
	v_cvt_f32_ubyte0_e32 v6, v13
	v_cvt_f32_f16_e32 v19, v152
	v_cvt_f32_f16_e32 v18, v159
	v_mul_lo_u32 v12, v158, v12
	v_mul_lo_u32 v14, v161, v14
	v_cvt_f32_ubyte1_e32 v11, v15
	v_cvt_f32_ubyte1_e32 v10, v13
	v_cvt_f32_i32_e32 v81, v14
	v_cvt_f32_i32_e32 v80, v12
	v_mul_lo_u32 v12, v160, v144
	v_mul_lo_u32 v14, v162, v145
	v_pk_fma_f32 v[6:7], v[140:141], v[6:7], 0 op_sel_hi:[0,1,0]
	v_cvt_f32_i32_e32 v145, v14
	v_cvt_f32_i32_e32 v144, v12
	v_pk_fma_f32 v[4:5], v[138:139], v[4:5], 0 op_sel_hi:[0,1,0]
	v_pk_fma_f32 v[6:7], v[16:17], v[10:11], v[6:7] op_sel_hi:[0,1,1]
	;; [unrolled: 1-line block ×3, first 2 shown]
	v_pk_mul_f32 v[6:7], v[6:7], v[20:21]
	v_cvt_f32_ubyte2_e32 v83, v15
	v_pk_fma_f32 v[4:5], v[4:5], v[18:19], v[6:7] neg_lo:[0,0,1] neg_hi:[0,0,1]
	v_mov_b32_e32 v6, v139
	v_cvt_f32_ubyte2_e32 v82, v13
	v_pk_fma_f32 v[6:7], v[6:7], v[80:81], 0 op_sel_hi:[0,1,0]
	v_mov_b32_e32 v8, v141
	v_mov_b32_e32 v10, v143
	v_cvt_f32_ubyte3_e32 v15, v15
	v_cvt_f32_ubyte3_e32 v14, v13
	v_pk_fma_f32 v[8:9], v[8:9], v[82:83], 0 op_sel_hi:[0,1,0]
	v_pk_fma_f32 v[6:7], v[10:11], v[144:145], v[6:7] op_sel_hi:[0,1,1]
	v_mov_b32_e32 v10, v17
	v_mul_lo_u32 v74, v75, v74
	v_pk_fma_f32 v[8:9], v[10:11], v[14:15], v[8:9] op_sel_hi:[0,1,1]
	v_cvt_f32_i32_e32 v74, v74
	v_pk_mul_f32 v[8:9], v[8:9], v[20:21]
	v_cvt_f32_i32_e32 v78, v78
	v_pk_add_f32 v[4:5], v[22:23], v[4:5]
	v_pk_fma_f32 v[6:7], v[6:7], v[18:19], v[8:9] neg_lo:[0,0,1] neg_hi:[0,0,1]
	v_cvt_f32_ubyte0_e32 v75, v77
	v_pk_add_f32 v[22:23], v[4:5], v[6:7]
	v_cvt_f32_f16_sdwa v7, v25 dst_sel:DWORD dst_unused:UNUSED_PAD src0_sel:WORD_1
	v_mul_lo_u32 v4, v76, v155
	v_cvt_f32_f16_e32 v6, v25
	v_mov_b32_e32 v8, v138
	v_mov_b32_e32 v9, v140
	v_cvt_f32_ubyte1_e32 v79, v77
	v_cvt_f32_i32_e32 v4, v4
	v_pk_fma_f32 v[8:9], v[8:9], v[74:75], 0 op_sel_hi:[1,1,0]
	v_mov_b32_e32 v10, v142
	v_mov_b32_e32 v11, v16
	v_pk_fma_f32 v[8:9], v[10:11], v[78:79], v[8:9]
	v_cvt_f32_ubyte2_e32 v149, v77
	v_mul_f32_e32 v10, v9, v7
	v_mov_b32_e32 v140, v139
	v_cvt_f32_ubyte3_e32 v5, v77
	v_pk_fma_f32 v[8:9], v[8:9], v[6:7], v[10:11] op_sel_hi:[1,1,0] neg_lo:[0,0,1] neg_hi:[0,0,1]
	v_pk_fma_f32 v[10:11], v[140:141], v[148:149], 0 op_sel_hi:[1,1,0]
	v_mov_b32_e32 v16, v143
	v_pk_fma_f32 v[4:5], v[16:17], v[4:5], v[10:11]
	v_mov_b32_e32 v9, v2
	v_mul_f32_e32 v10, v5, v7
	v_pk_fma_f32 v[4:5], v[4:5], v[6:7], v[10:11] op_sel_hi:[1,1,0] neg_lo:[0,0,1] neg_hi:[0,0,1]
	v_pk_add_f32 v[6:7], v[40:41], v[8:9]
	v_mov_b32_e32 v5, v3
	v_pk_add_f32 v[40:41], v[6:7], v[4:5]
	s_barrier
.LBB191_5:                              ;   in Loop: Header=BB191_6 Depth=1
	s_add_i32 s23, s23, -1
	s_addk_i32 s14, 0x100
	v_add_u32_e32 v96, 8, v96
	v_add_u32_e32 v93, 8, v93
	;; [unrolled: 1-line block ×3, first 2 shown]
	v_lshl_add_u64 v[32:33], v[32:33], 0, s[8:9]
	v_lshl_add_u64 v[34:35], v[34:35], 0, s[8:9]
	;; [unrolled: 1-line block ×20, first 2 shown]
	s_cmp_eq_u32 s23, 0
	v_lshl_add_u64 v[72:73], v[72:73], 0, s[8:9]
	s_cbranch_scc1 .LBB191_17
.LBB191_6:                              ; =>This Inner Loop Header: Depth=1
	v_lshl_add_u64 v[2:3], v[32:33], 0, s[16:17]
	global_load_dword v2, v[2:3], off
	s_add_i32 s2, s14, 0xffffff80
	s_cmp_lt_i32 s2, s15
	s_waitcnt vmcnt(0)
	ds_write_b32 v84, v2
	v_lshl_add_u64 v[2:3], v[34:35], 0, s[16:17]
	global_load_dword v2, v[2:3], off
	v_add_u32_e32 v3, 0x420, v84
	s_waitcnt vmcnt(0)
	ds_write_b32 v3, v2
	v_lshl_add_u64 v[2:3], v[36:37], 0, s[16:17]
	global_load_dword v2, v[2:3], off
	v_add_u32_e32 v3, 0x840, v84
	;; [unrolled: 5-line block ×7, first 2 shown]
	s_waitcnt vmcnt(0)
	ds_write_b32 v3, v2
	v_lshl_add_u64 v[2:3], v[50:51], 0, s[16:17]
	global_load_dword v2, v[2:3], off
	s_waitcnt vmcnt(0)
	ds_write_b32 v104, v2
	v_lshl_add_u64 v[2:3], v[52:53], 0, s[16:17]
	global_load_dword v2, v[2:3], off
	;; [unrolled: 4-line block ×10, first 2 shown]
	s_waitcnt vmcnt(0)
	v_ashrrev_i32_e32 v2, v86, v2
	v_and_b32_e32 v4, 0xf0f0f0f, v2
	v_lshl_add_u64 v[2:3], v[66:67], 0, s[16:17]
	global_load_dword v2, v[2:3], off
	s_waitcnt vmcnt(0)
	v_ashrrev_i32_e32 v2, v87, v2
	v_and_or_b32 v2, v2, s24, v4
	ds_write_b32 v88, v2
	v_lshl_add_u64 v[2:3], v[72:73], 0, s[16:17]
	global_load_dword v2, v[2:3], off
	s_waitcnt vmcnt(0)
	v_ashrrev_i32_e32 v2, v86, v2
	v_and_b32_e32 v4, 0xf0f0f0f, v2
	v_lshl_add_u64 v[2:3], v[70:71], 0, s[16:17]
	global_load_dword v2, v[2:3], off
	s_waitcnt vmcnt(0)
	v_ashrrev_i32_e32 v2, v87, v2
	v_and_or_b32 v2, v2, s24, v4
	ds_write_b32 v89, v2
	s_cbranch_scc0 .LBB191_5
; %bb.7:                                ;   in Loop: Header=BB191_6 Depth=1
	v_cmp_gt_i32_e64 s[2:3], s5, v93
	s_and_b64 s[20:21], s[0:1], s[2:3]
	s_and_saveexec_b64 s[2:3], s[20:21]
	s_cbranch_execz .LBB191_9
; %bb.8:                                ;   in Loop: Header=BB191_6 Depth=1
	v_add_u32_e32 v2, v30, v93
	v_mad_i64_i32 v[2:3], s[20:21], v2, 36, v[26:27]
	global_load_dword v2, v[2:3], off offset:4
	s_waitcnt vmcnt(0)
	ds_write_b32 v91, v2
.LBB191_9:                              ;   in Loop: Header=BB191_6 Depth=1
	s_or_b64 exec, exec, s[2:3]
	v_cmp_gt_i32_e64 s[2:3], s5, v24
	s_and_b64 s[20:21], s[18:19], s[2:3]
	s_and_saveexec_b64 s[2:3], s[20:21]
	s_cbranch_execz .LBB191_11
; %bb.10:                               ;   in Loop: Header=BB191_6 Depth=1
	v_add_u32_e32 v2, v30, v24
	v_mad_i64_i32 v[2:3], s[20:21], v2, 36, s[10:11]
	global_load_dword v2, v[2:3], off
	s_waitcnt vmcnt(0)
	ds_write_b32 v103, v2
.LBB191_11:                             ;   in Loop: Header=BB191_6 Depth=1
	s_or_b64 exec, exec, s[2:3]
	s_waitcnt lgkmcnt(0)
	s_barrier
	ds_read2_b32 v[76:77], v112 offset1:1
	ds_read_b128 v[14:17], v90
	ds_read_b128 v[10:13], v90 offset:16
	ds_read_b128 v[6:9], v90 offset:32
	;; [unrolled: 1-line block ×4, first 2 shown]
	ds_read2_b32 v[78:79], v112 offset0:2 offset1:3
	s_waitcnt lgkmcnt(6)
	v_and_b32_e32 v25, 0xf0f0f0f, v76
	v_mov_b32_e32 v137, 0
	s_waitcnt lgkmcnt(5)
	v_dot4c_i32_i8_e32 v137, v25, v14
	v_and_b32_e32 v25, 0xf0f0f0f, v77
	ds_read2_b32 v[80:81], v112 offset0:4 offset1:5
	ds_read2_b32 v[82:83], v112 offset0:6 offset1:7
	;; [unrolled: 1-line block ×3, first 2 shown]
	v_dot4c_i32_i8_e32 v137, v25, v15
	s_waitcnt lgkmcnt(3)
	v_and_b32_e32 v25, 0xf0f0f0f, v78
	v_dot4c_i32_i8_e32 v137, v25, v16
	v_and_b32_e32 v25, 0xf0f0f0f, v79
	v_dot4c_i32_i8_e32 v137, v25, v17
	s_waitcnt lgkmcnt(2)
	v_and_b32_e32 v25, 0xf0f0f0f, v80
	v_dot4c_i32_i8_e32 v137, v25, v10
	v_and_b32_e32 v25, 0xf0f0f0f, v81
	v_dot4c_i32_i8_e32 v137, v25, v11
	s_waitcnt lgkmcnt(1)
	v_and_b32_e32 v25, 0xf0f0f0f, v82
	v_dot4c_i32_i8_e32 v137, v25, v12
	v_and_b32_e32 v25, 0xf0f0f0f, v83
	v_dot4c_i32_i8_e32 v137, v25, v13
	v_lshrrev_b32_e32 v25, 4, v76
	v_and_b32_e32 v25, 0xf0f0f0f, v25
	v_mov_b32_e32 v157, 0
	v_dot4c_i32_i8_e32 v157, v25, v6
	v_lshrrev_b32_e32 v25, 4, v77
	v_and_b32_e32 v25, 0xf0f0f0f, v25
	v_dot4c_i32_i8_e32 v157, v25, v7
	v_lshrrev_b32_e32 v25, 4, v78
	v_and_b32_e32 v25, 0xf0f0f0f, v25
	;; [unrolled: 3-line block ×5, first 2 shown]
	v_dot4c_i32_i8_e32 v157, v25, v3
	v_lshrrev_b32_e32 v25, 4, v82
	ds_read2_b32 v[78:79], v113 offset1:1
	v_and_b32_e32 v25, 0xf0f0f0f, v25
	v_dot4c_i32_i8_e32 v157, v25, v4
	v_lshrrev_b32_e32 v25, 4, v83
	v_and_b32_e32 v25, 0xf0f0f0f, v25
	ds_read2_b32 v[74:75], v94 offset1:2
	v_dot4c_i32_i8_e32 v157, v25, v5
	ds_read_b32 v158, v98 offset:128
	ds_read_b32 v25, v100 offset:256
	;; [unrolled: 1-line block ×3, first 2 shown]
	ds_read2_b32 v[80:81], v114 offset1:1
	s_waitcnt lgkmcnt(5)
	v_and_b32_e32 v76, 0xf0f0f0f, v78
	v_lshrrev_b32_e32 v78, 4, v78
	v_and_b32_e32 v78, 0xf0f0f0f, v78
	v_mov_b32_e32 v162, 0
	v_dot4c_i32_i8_e32 v162, v78, v6
	v_lshrrev_b32_e32 v78, 4, v79
	v_and_b32_e32 v78, 0xf0f0f0f, v78
	v_dot4c_i32_i8_e32 v162, v78, v7
	s_waitcnt lgkmcnt(0)
	v_lshrrev_b32_e32 v78, 4, v80
	ds_read2_b32 v[82:83], v115 offset1:1
	ds_read2_b32 v[138:139], v116 offset1:1
	;; [unrolled: 1-line block ×3, first 2 shown]
	v_and_b32_e32 v78, 0xf0f0f0f, v78
	v_dot4c_i32_i8_e32 v162, v78, v8
	v_lshrrev_b32_e32 v78, 4, v81
	v_and_b32_e32 v78, 0xf0f0f0f, v78
	v_dot4c_i32_i8_e32 v162, v78, v9
	s_waitcnt lgkmcnt(2)
	v_lshrrev_b32_e32 v78, 4, v82
	v_mov_b32_e32 v159, 0
	v_and_b32_e32 v78, 0xf0f0f0f, v78
	v_dot4c_i32_i8_e32 v159, v76, v14
	v_and_b32_e32 v76, 0xf0f0f0f, v79
	v_dot4c_i32_i8_e32 v162, v78, v2
	v_lshrrev_b32_e32 v78, 4, v83
	v_dot4c_i32_i8_e32 v159, v76, v15
	v_and_b32_e32 v76, 0xf0f0f0f, v80
	v_and_b32_e32 v78, 0xf0f0f0f, v78
	v_dot4c_i32_i8_e32 v159, v76, v16
	v_and_b32_e32 v76, 0xf0f0f0f, v81
	v_dot4c_i32_i8_e32 v162, v78, v3
	s_waitcnt lgkmcnt(1)
	v_lshrrev_b32_e32 v78, 4, v138
	v_dot4c_i32_i8_e32 v159, v76, v17
	v_and_b32_e32 v76, 0xf0f0f0f, v82
	v_and_b32_e32 v78, 0xf0f0f0f, v78
	v_dot4c_i32_i8_e32 v159, v76, v10
	v_and_b32_e32 v76, 0xf0f0f0f, v83
	v_dot4c_i32_i8_e32 v162, v78, v4
	v_lshrrev_b32_e32 v78, 4, v139
	ds_read2_b32 v[82:83], v118 offset1:1
	v_and_b32_e32 v78, 0xf0f0f0f, v78
	v_dot4c_i32_i8_e32 v162, v78, v5
	s_waitcnt lgkmcnt(1)
	v_and_b32_e32 v78, 0xf0f0f0f, v140
	v_lshrrev_b32_e32 v140, 4, v140
	v_mov_b32_e32 v79, 0
	v_and_b32_e32 v140, 0xf0f0f0f, v140
	v_mov_b32_e32 v149, 0
	v_dot4c_i32_i8_e32 v159, v76, v11
	v_and_b32_e32 v144, 0xf0f0f0f, v138
	v_dot4c_i32_i8_e32 v79, v78, v14
	v_and_b32_e32 v78, 0xf0f0f0f, v141
	v_dot4c_i32_i8_e32 v149, v140, v6
	v_lshrrev_b32_e32 v140, 4, v141
	v_dot4c_i32_i8_e32 v159, v144, v12
	v_and_b32_e32 v144, 0xf0f0f0f, v139
	v_dot4c_i32_i8_e32 v79, v78, v15
	s_waitcnt lgkmcnt(0)
	v_and_b32_e32 v78, 0xf0f0f0f, v82
	v_and_b32_e32 v140, 0xf0f0f0f, v140
	v_lshrrev_b32_e32 v82, 4, v82
	ds_read2_b32 v[76:77], v97 offset1:2
	v_dot4c_i32_i8_e32 v159, v144, v13
	ds_read2_b32 v[138:139], v119 offset1:1
	ds_read2_b32 v[144:145], v120 offset1:1
	;; [unrolled: 1-line block ×3, first 2 shown]
	v_dot4c_i32_i8_e32 v149, v140, v7
	v_and_b32_e32 v82, 0xf0f0f0f, v82
	v_dot4c_i32_i8_e32 v149, v82, v8
	v_lshrrev_b32_e32 v82, 4, v83
	v_and_b32_e32 v82, 0xf0f0f0f, v82
	v_dot4c_i32_i8_e32 v149, v82, v9
	s_waitcnt lgkmcnt(2)
	v_lshrrev_b32_e32 v82, 4, v138
	v_and_b32_e32 v82, 0xf0f0f0f, v82
	v_dot4c_i32_i8_e32 v79, v78, v16
	v_and_b32_e32 v78, 0xf0f0f0f, v83
	v_dot4c_i32_i8_e32 v149, v82, v2
	v_lshrrev_b32_e32 v82, 4, v139
	v_dot4c_i32_i8_e32 v79, v78, v17
	v_and_b32_e32 v78, 0xf0f0f0f, v138
	ds_read2_b32 v[80:81], v99 offset1:2
	v_and_b32_e32 v82, 0xf0f0f0f, v82
	s_waitcnt lgkmcnt(1)
	v_and_b32_e32 v138, 0xf0f0f0f, v146
	v_mov_b32_e32 v164, 0
	v_dot4c_i32_i8_e32 v79, v78, v10
	v_and_b32_e32 v78, 0xf0f0f0f, v139
	v_dot4c_i32_i8_e32 v149, v82, v3
	v_lshrrev_b32_e32 v82, 4, v144
	v_dot4c_i32_i8_e32 v164, v138, v14
	ds_read2_b32 v[138:139], v122 offset1:1
	v_and_b32_e32 v82, 0xf0f0f0f, v82
	v_dot4c_i32_i8_e32 v149, v82, v4
	v_lshrrev_b32_e32 v82, 4, v145
	v_dot4c_i32_i8_e32 v79, v78, v11
	v_and_b32_e32 v78, 0xf0f0f0f, v144
	v_and_b32_e32 v82, 0xf0f0f0f, v82
	;; [unrolled: 1-line block ×3, first 2 shown]
	v_dot4c_i32_i8_e32 v79, v78, v12
	v_and_b32_e32 v78, 0xf0f0f0f, v145
	v_dot4c_i32_i8_e32 v149, v82, v5
	s_waitcnt lgkmcnt(1)
	v_bfe_u32 v82, v80, 8, 8
	v_dot4c_i32_i8_e32 v164, v14, v15
	ds_read2_b32 v[14:15], v123 offset1:1
	ds_read2_b32 v[140:141], v124 offset1:1
	;; [unrolled: 1-line block ×3, first 2 shown]
	v_mul_lo_u32 v82, v149, v82
	s_waitcnt lgkmcnt(3)
	v_and_b32_e32 v149, 0xf0f0f0f, v138
	v_dot4c_i32_i8_e32 v164, v149, v16
	v_and_b32_e32 v16, 0xf0f0f0f, v139
	v_dot4c_i32_i8_e32 v164, v16, v17
	s_waitcnt lgkmcnt(2)
	v_and_b32_e32 v16, 0xf0f0f0f, v14
	v_dot4c_i32_i8_e32 v164, v16, v10
	v_and_b32_e32 v10, 0xf0f0f0f, v15
	v_dot4c_i32_i8_e32 v164, v10, v11
	;; [unrolled: 5-line block ×3, first 2 shown]
	v_lshrrev_b32_e32 v10, 4, v146
	v_and_b32_e32 v10, 0xf0f0f0f, v10
	v_mov_b32_e32 v165, 0
	v_dot4c_i32_i8_e32 v165, v10, v6
	v_lshrrev_b32_e32 v6, 4, v147
	v_and_b32_e32 v6, 0xf0f0f0f, v6
	v_dot4c_i32_i8_e32 v165, v6, v7
	v_lshrrev_b32_e32 v6, 4, v138
	v_and_b32_e32 v6, 0xf0f0f0f, v6
	;; [unrolled: 3-line block ×6, first 2 shown]
	v_dot4c_i32_i8_e32 v79, v78, v13
	v_dot4c_i32_i8_e32 v165, v2, v4
	v_lshrrev_b32_e32 v2, 4, v141
	ds_read_b128 v[6:9], v90 offset:64
	ds_read_b128 v[10:13], v90 offset:80
	;; [unrolled: 1-line block ×4, first 2 shown]
	ds_read2_b32 v[146:147], v112 offset0:10 offset1:11
	v_and_b32_e32 v2, 0xf0f0f0f, v2
	v_dot4c_i32_i8_e32 v165, v2, v5
	v_cvt_f32_f16_e32 v2, v148
	v_cvt_f32_f16_sdwa v4, v148 dst_sel:DWORD dst_unused:UNUSED_PAD src0_sel:WORD_1
	v_and_b32_e32 v3, 0xf0f0f0f, v142
	v_mov_b32_e32 v166, 0
	ds_read_b32 v167, v95
	ds_read2_b32 v[148:149], v112 offset0:12 offset1:13
	ds_read2_b32 v[150:151], v112 offset0:14 offset1:15
	s_waitcnt lgkmcnt(7)
	v_dot4c_i32_i8_e32 v166, v3, v6
	v_and_b32_e32 v3, 0xf0f0f0f, v143
	v_dot4c_i32_i8_e32 v166, v3, v7
	s_waitcnt lgkmcnt(3)
	v_and_b32_e32 v3, 0xf0f0f0f, v146
	v_dot4c_i32_i8_e32 v166, v3, v8
	v_and_b32_e32 v3, 0xf0f0f0f, v147
	v_dot4c_i32_i8_e32 v166, v3, v9
	s_waitcnt lgkmcnt(1)
	v_and_b32_e32 v3, 0xf0f0f0f, v148
	v_dot4c_i32_i8_e32 v166, v3, v10
	v_and_b32_e32 v3, 0xf0f0f0f, v149
	v_dot4c_i32_i8_e32 v166, v3, v11
	s_waitcnt lgkmcnt(0)
	v_and_b32_e32 v3, 0xf0f0f0f, v150
	v_dot4c_i32_i8_e32 v166, v3, v12
	v_and_b32_e32 v3, 0xf0f0f0f, v151
	v_dot4c_i32_i8_e32 v166, v3, v13
	v_lshrrev_b32_e32 v3, 4, v142
	v_and_b32_e32 v3, 0xf0f0f0f, v3
	v_mov_b32_e32 v168, 0
	v_dot4c_i32_i8_e32 v168, v3, v14
	v_lshrrev_b32_e32 v3, 4, v143
	v_and_b32_e32 v3, 0xf0f0f0f, v3
	v_dot4c_i32_i8_e32 v168, v3, v15
	v_lshrrev_b32_e32 v3, 4, v146
	v_and_b32_e32 v3, 0xf0f0f0f, v3
	;; [unrolled: 3-line block ×6, first 2 shown]
	ds_read2_b32 v[142:143], v126 offset1:1
	v_dot4c_i32_i8_e32 v168, v3, v140
	v_lshrrev_b32_e32 v3, 4, v151
	v_and_b32_e32 v3, 0xf0f0f0f, v3
	v_dot4c_i32_i8_e32 v168, v3, v141
	v_and_b32_e32 v3, 0xf0f0f0f, v144
	v_mov_b32_e32 v169, 0
	v_dot4c_i32_i8_e32 v169, v3, v6
	v_and_b32_e32 v3, 0xf0f0f0f, v145
	ds_read2_b32 v[146:147], v127 offset1:1
	ds_read2_b32 v[148:149], v128 offset1:1
	;; [unrolled: 1-line block ×3, first 2 shown]
	v_dot4c_i32_i8_e32 v169, v3, v7
	s_waitcnt lgkmcnt(3)
	v_and_b32_e32 v3, 0xf0f0f0f, v142
	v_dot4c_i32_i8_e32 v169, v3, v8
	v_and_b32_e32 v3, 0xf0f0f0f, v143
	v_dot4c_i32_i8_e32 v169, v3, v9
	s_waitcnt lgkmcnt(2)
	v_and_b32_e32 v3, 0xf0f0f0f, v146
	v_dot4c_i32_i8_e32 v169, v3, v10
	v_and_b32_e32 v3, 0xf0f0f0f, v147
	;; [unrolled: 5-line block ×3, first 2 shown]
	v_dot4c_i32_i8_e32 v169, v3, v13
	v_lshrrev_b32_e32 v3, 4, v144
	v_and_b32_e32 v3, 0xf0f0f0f, v3
	v_mov_b32_e32 v170, 0
	v_dot4c_i32_i8_e32 v170, v3, v14
	v_lshrrev_b32_e32 v3, 4, v145
	v_and_b32_e32 v3, 0xf0f0f0f, v3
	v_dot4c_i32_i8_e32 v170, v3, v15
	v_lshrrev_b32_e32 v3, 4, v142
	v_and_b32_e32 v3, 0xf0f0f0f, v3
	;; [unrolled: 3-line block ×6, first 2 shown]
	ds_read2_b32 v[142:143], v130 offset1:1
	v_dot4c_i32_i8_e32 v170, v3, v140
	v_lshrrev_b32_e32 v3, 4, v149
	v_and_b32_e32 v3, 0xf0f0f0f, v3
	v_dot4c_i32_i8_e32 v170, v3, v141
	s_waitcnt lgkmcnt(1)
	v_and_b32_e32 v3, 0xf0f0f0f, v150
	v_mov_b32_e32 v5, 0
	v_dot4c_i32_i8_e32 v5, v3, v6
	v_and_b32_e32 v3, 0xf0f0f0f, v151
	ds_read2_b32 v[144:145], v131 offset1:1
	ds_read2_b32 v[146:147], v132 offset1:1
	;; [unrolled: 1-line block ×3, first 2 shown]
	v_dot4c_i32_i8_e32 v5, v3, v7
	s_waitcnt lgkmcnt(3)
	v_and_b32_e32 v3, 0xf0f0f0f, v142
	v_dot4c_i32_i8_e32 v5, v3, v8
	v_and_b32_e32 v3, 0xf0f0f0f, v143
	v_dot4c_i32_i8_e32 v5, v3, v9
	s_waitcnt lgkmcnt(2)
	v_and_b32_e32 v3, 0xf0f0f0f, v144
	v_dot4c_i32_i8_e32 v5, v3, v10
	v_and_b32_e32 v3, 0xf0f0f0f, v145
	;; [unrolled: 5-line block ×3, first 2 shown]
	v_dot4c_i32_i8_e32 v5, v3, v13
	v_bfe_u32 v3, v80, 16, 8
	v_lshrrev_b32_e32 v163, 24, v80
	v_and_b32_e32 v78, 0xff, v80
	v_mul_lo_u32 v3, v5, v3
	v_cvt_f32_i32_e32 v152, v3
	v_lshrrev_b32_e32 v3, 4, v150
	v_and_b32_e32 v3, 0xf0f0f0f, v3
	v_mov_b32_e32 v80, 0
	v_dot4c_i32_i8_e32 v80, v3, v14
	v_lshrrev_b32_e32 v3, 4, v151
	v_and_b32_e32 v3, 0xf0f0f0f, v3
	v_dot4c_i32_i8_e32 v80, v3, v15
	v_lshrrev_b32_e32 v3, 4, v142
	v_and_b32_e32 v3, 0xf0f0f0f, v3
	;; [unrolled: 3-line block ×6, first 2 shown]
	v_dot4c_i32_i8_e32 v80, v3, v140
	v_lshrrev_b32_e32 v3, 4, v147
	ds_read2_b32 v[150:151], v134 offset1:1
	v_and_b32_e32 v3, 0xf0f0f0f, v3
	v_dot4c_i32_i8_e32 v80, v3, v141
	s_waitcnt lgkmcnt(1)
	v_and_b32_e32 v3, 0xf0f0f0f, v148
	v_mov_b32_e32 v5, 0
	v_dot4c_i32_i8_e32 v5, v3, v6
	v_and_b32_e32 v3, 0xf0f0f0f, v149
	v_dot4c_i32_i8_e32 v5, v3, v7
	ds_read2_b32 v[6:7], v135 offset1:1
	ds_read2_b32 v[154:155], v136 offset1:1
	s_waitcnt lgkmcnt(2)
	v_and_b32_e32 v3, 0xf0f0f0f, v150
	v_dot4c_i32_i8_e32 v5, v3, v8
	v_and_b32_e32 v3, 0xf0f0f0f, v151
	v_dot4c_i32_i8_e32 v5, v3, v9
	ds_read2_b32 v[8:9], v101 offset1:2
	s_waitcnt lgkmcnt(2)
	v_and_b32_e32 v3, 0xf0f0f0f, v6
	v_dot4c_i32_i8_e32 v5, v3, v10
	v_and_b32_e32 v3, 0xf0f0f0f, v7
	v_dot4c_i32_i8_e32 v5, v3, v11
	s_waitcnt lgkmcnt(1)
	v_and_b32_e32 v3, 0xf0f0f0f, v154
	v_dot4c_i32_i8_e32 v5, v3, v12
	v_and_b32_e32 v3, 0xf0f0f0f, v155
	v_dot4c_i32_i8_e32 v5, v3, v13
	s_waitcnt lgkmcnt(0)
	v_and_b32_e32 v3, 0xff, v8
	v_bfe_u32 v10, v8, 16, 8
	v_mul_lo_u32 v3, v164, v3
	v_mul_lo_u32 v5, v5, v10
	v_cvt_f32_i32_e32 v10, v3
	v_lshrrev_b32_e32 v3, 4, v148
	v_cvt_f32_i32_e32 v11, v5
	v_and_b32_e32 v3, 0xf0f0f0f, v3
	v_mov_b32_e32 v5, 0
	v_dot4c_i32_i8_e32 v5, v3, v14
	v_lshrrev_b32_e32 v3, 4, v149
	v_and_b32_e32 v3, 0xf0f0f0f, v3
	v_dot4c_i32_i8_e32 v5, v3, v15
	v_lshrrev_b32_e32 v3, 4, v150
	v_and_b32_e32 v3, 0xf0f0f0f, v3
	;; [unrolled: 3-line block ×7, first 2 shown]
	v_dot4c_i32_i8_e32 v5, v3, v141
	v_lshrrev_b32_e32 v3, 24, v8
	v_bfe_u32 v6, v8, 8, 8
	v_cvt_f32_f16_e32 v143, v20
	v_cvt_f32_f16_e32 v142, v18
	v_mul_lo_u32 v6, v165, v6
	v_mul_lo_u32 v3, v5, v3
	v_cvt_f32_f16_sdwa v145, v20 dst_sel:DWORD dst_unused:UNUSED_PAD src0_sel:WORD_1
	v_cvt_f32_f16_sdwa v144, v18 dst_sel:DWORD dst_unused:UNUSED_PAD src0_sel:WORD_1
	v_cvt_f32_f16_e32 v147, v21
	v_cvt_f32_f16_e32 v146, v19
	v_cvt_f32_i32_e32 v7, v3
	v_cvt_f32_i32_e32 v6, v6
	v_cvt_f32_f16_sdwa v13, v21 dst_sel:DWORD dst_unused:UNUSED_PAD src0_sel:WORD_1
	v_cvt_f32_f16_sdwa v12, v19 dst_sel:DWORD dst_unused:UNUSED_PAD src0_sel:WORD_1
	v_pk_fma_f32 v[10:11], v[142:143], v[10:11], 0 op_sel_hi:[1,1,0]
	v_cvt_f32_ubyte2_e32 v15, v9
	v_cvt_f32_ubyte0_e32 v14, v9
	v_pk_fma_f32 v[14:15], v[144:145], v[14:15], 0 op_sel_hi:[1,1,0]
	v_pk_fma_f32 v[6:7], v[146:147], v[6:7], v[10:11]
	v_cvt_f32_ubyte3_e32 v11, v9
	v_cvt_f32_ubyte1_e32 v10, v9
	v_pk_fma_f32 v[8:9], v[12:13], v[10:11], v[14:15]
	v_and_b32_e32 v156, 0xff, v74
	v_and_b32_e32 v161, 0xff, v76
	v_pk_mul_f32 v[4:5], v[8:9], v[4:5] op_sel_hi:[1,0]
	v_bfe_u32 v8, v76, 8, 8
	v_pk_fma_f32 v[2:3], v[6:7], v[2:3], v[4:5] op_sel_hi:[1,0,1] neg_lo:[0,0,1] neg_hi:[0,0,1]
	v_mul_lo_u32 v4, v137, v156
	v_mul_lo_u32 v5, v159, v161
	v_bfe_u32 v9, v74, 8, 8
	v_cvt_f32_i32_e32 v5, v5
	v_cvt_f32_i32_e32 v4, v4
	v_mul_lo_u32 v10, v157, v9
	v_mul_lo_u32 v8, v162, v8
	v_cvt_f32_i32_e32 v9, v8
	v_cvt_f32_i32_e32 v8, v10
	v_cvt_f32_f16_sdwa v17, v158 dst_sel:DWORD dst_unused:UNUSED_PAD src0_sel:WORD_1
	v_cvt_f32_f16_sdwa v16, v167 dst_sel:DWORD dst_unused:UNUSED_PAD src0_sel:WORD_1
	v_bfe_u32 v18, v76, 16, 8
	v_bfe_u32 v19, v74, 16, 8
	v_lshrrev_b32_e32 v153, 24, v74
	v_lshrrev_b32_e32 v160, 24, v76
	v_cvt_f32_ubyte0_e32 v7, v77
	v_cvt_f32_ubyte0_e32 v6, v75
	v_cvt_f32_f16_e32 v15, v158
	v_cvt_f32_f16_e32 v14, v167
	v_mul_lo_u32 v20, v166, v19
	v_mul_lo_u32 v18, v169, v18
	v_cvt_f32_ubyte1_e32 v11, v77
	v_cvt_f32_ubyte1_e32 v10, v75
	v_cvt_f32_i32_e32 v19, v18
	v_cvt_f32_i32_e32 v18, v20
	v_mul_lo_u32 v74, v168, v153
	v_mul_lo_u32 v76, v170, v160
	v_pk_fma_f32 v[6:7], v[144:145], v[6:7], 0 op_sel_hi:[0,1,0]
	v_cvt_f32_i32_e32 v139, v76
	v_cvt_f32_i32_e32 v138, v74
	v_pk_fma_f32 v[4:5], v[142:143], v[4:5], 0 op_sel_hi:[0,1,0]
	v_pk_fma_f32 v[6:7], v[12:13], v[10:11], v[6:7] op_sel_hi:[0,1,1]
	;; [unrolled: 1-line block ×3, first 2 shown]
	v_pk_mul_f32 v[6:7], v[6:7], v[16:17]
	v_cvt_f32_ubyte2_e32 v21, v77
	v_pk_fma_f32 v[4:5], v[4:5], v[14:15], v[6:7] neg_lo:[0,0,1] neg_hi:[0,0,1]
	v_mov_b32_e32 v6, v143
	v_cvt_f32_ubyte2_e32 v20, v75
	v_pk_fma_f32 v[6:7], v[6:7], v[18:19], 0 op_sel_hi:[0,1,0]
	v_mov_b32_e32 v8, v145
	v_mov_b32_e32 v10, v147
	v_cvt_f32_ubyte3_e32 v77, v77
	v_cvt_f32_ubyte3_e32 v76, v75
	v_pk_fma_f32 v[8:9], v[8:9], v[20:21], 0 op_sel_hi:[0,1,0]
	v_pk_fma_f32 v[6:7], v[10:11], v[138:139], v[6:7] op_sel_hi:[0,1,1]
	v_mov_b32_e32 v10, v13
	v_mul_lo_u32 v78, v79, v78
	v_pk_fma_f32 v[8:9], v[10:11], v[76:77], v[8:9] op_sel_hi:[0,1,1]
	v_cvt_f32_i32_e32 v78, v78
	v_pk_mul_f32 v[8:9], v[8:9], v[16:17]
	v_cvt_f32_i32_e32 v82, v82
	v_pk_add_f32 v[4:5], v[22:23], v[4:5]
	v_pk_fma_f32 v[6:7], v[6:7], v[14:15], v[8:9] neg_lo:[0,0,1] neg_hi:[0,0,1]
	v_cvt_f32_ubyte0_e32 v79, v81
	v_pk_add_f32 v[22:23], v[4:5], v[6:7]
	v_cvt_f32_f16_sdwa v7, v25 dst_sel:DWORD dst_unused:UNUSED_PAD src0_sel:WORD_1
	v_mul_lo_u32 v4, v80, v163
	v_cvt_f32_f16_e32 v6, v25
	v_mov_b32_e32 v8, v142
	v_mov_b32_e32 v9, v144
	v_cvt_f32_ubyte1_e32 v83, v81
	v_cvt_f32_i32_e32 v4, v4
	v_pk_fma_f32 v[8:9], v[8:9], v[78:79], 0 op_sel_hi:[1,1,0]
	v_mov_b32_e32 v10, v146
	v_mov_b32_e32 v11, v12
	v_pk_fma_f32 v[8:9], v[10:11], v[82:83], v[8:9]
	v_cvt_f32_ubyte2_e32 v153, v81
	v_mul_f32_e32 v10, v9, v7
	v_mov_b32_e32 v144, v143
	v_cvt_f32_ubyte3_e32 v5, v81
	v_pk_fma_f32 v[8:9], v[8:9], v[6:7], v[10:11] op_sel_hi:[1,1,0] neg_lo:[0,0,1] neg_hi:[0,0,1]
	v_pk_fma_f32 v[10:11], v[144:145], v[152:153], 0 op_sel_hi:[1,1,0]
	v_mov_b32_e32 v12, v147
	v_pk_fma_f32 v[4:5], v[12:13], v[4:5], v[10:11]
	v_mov_b32_e32 v9, v2
	v_mul_f32_e32 v10, v5, v7
	v_pk_fma_f32 v[4:5], v[4:5], v[6:7], v[10:11] op_sel_hi:[1,1,0] neg_lo:[0,0,1] neg_hi:[0,0,1]
	v_pk_add_f32 v[6:7], v[40:41], v[8:9]
	v_mov_b32_e32 v5, v3
	v_pk_add_f32 v[40:41], v[6:7], v[4:5]
	s_cmp_ge_i32 s14, s15
	s_barrier
	s_cbranch_scc1 .LBB191_5
; %bb.12:                               ;   in Loop: Header=BB191_6 Depth=1
	v_cmp_gt_i32_e64 s[2:3], s5, v96
	s_and_b64 s[20:21], s[0:1], s[2:3]
	s_and_saveexec_b64 s[2:3], s[20:21]
	s_cbranch_execz .LBB191_14
; %bb.13:                               ;   in Loop: Header=BB191_6 Depth=1
	v_add_u32_e32 v2, v30, v96
	v_mad_i64_i32 v[2:3], s[20:21], v2, 36, v[26:27]
	global_load_dword v2, v[2:3], off offset:4
	s_waitcnt vmcnt(0)
	ds_write_b32 v91, v2
.LBB191_14:                             ;   in Loop: Header=BB191_6 Depth=1
	s_or_b64 exec, exec, s[2:3]
	s_and_saveexec_b64 s[20:21], vcc
	s_cbranch_execz .LBB191_4
; %bb.15:                               ;   in Loop: Header=BB191_6 Depth=1
	v_add_u32_e32 v2, 4, v24
	v_cmp_gt_i32_e64 s[2:3], s5, v2
	s_and_b64 s[2:3], s[0:1], s[2:3]
	s_and_b64 exec, exec, s[2:3]
	s_cbranch_execz .LBB191_4
; %bb.16:                               ;   in Loop: Header=BB191_6 Depth=1
	v_ashrrev_i32_e32 v25, 31, v24
	v_lshl_add_u64 v[2:3], v[30:31], 0, v[24:25]
	v_mad_u64_u32 v[4:5], s[2:3], v2, 36, s[10:11]
	v_mad_i32_i24 v5, v3, 36, v5
	global_load_dword v2, v[4:5], off offset:144
	s_waitcnt vmcnt(0)
	ds_write_b32 v103, v2
	s_branch .LBB191_4
.LBB191_17:
	s_mul_i32 s0, s7, s4
	s_waitcnt vmcnt(0)
	v_cmp_gt_i32_e32 vcc, s0, v1
	s_and_saveexec_b64 s[0:1], vcc
	s_cbranch_execz .LBB191_26
; %bb.18:
	v_and_b32_e32 v0, 0x3ff, v0
	v_add_u32_e32 v2, s22, v0
	v_mul_lo_u32 v0, v1, s6
	v_cmp_gt_u32_e32 vcc, s6, v2
	s_and_saveexec_b64 s[0:1], vcc
	s_cbranch_execz .LBB191_20
; %bb.19:
	v_add_u32_e32 v4, v0, v2
	v_mov_b32_e32 v5, 0
	v_lshl_add_u64 v[4:5], v[4:5], 2, s[12:13]
	global_store_dword v[4:5], v22, off
.LBB191_20:
	s_or_b64 exec, exec, s[0:1]
	v_add_u32_e32 v1, 32, v2
	v_cmp_gt_u32_e32 vcc, s6, v1
	s_and_saveexec_b64 s[0:1], vcc
	s_cbranch_execz .LBB191_22
; %bb.21:
	v_add_u32_e32 v4, v0, v1
	v_mov_b32_e32 v5, 0
	v_lshl_add_u64 v[4:5], v[4:5], 2, s[12:13]
	global_store_dword v[4:5], v23, off
.LBB191_22:
	s_or_b64 exec, exec, s[0:1]
	v_add_u32_e32 v1, 64, v2
	;; [unrolled: 11-line block ×3, first 2 shown]
	v_cmp_gt_u32_e32 vcc, s6, v1
	s_and_b64 exec, exec, vcc
	s_cbranch_execz .LBB191_26
; %bb.25:
	v_add_u32_e32 v0, v0, v1
	v_mov_b32_e32 v1, 0
	v_lshl_add_u64 v[0:1], v[0:1], 2, s[12:13]
	global_store_dword v[0:1], v41, off
.LBB191_26:
	s_endpgm
	.section	.rodata,"a",@progbits
	.p2align	6, 0x0
	.amdhsa_kernel _ZL8moe_q4_KIfLb0EEvPKvS1_PT_PKiS5_S5_iiiiiii
		.amdhsa_group_segment_fixed_size 20688
		.amdhsa_private_segment_fixed_size 0
		.amdhsa_kernarg_size 76
		.amdhsa_user_sgpr_count 2
		.amdhsa_user_sgpr_dispatch_ptr 0
		.amdhsa_user_sgpr_queue_ptr 0
		.amdhsa_user_sgpr_kernarg_segment_ptr 1
		.amdhsa_user_sgpr_dispatch_id 0
		.amdhsa_user_sgpr_kernarg_preload_length 0
		.amdhsa_user_sgpr_kernarg_preload_offset 0
		.amdhsa_user_sgpr_private_segment_size 0
		.amdhsa_uses_dynamic_stack 0
		.amdhsa_enable_private_segment 0
		.amdhsa_system_sgpr_workgroup_id_x 1
		.amdhsa_system_sgpr_workgroup_id_y 1
		.amdhsa_system_sgpr_workgroup_id_z 0
		.amdhsa_system_sgpr_workgroup_info 0
		.amdhsa_system_vgpr_workitem_id 1
		.amdhsa_next_free_vgpr 171
		.amdhsa_next_free_sgpr 75
		.amdhsa_accum_offset 172
		.amdhsa_reserve_vcc 1
		.amdhsa_float_round_mode_32 0
		.amdhsa_float_round_mode_16_64 0
		.amdhsa_float_denorm_mode_32 3
		.amdhsa_float_denorm_mode_16_64 3
		.amdhsa_dx10_clamp 1
		.amdhsa_ieee_mode 1
		.amdhsa_fp16_overflow 0
		.amdhsa_tg_split 0
		.amdhsa_exception_fp_ieee_invalid_op 0
		.amdhsa_exception_fp_denorm_src 0
		.amdhsa_exception_fp_ieee_div_zero 0
		.amdhsa_exception_fp_ieee_overflow 0
		.amdhsa_exception_fp_ieee_underflow 0
		.amdhsa_exception_fp_ieee_inexact 0
		.amdhsa_exception_int_div_zero 0
	.end_amdhsa_kernel
	.section	.text._ZL8moe_q4_KIfLb0EEvPKvS1_PT_PKiS5_S5_iiiiiii,"axG",@progbits,_ZL8moe_q4_KIfLb0EEvPKvS1_PT_PKiS5_S5_iiiiiii,comdat
.Lfunc_end191:
	.size	_ZL8moe_q4_KIfLb0EEvPKvS1_PT_PKiS5_S5_iiiiiii, .Lfunc_end191-_ZL8moe_q4_KIfLb0EEvPKvS1_PT_PKiS5_S5_iiiiiii
                                        ; -- End function
	.set _ZL8moe_q4_KIfLb0EEvPKvS1_PT_PKiS5_S5_iiiiiii.num_vgpr, 171
	.set _ZL8moe_q4_KIfLb0EEvPKvS1_PT_PKiS5_S5_iiiiiii.num_agpr, 0
	.set _ZL8moe_q4_KIfLb0EEvPKvS1_PT_PKiS5_S5_iiiiiii.numbered_sgpr, 27
	.set _ZL8moe_q4_KIfLb0EEvPKvS1_PT_PKiS5_S5_iiiiiii.num_named_barrier, 0
	.set _ZL8moe_q4_KIfLb0EEvPKvS1_PT_PKiS5_S5_iiiiiii.private_seg_size, 0
	.set _ZL8moe_q4_KIfLb0EEvPKvS1_PT_PKiS5_S5_iiiiiii.uses_vcc, 1
	.set _ZL8moe_q4_KIfLb0EEvPKvS1_PT_PKiS5_S5_iiiiiii.uses_flat_scratch, 0
	.set _ZL8moe_q4_KIfLb0EEvPKvS1_PT_PKiS5_S5_iiiiiii.has_dyn_sized_stack, 0
	.set _ZL8moe_q4_KIfLb0EEvPKvS1_PT_PKiS5_S5_iiiiiii.has_recursion, 0
	.set _ZL8moe_q4_KIfLb0EEvPKvS1_PT_PKiS5_S5_iiiiiii.has_indirect_call, 0
	.section	.AMDGPU.csdata,"",@progbits
; Kernel info:
; codeLenInByte = 9828
; TotalNumSgprs: 33
; NumVgprs: 171
; NumAgprs: 0
; TotalNumVgprs: 171
; ScratchSize: 0
; MemoryBound: 0
; FloatMode: 240
; IeeeMode: 1
; LDSByteSize: 20688 bytes/workgroup (compile time only)
; SGPRBlocks: 10
; VGPRBlocks: 21
; NumSGPRsForWavesPerEU: 81
; NumVGPRsForWavesPerEU: 171
; AccumOffset: 172
; Occupancy: 2
; WaveLimiterHint : 1
; COMPUTE_PGM_RSRC2:SCRATCH_EN: 0
; COMPUTE_PGM_RSRC2:USER_SGPR: 2
; COMPUTE_PGM_RSRC2:TRAP_HANDLER: 0
; COMPUTE_PGM_RSRC2:TGID_X_EN: 1
; COMPUTE_PGM_RSRC2:TGID_Y_EN: 1
; COMPUTE_PGM_RSRC2:TGID_Z_EN: 0
; COMPUTE_PGM_RSRC2:TIDIG_COMP_CNT: 1
; COMPUTE_PGM_RSRC3_GFX90A:ACCUM_OFFSET: 42
; COMPUTE_PGM_RSRC3_GFX90A:TG_SPLIT: 0
	.section	.text._ZL8moe_q4_KIfLb1EEvPKvS1_PT_PKiS5_S5_iiiiiii,"axG",@progbits,_ZL8moe_q4_KIfLb1EEvPKvS1_PT_PKiS5_S5_iiiiiii,comdat
	.globl	_ZL8moe_q4_KIfLb1EEvPKvS1_PT_PKiS5_S5_iiiiiii ; -- Begin function _ZL8moe_q4_KIfLb1EEvPKvS1_PT_PKiS5_S5_iiiiiii
	.p2align	8
	.type	_ZL8moe_q4_KIfLb1EEvPKvS1_PT_PKiS5_S5_iiiiiii,@function
_ZL8moe_q4_KIfLb1EEvPKvS1_PT_PKiS5_S5_iiiiiii: ; @_ZL8moe_q4_KIfLb1EEvPKvS1_PT_PKiS5_S5_iiiiiii
; %bb.0:
	s_load_dwordx4 s[4:7], s[0:1], 0x18
	s_mov_b32 s8, s3
	s_mov_b32 s9, 0
	s_lshl_b64 s[10:11], s[8:9], 2
	s_waitcnt lgkmcnt(0)
	s_add_u32 s6, s6, s10
	s_addc_u32 s7, s7, s11
	s_load_dword s3, s[6:7], 0x0
	s_waitcnt lgkmcnt(0)
	s_cmpk_gt_u32 s3, 0xff
	s_cbranch_scc1 .LBB192_26
; %bb.1:
	s_load_dwordx2 s[6:7], s[0:1], 0x28
	s_waitcnt lgkmcnt(0)
	s_load_dword s7, s[6:7], 0x0
	s_lshl_b32 s6, s8, 3
	s_waitcnt lgkmcnt(0)
	s_cmp_gt_u32 s6, s7
	s_cbranch_scc1 .LBB192_26
; %bb.2:
	v_bfe_u32 v3, v0, 10, 10
	v_mov_b32_e32 v4, s4
	v_mov_b32_e32 v5, s5
	v_add_u32_e32 v70, s6, v3
	v_mov_b32_e32 v71, 0
	v_lshl_add_u64 v[4:5], v[70:71], 2, v[4:5]
	global_load_dword v1, v[4:5], off
	s_load_dwordx8 s[4:11], s[0:1], 0x30
	s_load_dwordx2 s[16:17], s[0:1], 0x10
	s_waitcnt lgkmcnt(0)
	s_lshl_b32 s11, s2, 7
	v_mov_b32_e32 v70, v71
	v_mov_b32_e32 v25, v71
	s_cmpk_lt_i32 s5, 0x100
	v_mov_b32_e32 v24, v71
	s_cbranch_scc1 .LBB192_17
; %bb.3:
	s_ashr_i32 s2, s5, 31
	s_lshr_b32 s2, s2, 24
	s_add_i32 s2, s5, s2
	s_ashr_i32 s24, s2, 8
	s_not_b32 s2, s11
	s_add_i32 s2, s6, s2
	v_add_u32_e32 v4, 8, v3
	v_min_i32_e32 v43, s2, v4
	v_add_u32_e32 v4, 16, v3
	v_min_i32_e32 v44, s2, v4
	;; [unrolled: 2-line block ×13, first 2 shown]
	v_add_u32_e32 v4, 0x70, v3
	v_and_b32_e32 v22, 0x3ff, v0
	v_min_i32_e32 v56, s2, v4
	v_add_u32_e32 v4, 0x78, v3
	v_min_i32_e32 v58, s2, v4
	v_lshl_add_u32 v4, v3, 5, v22
	v_and_b32_e32 v4, 0x7f, v4
	v_min_i32_e32 v59, s2, v4
	v_ashrrev_i32_e32 v4, 31, v59
	v_lshrrev_b32_e32 v4, 27, v4
	v_add_u32_e32 v4, v59, v4
	v_ashrrev_i32_e32 v4, 5, v4
	v_lshlrev_b32_e32 v4, 2, v4
	v_lshlrev_b32_e32 v5, 2, v59
	s_movk_i32 s23, 0x4e40
	v_and_b32_e32 v60, 3, v0
	v_add3_u32 v116, v4, v5, s23
	v_bfe_u32 v4, v0, 2, 8
	v_add_u32_e32 v5, 0xfe, v60
	v_lshl_add_u32 v4, v3, 3, v4
	v_and_b32_e32 v5, 0xff, v5
	v_cmp_gt_u32_e32 vcc, 2, v60
	v_lshlrev_b32_e32 v7, 2, v60
	s_movk_i32 s6, 0x4200
	v_cndmask_b32_e32 v61, v5, v60, vcc
	v_and_b32_e32 v5, 0x7f, v4
	v_min_i32_e32 v63, s2, v5
	v_ashrrev_i32_e32 v5, 31, v63
	v_lshrrev_b32_e32 v5, 29, v5
	v_add_u32_e32 v5, v63, v5
	v_ashrrev_i32_e32 v5, 3, v5
	v_lshlrev_b32_e32 v5, 2, v5
	v_add3_u32 v64, v5, v7, s6
	v_mov_b32_e32 v5, 0x7f
	v_bitop3_b32 v4, v4, 64, v5 bitop3:0x6c
	v_min_i32_e32 v65, s2, v4
	v_ashrrev_i32_e32 v4, 31, v65
	v_lshrrev_b32_e32 v4, 29, v4
	v_add_u32_e32 v4, v65, v4
	v_ashrrev_i32_e32 v4, 3, v4
	v_lshlrev_b32_e32 v2, 2, v22
	v_lshlrev_b32_e32 v4, 2, v4
	v_bfe_u32 v117, v0, 3, 7
	v_add3_u32 v66, v4, v7, s6
	v_add_u32_e32 v4, v117, v2
	v_mov_b32_e32 v5, 0x4200
	v_lshl_add_u32 v118, v4, 2, v5
	v_add_u32_e32 v4, 32, v22
	v_lshrrev_b32_e32 v119, 3, v4
	v_lshl_add_u32 v4, v4, 2, v119
	v_lshl_add_u32 v120, v4, 2, v5
	v_add_u32_e32 v4, 64, v22
	v_lshrrev_b32_e32 v67, 3, v4
	v_min_i32_e32 v42, s2, v3
	v_lshl_add_u32 v4, v4, 2, v67
	s_abs_i32 s2, s10
	v_lshl_add_u32 v121, v4, 2, v5
	v_cvt_f32_u32_e32 v4, s2
	v_add_u32_e32 v7, 0x60, v22
	v_lshrrev_b32_e32 v68, 3, v7
	s_sub_i32 s6, 0, s2
	v_rcp_iflag_f32_e32 v4, v4
	v_lshl_add_u32 v7, v7, 2, v68
	v_lshl_add_u32 v122, v7, 2, v5
	s_waitcnt vmcnt(0)
	v_sub_u32_e32 v7, 0, v1
	v_mul_f32_e32 v4, 0x4f7ffffe, v4
	v_cvt_u32_f32_e32 v4, v4
	v_max_i32_e32 v7, v1, v7
	v_xor_b32_e32 v5, s10, v1
	s_mul_i32 s22, s24, s11
	v_mul_lo_u32 v9, s6, v4
	v_mul_hi_u32 v9, v4, v9
	v_add_u32_e32 v4, v4, v9
	v_mul_hi_u32 v4, v7, v4
	v_mul_lo_u32 v9, v4, s2
	v_sub_u32_e32 v7, v7, v9
	v_add_u32_e32 v9, 1, v4
	v_cmp_le_u32_e32 vcc, s2, v7
	v_ashrrev_i32_e32 v5, 31, v5
	s_mul_hi_i32 s27, s22, 0x90
	v_cndmask_b32_e32 v4, v4, v9, vcc
	v_subrev_u32_e32 v9, s2, v7
	v_cndmask_b32_e32 v7, v7, v9, vcc
	v_add_u32_e32 v9, 1, v4
	v_cmp_le_u32_e32 vcc, s2, v7
	s_mul_i32 s26, s22, 0x90
	v_bfe_u32 v23, v0, 5, 5
	v_cndmask_b32_e32 v4, v4, v9, vcc
	v_xor_b32_e32 v4, v4, v5
	v_sub_u32_e32 v69, v4, v5
	s_movk_i32 s25, 0x90
	v_mov_b64_e32 v[4:5], s[26:27]
	v_mul_lo_u32 v6, v42, s24
	v_mul_lo_u32 v8, v43, s24
	;; [unrolled: 1-line block ×16, first 2 shown]
	v_mad_u64_u32 v[4:5], s[12:13], v23, s25, v[4:5]
	v_mad_i64_i32 v[6:7], s[12:13], v6, s25, v[4:5]
	v_mad_i64_i32 v[8:9], s[12:13], v8, s25, v[4:5]
	;; [unrolled: 1-line block ×16, first 2 shown]
	s_load_dwordx4 s[12:15], s[0:1], 0x0
	s_ashr_i32 s0, s8, 31
	s_lshr_b32 s0, s0, 27
	s_add_i32 s0, s8, s0
	s_ashr_i32 s6, s0, 5
	s_mul_i32 s18, s3, s4
	v_cmp_gt_u32_e32 vcc, 4, v22
	v_cmp_gt_i32_e64 s[0:1], s7, v69
	s_ashr_i32 s19, s18, 31
	s_and_b64 s[20:21], vcc, s[0:1]
	s_waitcnt lgkmcnt(0)
	s_add_u32 s2, s12, s26
	s_addc_u32 s3, s13, s27
	v_mul_lo_u32 v26, v59, s24
	v_mov_b64_e32 v[24:25], s[2:3]
	v_mad_i64_i32 v[26:27], s[2:3], v26, s25, v[24:25]
	v_and_b32_e32 v24, 0x7c, v2
	v_mov_b32_e32 v25, 0
	v_lshl_add_u64 v[70:71], v[28:29], 0, v[24:25]
	v_cmp_ne_u32_e64 s[2:3], 0, v60
	v_mul_lo_u32 v28, v63, s24
	v_lshl_add_u64 v[6:7], v[6:7], 0, v[24:25]
	v_lshl_add_u64 v[8:9], v[8:9], 0, v[24:25]
	;; [unrolled: 1-line block ×15, first 2 shown]
	v_addc_co_u32_e64 v24, s[2:3], 0, v61, s[2:3]
	v_mad_i64_i32 v[28:29], s[2:3], v28, s25, 0
	v_mov_b32_e32 v30, 0x90
	v_mad_i64_i32 v[100:101], s[2:3], s22, v30, v[28:29]
	v_mul_lo_u32 v28, v65, s24
	v_lshlrev_b32_e32 v23, 2, v23
	v_mad_i64_i32 v[28:29], s[2:3], v28, s25, 0
	v_add3_u32 v127, v23, v2, s23
	v_and_b32_e32 v23, 60, v119
	v_mad_i64_i32 v[104:105], s[2:3], s22, v30, v[28:29]
	v_lshlrev_b32_e32 v28, 4, v63
	v_add3_u32 v128, v2, v23, s23
	v_and_b32_e32 v23, 60, v67
	v_add_u32_e32 v123, v64, v28
	v_lshlrev_b32_e32 v28, 4, v65
	s_movk_i32 s4, 0x84
	v_add3_u32 v129, v2, v23, s23
	v_and_b32_e32 v23, 60, v68
	v_and_b32_e32 v62, 4, v2
	v_add_u32_e32 v124, v66, v28
	v_cmp_lt_u32_e64 s[2:3], 1, v60
	v_add3_u32 v130, v2, v23, s23
	v_mad_u64_u32 v[28:29], s[22:23], v42, s4, v[2:3]
	v_mad_u64_u32 v[30:31], s[22:23], v43, s4, v[2:3]
	;; [unrolled: 1-line block ×16, first 2 shown]
	v_add_u32_e32 v23, 0x5050, v2
	v_and_b32_e32 v60, 28, v2
	v_mov_b32_e32 v2, 0x4a40
	v_lshl_add_u32 v29, v3, 7, v2
	v_and_b32_e32 v2, 31, v0
	v_lshl_add_u32 v31, v2, 2, v29
	v_lshlrev_b32_e32 v33, 4, v3
	v_lshl_add_u64 v[2:3], s[12:13], 0, v[6:7]
	v_lshl_add_u64 v[64:65], v[2:3], 0, 16
	;; [unrolled: 1-line block ×5, first 2 shown]
	v_cndmask_b32_e64 v125, 0, v62, s[2:3]
	v_mul_lo_u32 v62, v69, s6
	v_lshl_add_u64 v[68:69], v[2:3], 0, 16
	v_lshl_add_u64 v[2:3], s[12:13], 0, v[12:13]
	v_lshl_add_u64 v[72:73], v[2:3], 0, 16
	v_lshl_add_u64 v[2:3], s[12:13], 0, v[14:15]
	v_lshl_add_u64 v[74:75], v[2:3], 0, 16
	v_lshl_add_u64 v[2:3], s[12:13], 0, v[16:17]
	v_lshl_add_u64 v[76:77], v[2:3], 0, 16
	v_lshl_add_u64 v[2:3], s[12:13], 0, v[18:19]
	v_lshl_add_u64 v[78:79], v[2:3], 0, 16
	v_lshl_add_u64 v[2:3], s[12:13], 0, v[20:21]
	v_lshl_add_u64 v[80:81], v[2:3], 0, 16
	v_lshl_add_u64 v[2:3], s[12:13], 0, v[70:71]
	v_lshl_add_u64 v[82:83], v[2:3], 0, 16
	v_lshl_add_u64 v[2:3], s[12:13], 0, v[84:85]
	v_lshl_add_u64 v[84:85], v[2:3], 0, 16
	v_lshl_add_u64 v[2:3], s[12:13], 0, v[86:87]
	v_lshl_add_u64 v[86:87], v[2:3], 0, 16
	v_lshl_add_u64 v[2:3], s[12:13], 0, v[88:89]
	v_lshl_add_u64 v[88:89], v[2:3], 0, 16
	v_lshl_add_u64 v[2:3], s[12:13], 0, v[90:91]
	v_lshl_add_u64 v[90:91], v[2:3], 0, 16
	v_lshl_add_u64 v[2:3], s[12:13], 0, v[92:93]
	v_lshl_add_u64 v[92:93], v[2:3], 0, 16
	v_lshl_add_u64 v[2:3], s[12:13], 0, v[94:95]
	v_lshl_add_u64 v[94:95], v[2:3], 0, 16
	v_lshl_add_u64 v[2:3], s[12:13], 0, v[4:5]
	v_lshl_add_u64 v[96:97], v[2:3], 0, 16
	v_cndmask_b32_e64 v2, 0, 1, s[2:3]
	v_lshlrev_b32_e32 v4, 2, v2
	v_or_b32_e32 v2, v100, v4
	v_mov_b32_e32 v3, v101
	v_lshlrev_b32_e32 v24, 2, v24
	v_lshl_add_u64 v[2:3], s[12:13], 0, v[2:3]
	v_lshl_add_u64 v[98:99], v[2:3], 0, 4
	;; [unrolled: 1-line block ×5, first 2 shown]
	v_or_b32_e32 v2, v104, v4
	v_mov_b32_e32 v3, v105
	v_lshl_add_u64 v[2:3], s[12:13], 0, v[2:3]
	v_lshl_add_u64 v[102:103], v[2:3], 0, 4
	;; [unrolled: 1-line block ×3, first 2 shown]
	v_lshlrev_b32_e32 v126, 1, v61
	v_mov_b32_e32 v61, v25
	v_lshl_add_u64 v[2:3], s[12:13], 0, v[2:3]
	v_mul_u32_u24_e32 v37, 0x84, v22
	v_lshl_add_u64 v[60:61], s[14:15], 0, v[60:61]
	v_ashrrev_i32_e32 v63, 31, v62
	v_lshl_add_u64 v[104:105], v[2:3], 0, 4
	s_movk_i32 s4, 0x80
	s_mov_b32 s8, 0x30303030
	v_add_u32_e32 v35, v23, v33
	s_mov_b64 s[12:13], 0x90
	v_mov_b32_e32 v24, v25
	v_mov_b32_e32 v70, v25
	;; [unrolled: 1-line block ×3, first 2 shown]
	v_add_u32_e32 v39, 0x2118, v37
	v_add_u32_e32 v41, 0x3180, v37
	;; [unrolled: 1-line block ×17, first 2 shown]
	s_branch .LBB192_6
.LBB192_4:                              ;   in Loop: Header=BB192_6 Depth=1
	s_or_b64 exec, exec, s[22:23]
	s_waitcnt lgkmcnt(0)
	s_barrier
	ds_read2_b32 v[106:107], v37 offset0:16 offset1:17
	ds_read_b128 v[14:17], v29
	ds_read_b128 v[10:13], v29 offset:16
	ds_read_b128 v[6:9], v29 offset:32
	ds_read_b128 v[2:5], v29 offset:48
	ds_read_b128 v[18:21], v33 offset:20560
	ds_read2_b32 v[108:109], v37 offset0:18 offset1:19
	s_waitcnt lgkmcnt(6)
	v_and_b32_e32 v23, 0xf0f0f0f, v106
	v_mov_b32_e32 v137, 0
	s_waitcnt lgkmcnt(5)
	v_dot4c_i32_i8_e32 v137, v23, v14
	v_and_b32_e32 v23, 0xf0f0f0f, v107
	ds_read2_b32 v[110:111], v37 offset0:20 offset1:21
	ds_read2_b32 v[112:113], v37 offset0:22 offset1:23
	;; [unrolled: 1-line block ×3, first 2 shown]
	v_dot4c_i32_i8_e32 v137, v23, v15
	s_waitcnt lgkmcnt(3)
	v_and_b32_e32 v23, 0xf0f0f0f, v108
	v_dot4c_i32_i8_e32 v137, v23, v16
	v_and_b32_e32 v23, 0xf0f0f0f, v109
	v_dot4c_i32_i8_e32 v137, v23, v17
	s_waitcnt lgkmcnt(2)
	v_and_b32_e32 v23, 0xf0f0f0f, v110
	v_dot4c_i32_i8_e32 v137, v23, v10
	v_and_b32_e32 v23, 0xf0f0f0f, v111
	;; [unrolled: 5-line block ×3, first 2 shown]
	v_dot4c_i32_i8_e32 v137, v23, v13
	v_lshrrev_b32_e32 v23, 4, v106
	v_and_b32_e32 v23, 0xf0f0f0f, v23
	v_mov_b32_e32 v149, 0
	v_dot4c_i32_i8_e32 v149, v23, v6
	v_lshrrev_b32_e32 v23, 4, v107
	v_and_b32_e32 v23, 0xf0f0f0f, v23
	v_dot4c_i32_i8_e32 v149, v23, v7
	v_lshrrev_b32_e32 v23, 4, v108
	v_and_b32_e32 v23, 0xf0f0f0f, v23
	;; [unrolled: 3-line block ×3, first 2 shown]
	v_add_u32_e32 v106, 0x10c0, v37
	v_dot4c_i32_i8_e32 v149, v23, v9
	v_lshrrev_b32_e32 v23, 4, v110
	ds_read2_b32 v[106:107], v106 offset1:1
	v_and_b32_e32 v23, 0xf0f0f0f, v23
	v_dot4c_i32_i8_e32 v149, v23, v2
	v_lshrrev_b32_e32 v23, 4, v111
	v_and_b32_e32 v23, 0xf0f0f0f, v23
	v_dot4c_i32_i8_e32 v149, v23, v3
	v_lshrrev_b32_e32 v23, 4, v112
	v_and_b32_e32 v23, 0xf0f0f0f, v23
	s_waitcnt lgkmcnt(0)
	v_and_b32_e32 v108, 0xf0f0f0f, v106
	v_mov_b32_e32 v153, 0
	v_dot4c_i32_i8_e32 v149, v23, v4
	v_lshrrev_b32_e32 v23, 4, v113
	v_dot4c_i32_i8_e32 v153, v108, v14
	v_and_b32_e32 v108, 0xf0f0f0f, v107
	v_and_b32_e32 v23, 0xf0f0f0f, v23
	v_dot4c_i32_i8_e32 v153, v108, v15
	v_add_u32_e32 v108, 0x10c8, v37
	v_dot4c_i32_i8_e32 v149, v23, v5
	ds_read_b32 v152, v128 offset:128
	ds_read_b32 v23, v129 offset:256
	;; [unrolled: 1-line block ×3, first 2 shown]
	ds_read2_b32 v[108:109], v108 offset1:1
	v_lshrrev_b32_e32 v106, 4, v106
	v_and_b32_e32 v106, 0xf0f0f0f, v106
	v_mov_b32_e32 v154, 0
	v_dot4c_i32_i8_e32 v154, v106, v6
	v_lshrrev_b32_e32 v106, 4, v107
	v_and_b32_e32 v106, 0xf0f0f0f, v106
	v_add_u32_e32 v110, 0x10d0, v37
	v_add_u32_e32 v112, 0x10d8, v37
	;; [unrolled: 1-line block ×3, first 2 shown]
	v_dot4c_i32_i8_e32 v154, v106, v7
	s_waitcnt lgkmcnt(0)
	v_lshrrev_b32_e32 v106, 4, v108
	ds_read2_b32 v[110:111], v110 offset1:1
	ds_read2_b32 v[112:113], v112 offset1:1
	;; [unrolled: 1-line block ×3, first 2 shown]
	v_and_b32_e32 v106, 0xf0f0f0f, v106
	v_dot4c_i32_i8_e32 v154, v106, v8
	v_lshrrev_b32_e32 v106, 4, v109
	v_and_b32_e32 v106, 0xf0f0f0f, v106
	v_dot4c_i32_i8_e32 v154, v106, v9
	s_waitcnt lgkmcnt(2)
	v_lshrrev_b32_e32 v106, 4, v110
	v_and_b32_e32 v106, 0xf0f0f0f, v106
	v_dot4c_i32_i8_e32 v154, v106, v2
	v_lshrrev_b32_e32 v106, 4, v111
	v_and_b32_e32 v106, 0xf0f0f0f, v106
	v_dot4c_i32_i8_e32 v154, v106, v3
	s_waitcnt lgkmcnt(1)
	v_lshrrev_b32_e32 v106, 4, v112
	v_and_b32_e32 v106, 0xf0f0f0f, v106
	v_dot4c_i32_i8_e32 v154, v106, v4
	v_lshrrev_b32_e32 v106, 4, v113
	v_and_b32_e32 v106, 0xf0f0f0f, v106
	v_and_b32_e32 v140, 0xf0f0f0f, v108
	v_dot4c_i32_i8_e32 v154, v106, v5
	s_waitcnt lgkmcnt(0)
	v_and_b32_e32 v106, 0xf0f0f0f, v114
	v_mov_b32_e32 v107, 0
	v_dot4c_i32_i8_e32 v153, v140, v16
	v_and_b32_e32 v140, 0xf0f0f0f, v109
	v_dot4c_i32_i8_e32 v107, v106, v14
	v_and_b32_e32 v106, 0xf0f0f0f, v115
	;; [unrolled: 2-line block ×3, first 2 shown]
	v_dot4c_i32_i8_e32 v107, v106, v15
	v_add_u32_e32 v106, 0x2148, v37
	v_dot4c_i32_i8_e32 v153, v140, v10
	v_and_b32_e32 v140, 0xf0f0f0f, v111
	ds_read2_b32 v[110:111], v106 offset1:1
	v_lshrrev_b32_e32 v114, 4, v114
	v_dot4c_i32_i8_e32 v153, v140, v11
	v_and_b32_e32 v140, 0xf0f0f0f, v112
	v_and_b32_e32 v114, 0xf0f0f0f, v114
	v_mov_b32_e32 v145, 0
	v_dot4c_i32_i8_e32 v153, v140, v12
	v_and_b32_e32 v140, 0xf0f0f0f, v113
	v_add_u32_e32 v106, 0x2150, v37
	v_dot4c_i32_i8_e32 v145, v114, v6
	v_lshrrev_b32_e32 v114, 4, v115
	v_dot4c_i32_i8_e32 v153, v140, v13
	v_add_u32_e32 v108, 0x2158, v37
	v_add_u32_e32 v109, 0x31c0, v37
	ds_read2_b32 v[112:113], v106 offset1:1
	ds_read2_b32 v[140:141], v108 offset1:1
	;; [unrolled: 1-line block ×3, first 2 shown]
	s_waitcnt lgkmcnt(3)
	v_and_b32_e32 v106, 0xf0f0f0f, v110
	v_and_b32_e32 v114, 0xf0f0f0f, v114
	v_lshrrev_b32_e32 v110, 4, v110
	v_dot4c_i32_i8_e32 v145, v114, v7
	v_and_b32_e32 v110, 0xf0f0f0f, v110
	v_dot4c_i32_i8_e32 v145, v110, v8
	v_lshrrev_b32_e32 v110, 4, v111
	v_and_b32_e32 v110, 0xf0f0f0f, v110
	v_dot4c_i32_i8_e32 v107, v106, v16
	v_and_b32_e32 v106, 0xf0f0f0f, v111
	v_dot4c_i32_i8_e32 v145, v110, v9
	s_waitcnt lgkmcnt(2)
	v_lshrrev_b32_e32 v110, 4, v112
	v_dot4c_i32_i8_e32 v107, v106, v17
	v_and_b32_e32 v106, 0xf0f0f0f, v112
	v_and_b32_e32 v110, 0xf0f0f0f, v110
	s_waitcnt lgkmcnt(0)
	v_and_b32_e32 v112, 0xf0f0f0f, v142
	v_mov_b32_e32 v156, 0
	v_dot4c_i32_i8_e32 v145, v110, v2
	v_lshrrev_b32_e32 v110, 4, v113
	v_dot4c_i32_i8_e32 v156, v112, v14
	v_and_b32_e32 v14, 0xf0f0f0f, v143
	ds_read2_b32 v[108:109], v121 offset0:1 offset1:3
	v_and_b32_e32 v110, 0xf0f0f0f, v110
	v_dot4c_i32_i8_e32 v156, v14, v15
	v_add_u32_e32 v14, 0x31c8, v37
	v_dot4c_i32_i8_e32 v145, v110, v3
	v_lshrrev_b32_e32 v110, 4, v140
	ds_read2_b32 v[14:15], v14 offset1:1
	v_and_b32_e32 v110, 0xf0f0f0f, v110
	v_dot4c_i32_i8_e32 v107, v106, v10
	v_and_b32_e32 v106, 0xf0f0f0f, v113
	v_dot4c_i32_i8_e32 v145, v110, v4
	v_lshrrev_b32_e32 v110, 4, v141
	v_dot4c_i32_i8_e32 v107, v106, v11
	v_and_b32_e32 v106, 0xf0f0f0f, v140
	v_and_b32_e32 v110, 0xf0f0f0f, v110
	v_add_u32_e32 v112, 0x31d0, v37
	v_add_u32_e32 v114, 0x31d8, v37
	;; [unrolled: 1-line block ×3, first 2 shown]
	v_dot4c_i32_i8_e32 v107, v106, v12
	v_and_b32_e32 v106, 0xf0f0f0f, v141
	v_dot4c_i32_i8_e32 v145, v110, v5
	s_waitcnt lgkmcnt(1)
	v_bfe_u32 v110, v108, 8, 8
	ds_read2_b32 v[112:113], v112 offset1:1
	ds_read2_b32 v[114:115], v114 offset1:1
	;; [unrolled: 1-line block ×3, first 2 shown]
	v_mul_lo_u32 v110, v145, v110
	s_waitcnt lgkmcnt(3)
	v_and_b32_e32 v145, 0xf0f0f0f, v14
	v_dot4c_i32_i8_e32 v156, v145, v16
	v_and_b32_e32 v16, 0xf0f0f0f, v15
	v_dot4c_i32_i8_e32 v156, v16, v17
	s_waitcnt lgkmcnt(2)
	v_and_b32_e32 v16, 0xf0f0f0f, v112
	v_dot4c_i32_i8_e32 v156, v16, v10
	v_and_b32_e32 v10, 0xf0f0f0f, v113
	v_dot4c_i32_i8_e32 v156, v10, v11
	;; [unrolled: 5-line block ×3, first 2 shown]
	v_lshrrev_b32_e32 v10, 4, v142
	v_and_b32_e32 v10, 0xf0f0f0f, v10
	v_mov_b32_e32 v157, 0
	v_dot4c_i32_i8_e32 v157, v10, v6
	v_lshrrev_b32_e32 v6, 4, v143
	v_and_b32_e32 v6, 0xf0f0f0f, v6
	v_dot4c_i32_i8_e32 v157, v6, v7
	v_lshrrev_b32_e32 v6, 4, v14
	v_and_b32_e32 v6, 0xf0f0f0f, v6
	;; [unrolled: 3-line block ×7, first 2 shown]
	v_dot4c_i32_i8_e32 v107, v106, v13
	v_dot4c_i32_i8_e32 v157, v2, v5
	ds_read_b128 v[10:13], v29 offset:64
	ds_read_b128 v[14:17], v29 offset:80
	;; [unrolled: 1-line block ×4, first 2 shown]
	ds_read2_b32 v[142:143], v37 offset0:26 offset1:27
	v_cvt_f32_f16_e32 v6, v144
	v_cvt_f32_f16_sdwa v8, v144 dst_sel:DWORD dst_unused:UNUSED_PAD src0_sel:WORD_1
	v_and_b32_e32 v7, 0xf0f0f0f, v138
	v_mov_b32_e32 v158, 0
	ds_read_b32 v159, v127
	ds_read2_b32 v[144:145], v37 offset0:28 offset1:29
	ds_read2_b32 v[146:147], v37 offset0:30 offset1:31
	s_waitcnt lgkmcnt(7)
	v_dot4c_i32_i8_e32 v158, v7, v10
	v_and_b32_e32 v7, 0xf0f0f0f, v139
	v_dot4c_i32_i8_e32 v158, v7, v11
	s_waitcnt lgkmcnt(3)
	v_and_b32_e32 v7, 0xf0f0f0f, v142
	v_dot4c_i32_i8_e32 v158, v7, v12
	v_and_b32_e32 v7, 0xf0f0f0f, v143
	v_dot4c_i32_i8_e32 v158, v7, v13
	s_waitcnt lgkmcnt(1)
	v_and_b32_e32 v7, 0xf0f0f0f, v144
	;; [unrolled: 5-line block ×3, first 2 shown]
	v_dot4c_i32_i8_e32 v158, v7, v16
	v_and_b32_e32 v7, 0xf0f0f0f, v147
	v_dot4c_i32_i8_e32 v158, v7, v17
	v_lshrrev_b32_e32 v7, 4, v138
	v_and_b32_e32 v7, 0xf0f0f0f, v7
	v_mov_b32_e32 v160, 0
	v_dot4c_i32_i8_e32 v160, v7, v112
	v_lshrrev_b32_e32 v7, 4, v139
	v_and_b32_e32 v7, 0xf0f0f0f, v7
	v_dot4c_i32_i8_e32 v160, v7, v113
	v_lshrrev_b32_e32 v7, 4, v142
	v_and_b32_e32 v7, 0xf0f0f0f, v7
	;; [unrolled: 3-line block ×7, first 2 shown]
	v_dot4c_i32_i8_e32 v160, v7, v5
	v_and_b32_e32 v7, 0xf0f0f0f, v140
	v_mov_b32_e32 v161, 0
	v_dot4c_i32_i8_e32 v161, v7, v10
	v_and_b32_e32 v7, 0xf0f0f0f, v141
	v_dot4c_i32_i8_e32 v161, v7, v11
	v_add_u32_e32 v7, 0x10e8, v37
	ds_read2_b32 v[138:139], v7 offset1:1
	v_add_u32_e32 v7, 0x10f0, v37
	v_add_u32_e32 v146, 0x2160, v37
	;; [unrolled: 1-line block ×3, first 2 shown]
	ds_read2_b32 v[142:143], v7 offset1:1
	ds_read2_b32 v[144:145], v9 offset1:1
	;; [unrolled: 1-line block ×3, first 2 shown]
	s_waitcnt lgkmcnt(3)
	v_and_b32_e32 v7, 0xf0f0f0f, v138
	v_dot4c_i32_i8_e32 v161, v7, v12
	v_and_b32_e32 v7, 0xf0f0f0f, v139
	v_dot4c_i32_i8_e32 v161, v7, v13
	s_waitcnt lgkmcnt(2)
	v_and_b32_e32 v7, 0xf0f0f0f, v142
	v_dot4c_i32_i8_e32 v161, v7, v14
	v_and_b32_e32 v7, 0xf0f0f0f, v143
	v_dot4c_i32_i8_e32 v161, v7, v15
	;; [unrolled: 5-line block ×3, first 2 shown]
	v_lshrrev_b32_e32 v7, 4, v140
	v_and_b32_e32 v7, 0xf0f0f0f, v7
	v_mov_b32_e32 v162, 0
	v_dot4c_i32_i8_e32 v162, v7, v112
	v_lshrrev_b32_e32 v7, 4, v141
	v_and_b32_e32 v7, 0xf0f0f0f, v7
	v_dot4c_i32_i8_e32 v162, v7, v113
	v_lshrrev_b32_e32 v7, 4, v138
	v_and_b32_e32 v7, 0xf0f0f0f, v7
	;; [unrolled: 3-line block ×7, first 2 shown]
	v_dot4c_i32_i8_e32 v162, v7, v5
	s_waitcnt lgkmcnt(0)
	v_and_b32_e32 v7, 0xf0f0f0f, v146
	v_mov_b32_e32 v9, 0
	v_dot4c_i32_i8_e32 v9, v7, v10
	v_and_b32_e32 v7, 0xf0f0f0f, v147
	v_dot4c_i32_i8_e32 v9, v7, v11
	v_add_u32_e32 v7, 0x2168, v37
	ds_read2_b32 v[138:139], v7 offset1:1
	v_add_u32_e32 v7, 0x2170, v37
	v_add_u32_e32 v142, 0x2178, v37
	v_add_u32_e32 v144, 0x31e0, v37
	ds_read2_b32 v[140:141], v7 offset1:1
	ds_read2_b32 v[142:143], v142 offset1:1
	ds_read2_b32 v[144:145], v144 offset1:1
	s_waitcnt lgkmcnt(3)
	v_and_b32_e32 v7, 0xf0f0f0f, v138
	v_dot4c_i32_i8_e32 v9, v7, v12
	v_and_b32_e32 v7, 0xf0f0f0f, v139
	v_dot4c_i32_i8_e32 v9, v7, v13
	s_waitcnt lgkmcnt(2)
	v_and_b32_e32 v7, 0xf0f0f0f, v140
	v_dot4c_i32_i8_e32 v9, v7, v14
	v_and_b32_e32 v7, 0xf0f0f0f, v141
	v_dot4c_i32_i8_e32 v9, v7, v15
	;; [unrolled: 5-line block ×3, first 2 shown]
	v_bfe_u32 v7, v108, 16, 8
	v_lshrrev_b32_e32 v155, 24, v108
	v_and_b32_e32 v106, 0xff, v108
	v_mul_lo_u32 v7, v9, v7
	v_cvt_f32_i32_e32 v148, v7
	v_lshrrev_b32_e32 v7, 4, v146
	v_and_b32_e32 v7, 0xf0f0f0f, v7
	v_mov_b32_e32 v108, 0
	v_dot4c_i32_i8_e32 v108, v7, v112
	v_lshrrev_b32_e32 v7, 4, v147
	v_and_b32_e32 v7, 0xf0f0f0f, v7
	v_dot4c_i32_i8_e32 v108, v7, v113
	v_lshrrev_b32_e32 v7, 4, v138
	v_and_b32_e32 v7, 0xf0f0f0f, v7
	;; [unrolled: 3-line block ×7, first 2 shown]
	v_dot4c_i32_i8_e32 v108, v7, v5
	s_waitcnt lgkmcnt(0)
	v_and_b32_e32 v7, 0xf0f0f0f, v144
	v_mov_b32_e32 v9, 0
	v_dot4c_i32_i8_e32 v9, v7, v10
	v_and_b32_e32 v7, 0xf0f0f0f, v145
	v_dot4c_i32_i8_e32 v9, v7, v11
	v_add_u32_e32 v7, 0x31e8, v37
	ds_read2_b32 v[10:11], v7 offset1:1
	v_add_u32_e32 v7, 0x31f0, v37
	v_cvt_f32_f16_e32 v138, v18
	v_cvt_f32_f16_sdwa v140, v18 dst_sel:DWORD dst_unused:UNUSED_PAD src0_sel:WORD_1
	v_add_u32_e32 v18, 0x31f8, v37
	ds_read2_b32 v[146:147], v7 offset1:1
	ds_read2_b32 v[150:151], v18 offset1:1
	s_waitcnt lgkmcnt(2)
	v_and_b32_e32 v7, 0xf0f0f0f, v10
	v_dot4c_i32_i8_e32 v9, v7, v12
	v_and_b32_e32 v7, 0xf0f0f0f, v11
	v_dot4c_i32_i8_e32 v9, v7, v13
	ds_read2_b32 v[12:13], v122 offset0:1 offset1:3
	s_waitcnt lgkmcnt(2)
	v_and_b32_e32 v7, 0xf0f0f0f, v146
	v_dot4c_i32_i8_e32 v9, v7, v14
	v_and_b32_e32 v7, 0xf0f0f0f, v147
	v_dot4c_i32_i8_e32 v9, v7, v15
	s_waitcnt lgkmcnt(1)
	v_and_b32_e32 v7, 0xf0f0f0f, v150
	v_dot4c_i32_i8_e32 v9, v7, v16
	v_and_b32_e32 v7, 0xf0f0f0f, v151
	v_dot4c_i32_i8_e32 v9, v7, v17
	s_waitcnt lgkmcnt(0)
	v_and_b32_e32 v7, 0xff, v12
	v_bfe_u32 v14, v12, 16, 8
	v_mul_lo_u32 v7, v156, v7
	v_mul_lo_u32 v9, v9, v14
	v_cvt_f32_i32_e32 v14, v7
	v_lshrrev_b32_e32 v7, 4, v144
	v_cvt_f32_i32_e32 v15, v9
	v_and_b32_e32 v7, 0xf0f0f0f, v7
	v_mov_b32_e32 v9, 0
	v_dot4c_i32_i8_e32 v9, v7, v112
	v_lshrrev_b32_e32 v7, 4, v145
	v_and_b32_e32 v7, 0xf0f0f0f, v7
	v_dot4c_i32_i8_e32 v9, v7, v113
	v_lshrrev_b32_e32 v7, 4, v10
	v_and_b32_e32 v7, 0xf0f0f0f, v7
	;; [unrolled: 3-line block ×7, first 2 shown]
	v_dot4c_i32_i8_e32 v9, v2, v5
	v_lshrrev_b32_e32 v2, 24, v12
	v_bfe_u32 v3, v12, 8, 8
	v_cvt_f32_f16_e32 v139, v20
	v_mul_lo_u32 v4, v157, v3
	v_mul_lo_u32 v2, v9, v2
	v_cvt_f32_f16_e32 v143, v21
	v_cvt_f32_f16_e32 v142, v19
	v_cvt_f32_i32_e32 v3, v2
	v_cvt_f32_i32_e32 v2, v4
	v_cvt_f32_f16_sdwa v141, v20 dst_sel:DWORD dst_unused:UNUSED_PAD src0_sel:WORD_1
	v_cvt_f32_f16_sdwa v17, v21 dst_sel:DWORD dst_unused:UNUSED_PAD src0_sel:WORD_1
	;; [unrolled: 1-line block ×3, first 2 shown]
	v_pk_fma_f32 v[14:15], v[138:139], v[14:15], 0 op_sel_hi:[1,1,0]
	v_cvt_f32_ubyte2_e32 v5, v13
	v_cvt_f32_ubyte0_e32 v4, v13
	v_pk_fma_f32 v[2:3], v[142:143], v[2:3], v[14:15]
	v_cvt_f32_ubyte3_e32 v11, v13
	v_cvt_f32_ubyte1_e32 v10, v13
	ds_read2_b32 v[12:13], v118 offset0:1 offset1:3
	ds_read2_b32 v[14:15], v120 offset0:1 offset1:3
	v_pk_fma_f32 v[4:5], v[140:141], v[4:5], 0 op_sel_hi:[1,1,0]
	v_cvt_f32_f16_sdwa v21, v152 dst_sel:DWORD dst_unused:UNUSED_PAD src0_sel:WORD_1
	v_pk_fma_f32 v[4:5], v[16:17], v[10:11], v[4:5]
	s_waitcnt lgkmcnt(1)
	v_lshrrev_b32_e32 v144, 24, v12
	v_pk_mul_f32 v[4:5], v[4:5], v[8:9] op_sel_hi:[1,0]
	s_waitcnt lgkmcnt(0)
	v_bfe_u32 v8, v14, 8, 8
	v_pk_fma_f32 v[2:3], v[2:3], v[6:7], v[4:5] op_sel_hi:[1,0,1] neg_lo:[0,0,1] neg_hi:[0,0,1]
	v_and_b32_e32 v4, 0xff, v14
	v_and_b32_e32 v5, 0xff, v12
	v_mul_lo_u32 v6, v137, v5
	v_mul_lo_u32 v4, v153, v4
	v_bfe_u32 v9, v12, 8, 8
	v_cvt_f32_i32_e32 v5, v4
	v_cvt_f32_i32_e32 v4, v6
	v_mul_lo_u32 v10, v149, v9
	v_mul_lo_u32 v8, v154, v8
	v_lshrrev_b32_e32 v145, 24, v14
	v_cvt_f32_i32_e32 v9, v8
	v_cvt_f32_i32_e32 v8, v10
	v_cvt_f32_f16_sdwa v20, v159 dst_sel:DWORD dst_unused:UNUSED_PAD src0_sel:WORD_1
	v_bfe_u32 v14, v14, 16, 8
	v_bfe_u32 v12, v12, 16, 8
	v_cvt_f32_ubyte0_e32 v7, v15
	v_cvt_f32_ubyte0_e32 v6, v13
	v_cvt_f32_f16_e32 v19, v152
	v_cvt_f32_f16_e32 v18, v159
	v_mul_lo_u32 v12, v158, v12
	v_mul_lo_u32 v14, v161, v14
	v_cvt_f32_ubyte1_e32 v11, v15
	v_cvt_f32_ubyte1_e32 v10, v13
	v_cvt_f32_i32_e32 v113, v14
	v_cvt_f32_i32_e32 v112, v12
	v_mul_lo_u32 v12, v160, v144
	v_mul_lo_u32 v14, v162, v145
	v_pk_fma_f32 v[6:7], v[140:141], v[6:7], 0 op_sel_hi:[0,1,0]
	v_cvt_f32_i32_e32 v145, v14
	v_cvt_f32_i32_e32 v144, v12
	v_pk_fma_f32 v[4:5], v[138:139], v[4:5], 0 op_sel_hi:[0,1,0]
	v_pk_fma_f32 v[6:7], v[16:17], v[10:11], v[6:7] op_sel_hi:[0,1,1]
	;; [unrolled: 1-line block ×3, first 2 shown]
	v_pk_mul_f32 v[6:7], v[6:7], v[20:21]
	v_cvt_f32_ubyte2_e32 v115, v15
	v_pk_fma_f32 v[4:5], v[4:5], v[18:19], v[6:7] neg_lo:[0,0,1] neg_hi:[0,0,1]
	v_mov_b32_e32 v6, v139
	v_cvt_f32_ubyte2_e32 v114, v13
	v_pk_fma_f32 v[6:7], v[6:7], v[112:113], 0 op_sel_hi:[0,1,0]
	v_mov_b32_e32 v8, v141
	v_mov_b32_e32 v10, v143
	v_cvt_f32_ubyte3_e32 v15, v15
	v_cvt_f32_ubyte3_e32 v14, v13
	v_pk_fma_f32 v[8:9], v[8:9], v[114:115], 0 op_sel_hi:[0,1,0]
	v_pk_fma_f32 v[6:7], v[10:11], v[144:145], v[6:7] op_sel_hi:[0,1,1]
	v_mov_b32_e32 v10, v17
	v_mul_lo_u32 v106, v107, v106
	v_pk_fma_f32 v[8:9], v[10:11], v[14:15], v[8:9] op_sel_hi:[0,1,1]
	v_cvt_f32_i32_e32 v106, v106
	v_pk_mul_f32 v[8:9], v[8:9], v[20:21]
	v_cvt_f32_i32_e32 v110, v110
	v_pk_add_f32 v[4:5], v[24:25], v[4:5]
	v_pk_fma_f32 v[6:7], v[6:7], v[18:19], v[8:9] neg_lo:[0,0,1] neg_hi:[0,0,1]
	v_cvt_f32_ubyte0_e32 v107, v109
	v_pk_add_f32 v[24:25], v[4:5], v[6:7]
	v_cvt_f32_f16_sdwa v7, v23 dst_sel:DWORD dst_unused:UNUSED_PAD src0_sel:WORD_1
	v_mul_lo_u32 v4, v108, v155
	v_cvt_f32_f16_e32 v6, v23
	v_mov_b32_e32 v8, v138
	v_mov_b32_e32 v9, v140
	v_cvt_f32_ubyte1_e32 v111, v109
	v_cvt_f32_i32_e32 v4, v4
	v_pk_fma_f32 v[8:9], v[8:9], v[106:107], 0 op_sel_hi:[1,1,0]
	v_mov_b32_e32 v10, v142
	v_mov_b32_e32 v11, v16
	v_pk_fma_f32 v[8:9], v[10:11], v[110:111], v[8:9]
	v_cvt_f32_ubyte2_e32 v149, v109
	v_mul_f32_e32 v10, v9, v7
	v_mov_b32_e32 v140, v139
	v_cvt_f32_ubyte3_e32 v5, v109
	v_pk_fma_f32 v[8:9], v[8:9], v[6:7], v[10:11] op_sel_hi:[1,1,0] neg_lo:[0,0,1] neg_hi:[0,0,1]
	v_pk_fma_f32 v[10:11], v[140:141], v[148:149], 0 op_sel_hi:[1,1,0]
	v_mov_b32_e32 v16, v143
	v_pk_fma_f32 v[4:5], v[16:17], v[4:5], v[10:11]
	v_mov_b32_e32 v9, v2
	v_mul_f32_e32 v10, v5, v7
	v_pk_fma_f32 v[4:5], v[4:5], v[6:7], v[10:11] op_sel_hi:[1,1,0] neg_lo:[0,0,1] neg_hi:[0,0,1]
	v_pk_add_f32 v[6:7], v[70:71], v[8:9]
	v_mov_b32_e32 v5, v3
	v_pk_add_f32 v[70:71], v[6:7], v[4:5]
	s_barrier
.LBB192_5:                              ;   in Loop: Header=BB192_6 Depth=1
	s_add_i32 s24, s24, -1
	s_addk_i32 s4, 0x100
	v_add_u32_e32 v119, 8, v119
	v_add_u32_e32 v117, 8, v117
	;; [unrolled: 1-line block ×3, first 2 shown]
	v_lshl_add_u64 v[64:65], v[64:65], 0, s[12:13]
	v_lshl_add_u64 v[66:67], v[66:67], 0, s[12:13]
	;; [unrolled: 1-line block ×20, first 2 shown]
	s_cmp_eq_u32 s24, 0
	v_lshl_add_u64 v[104:105], v[104:105], 0, s[12:13]
	s_cbranch_scc1 .LBB192_17
.LBB192_6:                              ; =>This Inner Loop Header: Depth=1
	v_lshl_add_u64 v[2:3], v[64:65], 0, s[18:19]
	global_load_dword v4, v[2:3], off
	v_lshl_add_u64 v[2:3], v[66:67], 0, s[18:19]
	global_load_dword v5, v[2:3], off
	;; [unrolled: 2-line block ×21, first 2 shown]
	s_add_i32 s2, s4, 0xffffff80
	s_cmp_lt_i32 s2, s5
	s_waitcnt vmcnt(20)
	ds_write_b32 v28, v4
	s_waitcnt vmcnt(19)
	ds_write_b32 v30, v5
	;; [unrolled: 2-line block ×17, first 2 shown]
	s_waitcnt vmcnt(3)
	v_ashrrev_i32_e32 v3, v125, v21
	v_and_b32_e32 v3, 0xf0f0f0f, v3
	s_waitcnt vmcnt(2)
	v_ashrrev_i32_e32 v4, v126, v23
	v_and_or_b32 v3, v4, s8, v3
	s_waitcnt vmcnt(1)
	v_ashrrev_i32_e32 v5, v125, v106
	v_and_b32_e32 v5, 0xf0f0f0f, v5
	s_waitcnt vmcnt(0)
	v_ashrrev_i32_e32 v2, v126, v2
	v_and_or_b32 v2, v2, s8, v5
	ds_write_b32 v123, v3
	ds_write_b32 v124, v2
	s_cbranch_scc0 .LBB192_5
; %bb.7:                                ;   in Loop: Header=BB192_6 Depth=1
	v_cmp_gt_i32_e64 s[2:3], s6, v117
	s_and_b64 s[22:23], s[0:1], s[2:3]
	s_and_saveexec_b64 s[2:3], s[22:23]
	s_cbranch_execz .LBB192_9
; %bb.8:                                ;   in Loop: Header=BB192_6 Depth=1
	v_add_u32_e32 v2, v62, v117
	v_mad_i64_i32 v[2:3], s[22:23], v2, 36, v[60:61]
	global_load_dword v2, v[2:3], off offset:4
	s_waitcnt vmcnt(0)
	ds_write_b32 v31, v2
.LBB192_9:                              ;   in Loop: Header=BB192_6 Depth=1
	s_or_b64 exec, exec, s[2:3]
	v_cmp_gt_i32_e64 s[2:3], s6, v22
	s_and_b64 s[22:23], s[20:21], s[2:3]
	s_and_saveexec_b64 s[2:3], s[22:23]
	s_cbranch_execz .LBB192_11
; %bb.10:                               ;   in Loop: Header=BB192_6 Depth=1
	v_add_u32_e32 v2, v62, v22
	v_mad_i64_i32 v[2:3], s[22:23], v2, 36, s[14:15]
	global_load_dword v2, v[2:3], off
	s_waitcnt vmcnt(0)
	ds_write_b32 v35, v2
.LBB192_11:                             ;   in Loop: Header=BB192_6 Depth=1
	s_or_b64 exec, exec, s[2:3]
	s_waitcnt lgkmcnt(0)
	s_barrier
	ds_read2_b32 v[108:109], v37 offset1:1
	ds_read_b128 v[14:17], v29
	ds_read_b128 v[10:13], v29 offset:16
	ds_read_b128 v[6:9], v29 offset:32
	ds_read_b128 v[2:5], v29 offset:48
	ds_read_b128 v[18:21], v33 offset:20560
	ds_read2_b32 v[110:111], v37 offset0:2 offset1:3
	s_waitcnt lgkmcnt(6)
	v_and_b32_e32 v23, 0xf0f0f0f, v108
	v_mov_b32_e32 v153, 0
	s_waitcnt lgkmcnt(5)
	v_dot4c_i32_i8_e32 v153, v23, v14
	v_and_b32_e32 v23, 0xf0f0f0f, v109
	ds_read2_b32 v[112:113], v37 offset0:4 offset1:5
	ds_read2_b32 v[114:115], v37 offset0:6 offset1:7
	;; [unrolled: 1-line block ×3, first 2 shown]
	v_dot4c_i32_i8_e32 v153, v23, v15
	s_waitcnt lgkmcnt(3)
	v_and_b32_e32 v23, 0xf0f0f0f, v110
	v_dot4c_i32_i8_e32 v153, v23, v16
	v_and_b32_e32 v23, 0xf0f0f0f, v111
	v_dot4c_i32_i8_e32 v153, v23, v17
	s_waitcnt lgkmcnt(2)
	v_and_b32_e32 v23, 0xf0f0f0f, v112
	v_dot4c_i32_i8_e32 v153, v23, v10
	v_and_b32_e32 v23, 0xf0f0f0f, v113
	;; [unrolled: 5-line block ×3, first 2 shown]
	v_dot4c_i32_i8_e32 v153, v23, v13
	v_lshrrev_b32_e32 v23, 4, v108
	v_and_b32_e32 v23, 0xf0f0f0f, v23
	v_mov_b32_e32 v157, 0
	v_dot4c_i32_i8_e32 v157, v23, v6
	v_lshrrev_b32_e32 v23, 4, v109
	v_and_b32_e32 v23, 0xf0f0f0f, v23
	v_dot4c_i32_i8_e32 v157, v23, v7
	v_lshrrev_b32_e32 v23, 4, v110
	v_and_b32_e32 v23, 0xf0f0f0f, v23
	;; [unrolled: 3-line block ×5, first 2 shown]
	v_add_u32_e32 v108, 0x1080, v37
	v_dot4c_i32_i8_e32 v157, v23, v3
	v_lshrrev_b32_e32 v23, 4, v114
	ds_read2_b32 v[110:111], v108 offset1:1
	v_and_b32_e32 v23, 0xf0f0f0f, v23
	v_dot4c_i32_i8_e32 v157, v23, v4
	v_lshrrev_b32_e32 v23, 4, v115
	v_and_b32_e32 v23, 0xf0f0f0f, v23
	v_add_u32_e32 v109, 0x1088, v37
	ds_read2_b32 v[106:107], v118 offset1:2
	v_dot4c_i32_i8_e32 v157, v23, v5
	ds_read_b32 v158, v128 offset:128
	ds_read_b32 v23, v129 offset:256
	;; [unrolled: 1-line block ×3, first 2 shown]
	ds_read2_b32 v[112:113], v109 offset1:1
	s_waitcnt lgkmcnt(5)
	v_and_b32_e32 v108, 0xf0f0f0f, v110
	v_lshrrev_b32_e32 v110, 4, v110
	v_and_b32_e32 v110, 0xf0f0f0f, v110
	v_mov_b32_e32 v162, 0
	v_mov_b32_e32 v159, 0
	v_dot4c_i32_i8_e32 v162, v110, v6
	v_lshrrev_b32_e32 v110, 4, v111
	v_dot4c_i32_i8_e32 v159, v108, v14
	v_and_b32_e32 v108, 0xf0f0f0f, v111
	v_and_b32_e32 v110, 0xf0f0f0f, v110
	v_dot4c_i32_i8_e32 v159, v108, v15
	v_add_u32_e32 v108, 0x1090, v37
	v_add_u32_e32 v140, 0x2100, v37
	v_dot4c_i32_i8_e32 v162, v110, v7
	s_waitcnt lgkmcnt(0)
	v_lshrrev_b32_e32 v110, 4, v112
	v_add_u32_e32 v109, 0x1098, v37
	ds_read2_b32 v[114:115], v108 offset1:1
	ds_read2_b32 v[138:139], v109 offset1:1
	;; [unrolled: 1-line block ×3, first 2 shown]
	v_and_b32_e32 v110, 0xf0f0f0f, v110
	v_dot4c_i32_i8_e32 v162, v110, v8
	v_lshrrev_b32_e32 v110, 4, v113
	v_and_b32_e32 v110, 0xf0f0f0f, v110
	v_dot4c_i32_i8_e32 v162, v110, v9
	s_waitcnt lgkmcnt(2)
	v_lshrrev_b32_e32 v110, 4, v114
	v_and_b32_e32 v110, 0xf0f0f0f, v110
	v_dot4c_i32_i8_e32 v162, v110, v2
	v_lshrrev_b32_e32 v110, 4, v115
	v_and_b32_e32 v108, 0xf0f0f0f, v112
	v_and_b32_e32 v110, 0xf0f0f0f, v110
	v_dot4c_i32_i8_e32 v159, v108, v16
	v_and_b32_e32 v108, 0xf0f0f0f, v113
	v_dot4c_i32_i8_e32 v162, v110, v3
	s_waitcnt lgkmcnt(1)
	v_lshrrev_b32_e32 v110, 4, v138
	v_dot4c_i32_i8_e32 v159, v108, v17
	v_and_b32_e32 v108, 0xf0f0f0f, v114
	v_and_b32_e32 v110, 0xf0f0f0f, v110
	v_add_u32_e32 v112, 0x2108, v37
	v_dot4c_i32_i8_e32 v159, v108, v10
	v_and_b32_e32 v108, 0xf0f0f0f, v115
	v_dot4c_i32_i8_e32 v162, v110, v4
	v_lshrrev_b32_e32 v110, 4, v139
	ds_read2_b32 v[114:115], v112 offset1:1
	v_and_b32_e32 v110, 0xf0f0f0f, v110
	v_dot4c_i32_i8_e32 v162, v110, v5
	s_waitcnt lgkmcnt(1)
	v_and_b32_e32 v110, 0xf0f0f0f, v140
	v_mov_b32_e32 v111, 0
	v_lshrrev_b32_e32 v140, 4, v140
	v_dot4c_i32_i8_e32 v159, v108, v11
	v_and_b32_e32 v144, 0xf0f0f0f, v138
	v_dot4c_i32_i8_e32 v111, v110, v14
	v_and_b32_e32 v110, 0xf0f0f0f, v141
	v_and_b32_e32 v140, 0xf0f0f0f, v140
	v_mov_b32_e32 v149, 0
	v_dot4c_i32_i8_e32 v159, v144, v12
	v_and_b32_e32 v144, 0xf0f0f0f, v139
	v_dot4c_i32_i8_e32 v111, v110, v15
	v_add_u32_e32 v110, 0x2110, v37
	v_dot4c_i32_i8_e32 v149, v140, v6
	v_lshrrev_b32_e32 v140, 4, v141
	ds_read2_b32 v[108:109], v120 offset1:2
	v_dot4c_i32_i8_e32 v159, v144, v13
	ds_read2_b32 v[138:139], v110 offset1:1
	ds_read2_b32 v[144:145], v39 offset1:1
	;; [unrolled: 1-line block ×3, first 2 shown]
	s_waitcnt lgkmcnt(4)
	v_and_b32_e32 v110, 0xf0f0f0f, v114
	v_and_b32_e32 v140, 0xf0f0f0f, v140
	v_lshrrev_b32_e32 v114, 4, v114
	v_dot4c_i32_i8_e32 v149, v140, v7
	v_and_b32_e32 v114, 0xf0f0f0f, v114
	v_dot4c_i32_i8_e32 v149, v114, v8
	v_lshrrev_b32_e32 v114, 4, v115
	v_and_b32_e32 v114, 0xf0f0f0f, v114
	v_dot4c_i32_i8_e32 v149, v114, v9
	s_waitcnt lgkmcnt(2)
	v_lshrrev_b32_e32 v114, 4, v138
	v_and_b32_e32 v114, 0xf0f0f0f, v114
	v_dot4c_i32_i8_e32 v111, v110, v16
	v_and_b32_e32 v110, 0xf0f0f0f, v115
	v_dot4c_i32_i8_e32 v149, v114, v2
	v_lshrrev_b32_e32 v114, 4, v139
	v_dot4c_i32_i8_e32 v111, v110, v17
	v_and_b32_e32 v110, 0xf0f0f0f, v138
	ds_read2_b32 v[112:113], v121 offset1:2
	v_and_b32_e32 v114, 0xf0f0f0f, v114
	s_waitcnt lgkmcnt(1)
	v_and_b32_e32 v138, 0xf0f0f0f, v146
	v_mov_b32_e32 v164, 0
	v_dot4c_i32_i8_e32 v111, v110, v10
	v_and_b32_e32 v110, 0xf0f0f0f, v139
	v_dot4c_i32_i8_e32 v149, v114, v3
	v_lshrrev_b32_e32 v114, 4, v144
	v_dot4c_i32_i8_e32 v164, v138, v14
	ds_read2_b32 v[138:139], v43 offset1:1
	v_and_b32_e32 v114, 0xf0f0f0f, v114
	v_dot4c_i32_i8_e32 v149, v114, v4
	v_lshrrev_b32_e32 v114, 4, v145
	v_dot4c_i32_i8_e32 v111, v110, v11
	v_and_b32_e32 v110, 0xf0f0f0f, v144
	v_and_b32_e32 v114, 0xf0f0f0f, v114
	;; [unrolled: 1-line block ×3, first 2 shown]
	v_dot4c_i32_i8_e32 v111, v110, v12
	v_and_b32_e32 v110, 0xf0f0f0f, v145
	v_dot4c_i32_i8_e32 v149, v114, v5
	s_waitcnt lgkmcnt(1)
	v_bfe_u32 v114, v112, 8, 8
	v_dot4c_i32_i8_e32 v164, v14, v15
	ds_read2_b32 v[14:15], v45 offset1:1
	ds_read2_b32 v[140:141], v47 offset1:1
	;; [unrolled: 1-line block ×3, first 2 shown]
	v_mul_lo_u32 v114, v149, v114
	s_waitcnt lgkmcnt(3)
	v_and_b32_e32 v149, 0xf0f0f0f, v138
	v_dot4c_i32_i8_e32 v164, v149, v16
	v_and_b32_e32 v16, 0xf0f0f0f, v139
	v_dot4c_i32_i8_e32 v164, v16, v17
	s_waitcnt lgkmcnt(2)
	v_and_b32_e32 v16, 0xf0f0f0f, v14
	v_dot4c_i32_i8_e32 v164, v16, v10
	v_and_b32_e32 v10, 0xf0f0f0f, v15
	v_dot4c_i32_i8_e32 v164, v10, v11
	;; [unrolled: 5-line block ×3, first 2 shown]
	v_lshrrev_b32_e32 v10, 4, v146
	v_and_b32_e32 v10, 0xf0f0f0f, v10
	v_mov_b32_e32 v165, 0
	v_dot4c_i32_i8_e32 v165, v10, v6
	v_lshrrev_b32_e32 v6, 4, v147
	v_and_b32_e32 v6, 0xf0f0f0f, v6
	v_dot4c_i32_i8_e32 v165, v6, v7
	v_lshrrev_b32_e32 v6, 4, v138
	v_and_b32_e32 v6, 0xf0f0f0f, v6
	;; [unrolled: 3-line block ×6, first 2 shown]
	v_dot4c_i32_i8_e32 v111, v110, v13
	v_dot4c_i32_i8_e32 v165, v2, v4
	v_lshrrev_b32_e32 v2, 4, v141
	ds_read_b128 v[6:9], v29 offset:64
	ds_read_b128 v[10:13], v29 offset:80
	;; [unrolled: 1-line block ×4, first 2 shown]
	ds_read2_b32 v[146:147], v37 offset0:10 offset1:11
	v_and_b32_e32 v2, 0xf0f0f0f, v2
	v_dot4c_i32_i8_e32 v165, v2, v5
	v_cvt_f32_f16_e32 v2, v148
	v_cvt_f32_f16_sdwa v4, v148 dst_sel:DWORD dst_unused:UNUSED_PAD src0_sel:WORD_1
	v_and_b32_e32 v3, 0xf0f0f0f, v142
	v_mov_b32_e32 v166, 0
	ds_read_b32 v167, v127
	ds_read2_b32 v[148:149], v37 offset0:12 offset1:13
	ds_read2_b32 v[150:151], v37 offset0:14 offset1:15
	s_waitcnt lgkmcnt(7)
	v_dot4c_i32_i8_e32 v166, v3, v6
	v_and_b32_e32 v3, 0xf0f0f0f, v143
	v_dot4c_i32_i8_e32 v166, v3, v7
	s_waitcnt lgkmcnt(3)
	v_and_b32_e32 v3, 0xf0f0f0f, v146
	v_dot4c_i32_i8_e32 v166, v3, v8
	v_and_b32_e32 v3, 0xf0f0f0f, v147
	v_dot4c_i32_i8_e32 v166, v3, v9
	s_waitcnt lgkmcnt(1)
	v_and_b32_e32 v3, 0xf0f0f0f, v148
	;; [unrolled: 5-line block ×3, first 2 shown]
	v_dot4c_i32_i8_e32 v166, v3, v12
	v_and_b32_e32 v3, 0xf0f0f0f, v151
	v_dot4c_i32_i8_e32 v166, v3, v13
	v_lshrrev_b32_e32 v3, 4, v142
	v_and_b32_e32 v3, 0xf0f0f0f, v3
	v_mov_b32_e32 v168, 0
	v_dot4c_i32_i8_e32 v168, v3, v14
	v_lshrrev_b32_e32 v3, 4, v143
	v_and_b32_e32 v3, 0xf0f0f0f, v3
	v_dot4c_i32_i8_e32 v168, v3, v15
	v_lshrrev_b32_e32 v3, 4, v146
	v_and_b32_e32 v3, 0xf0f0f0f, v3
	;; [unrolled: 3-line block ×6, first 2 shown]
	ds_read2_b32 v[142:143], v51 offset1:1
	v_dot4c_i32_i8_e32 v168, v3, v140
	v_lshrrev_b32_e32 v3, 4, v151
	v_and_b32_e32 v3, 0xf0f0f0f, v3
	v_dot4c_i32_i8_e32 v168, v3, v141
	v_and_b32_e32 v3, 0xf0f0f0f, v144
	v_mov_b32_e32 v169, 0
	v_dot4c_i32_i8_e32 v169, v3, v6
	v_and_b32_e32 v3, 0xf0f0f0f, v145
	ds_read2_b32 v[146:147], v53 offset1:1
	ds_read2_b32 v[148:149], v55 offset1:1
	;; [unrolled: 1-line block ×3, first 2 shown]
	v_dot4c_i32_i8_e32 v169, v3, v7
	s_waitcnt lgkmcnt(3)
	v_and_b32_e32 v3, 0xf0f0f0f, v142
	v_dot4c_i32_i8_e32 v169, v3, v8
	v_and_b32_e32 v3, 0xf0f0f0f, v143
	v_dot4c_i32_i8_e32 v169, v3, v9
	s_waitcnt lgkmcnt(2)
	v_and_b32_e32 v3, 0xf0f0f0f, v146
	v_dot4c_i32_i8_e32 v169, v3, v10
	v_and_b32_e32 v3, 0xf0f0f0f, v147
	;; [unrolled: 5-line block ×3, first 2 shown]
	v_dot4c_i32_i8_e32 v169, v3, v13
	v_lshrrev_b32_e32 v3, 4, v144
	v_and_b32_e32 v3, 0xf0f0f0f, v3
	v_mov_b32_e32 v170, 0
	v_dot4c_i32_i8_e32 v170, v3, v14
	v_lshrrev_b32_e32 v3, 4, v145
	v_and_b32_e32 v3, 0xf0f0f0f, v3
	v_dot4c_i32_i8_e32 v170, v3, v15
	v_lshrrev_b32_e32 v3, 4, v142
	v_and_b32_e32 v3, 0xf0f0f0f, v3
	;; [unrolled: 3-line block ×6, first 2 shown]
	ds_read2_b32 v[142:143], v59 offset1:1
	v_dot4c_i32_i8_e32 v170, v3, v140
	v_lshrrev_b32_e32 v3, 4, v149
	v_and_b32_e32 v3, 0xf0f0f0f, v3
	v_dot4c_i32_i8_e32 v170, v3, v141
	s_waitcnt lgkmcnt(1)
	v_and_b32_e32 v3, 0xf0f0f0f, v150
	v_mov_b32_e32 v5, 0
	v_dot4c_i32_i8_e32 v5, v3, v6
	v_and_b32_e32 v3, 0xf0f0f0f, v151
	ds_read2_b32 v[144:145], v131 offset1:1
	ds_read2_b32 v[146:147], v132 offset1:1
	;; [unrolled: 1-line block ×3, first 2 shown]
	v_dot4c_i32_i8_e32 v5, v3, v7
	s_waitcnt lgkmcnt(3)
	v_and_b32_e32 v3, 0xf0f0f0f, v142
	v_dot4c_i32_i8_e32 v5, v3, v8
	v_and_b32_e32 v3, 0xf0f0f0f, v143
	v_dot4c_i32_i8_e32 v5, v3, v9
	s_waitcnt lgkmcnt(2)
	v_and_b32_e32 v3, 0xf0f0f0f, v144
	v_dot4c_i32_i8_e32 v5, v3, v10
	v_and_b32_e32 v3, 0xf0f0f0f, v145
	;; [unrolled: 5-line block ×3, first 2 shown]
	v_dot4c_i32_i8_e32 v5, v3, v13
	v_bfe_u32 v3, v112, 16, 8
	v_lshrrev_b32_e32 v163, 24, v112
	v_and_b32_e32 v110, 0xff, v112
	v_mul_lo_u32 v3, v5, v3
	v_cvt_f32_i32_e32 v152, v3
	v_lshrrev_b32_e32 v3, 4, v150
	v_and_b32_e32 v3, 0xf0f0f0f, v3
	v_mov_b32_e32 v112, 0
	v_dot4c_i32_i8_e32 v112, v3, v14
	v_lshrrev_b32_e32 v3, 4, v151
	v_and_b32_e32 v3, 0xf0f0f0f, v3
	v_dot4c_i32_i8_e32 v112, v3, v15
	v_lshrrev_b32_e32 v3, 4, v142
	v_and_b32_e32 v3, 0xf0f0f0f, v3
	;; [unrolled: 3-line block ×6, first 2 shown]
	v_dot4c_i32_i8_e32 v112, v3, v140
	v_lshrrev_b32_e32 v3, 4, v147
	ds_read2_b32 v[150:151], v134 offset1:1
	v_and_b32_e32 v3, 0xf0f0f0f, v3
	v_dot4c_i32_i8_e32 v112, v3, v141
	s_waitcnt lgkmcnt(1)
	v_and_b32_e32 v3, 0xf0f0f0f, v148
	v_mov_b32_e32 v5, 0
	v_dot4c_i32_i8_e32 v5, v3, v6
	v_and_b32_e32 v3, 0xf0f0f0f, v149
	v_dot4c_i32_i8_e32 v5, v3, v7
	ds_read2_b32 v[6:7], v135 offset1:1
	ds_read2_b32 v[154:155], v136 offset1:1
	s_waitcnt lgkmcnt(2)
	v_and_b32_e32 v3, 0xf0f0f0f, v150
	v_dot4c_i32_i8_e32 v5, v3, v8
	v_and_b32_e32 v3, 0xf0f0f0f, v151
	v_dot4c_i32_i8_e32 v5, v3, v9
	ds_read2_b32 v[8:9], v122 offset1:2
	s_waitcnt lgkmcnt(2)
	v_and_b32_e32 v3, 0xf0f0f0f, v6
	v_dot4c_i32_i8_e32 v5, v3, v10
	v_and_b32_e32 v3, 0xf0f0f0f, v7
	v_dot4c_i32_i8_e32 v5, v3, v11
	s_waitcnt lgkmcnt(1)
	v_and_b32_e32 v3, 0xf0f0f0f, v154
	v_dot4c_i32_i8_e32 v5, v3, v12
	v_and_b32_e32 v3, 0xf0f0f0f, v155
	v_dot4c_i32_i8_e32 v5, v3, v13
	s_waitcnt lgkmcnt(0)
	v_and_b32_e32 v3, 0xff, v8
	v_bfe_u32 v10, v8, 16, 8
	v_mul_lo_u32 v3, v164, v3
	v_mul_lo_u32 v5, v5, v10
	v_cvt_f32_i32_e32 v10, v3
	v_lshrrev_b32_e32 v3, 4, v148
	v_cvt_f32_i32_e32 v11, v5
	v_and_b32_e32 v3, 0xf0f0f0f, v3
	v_mov_b32_e32 v5, 0
	v_dot4c_i32_i8_e32 v5, v3, v14
	v_lshrrev_b32_e32 v3, 4, v149
	v_and_b32_e32 v3, 0xf0f0f0f, v3
	v_dot4c_i32_i8_e32 v5, v3, v15
	v_lshrrev_b32_e32 v3, 4, v150
	v_and_b32_e32 v3, 0xf0f0f0f, v3
	;; [unrolled: 3-line block ×7, first 2 shown]
	v_dot4c_i32_i8_e32 v5, v3, v141
	v_lshrrev_b32_e32 v3, 24, v8
	v_bfe_u32 v6, v8, 8, 8
	v_cvt_f32_f16_e32 v143, v20
	v_cvt_f32_f16_e32 v142, v18
	v_mul_lo_u32 v6, v165, v6
	v_mul_lo_u32 v3, v5, v3
	v_cvt_f32_f16_sdwa v145, v20 dst_sel:DWORD dst_unused:UNUSED_PAD src0_sel:WORD_1
	v_cvt_f32_f16_sdwa v144, v18 dst_sel:DWORD dst_unused:UNUSED_PAD src0_sel:WORD_1
	v_cvt_f32_f16_e32 v147, v21
	v_cvt_f32_f16_e32 v146, v19
	v_cvt_f32_i32_e32 v7, v3
	v_cvt_f32_i32_e32 v6, v6
	v_cvt_f32_f16_sdwa v13, v21 dst_sel:DWORD dst_unused:UNUSED_PAD src0_sel:WORD_1
	v_cvt_f32_f16_sdwa v12, v19 dst_sel:DWORD dst_unused:UNUSED_PAD src0_sel:WORD_1
	v_pk_fma_f32 v[10:11], v[142:143], v[10:11], 0 op_sel_hi:[1,1,0]
	v_cvt_f32_ubyte2_e32 v15, v9
	v_cvt_f32_ubyte0_e32 v14, v9
	v_pk_fma_f32 v[14:15], v[144:145], v[14:15], 0 op_sel_hi:[1,1,0]
	v_pk_fma_f32 v[6:7], v[146:147], v[6:7], v[10:11]
	v_cvt_f32_ubyte3_e32 v11, v9
	v_cvt_f32_ubyte1_e32 v10, v9
	v_pk_fma_f32 v[8:9], v[12:13], v[10:11], v[14:15]
	v_and_b32_e32 v156, 0xff, v106
	v_and_b32_e32 v161, 0xff, v108
	v_pk_mul_f32 v[4:5], v[8:9], v[4:5] op_sel_hi:[1,0]
	v_bfe_u32 v8, v108, 8, 8
	v_pk_fma_f32 v[2:3], v[6:7], v[2:3], v[4:5] op_sel_hi:[1,0,1] neg_lo:[0,0,1] neg_hi:[0,0,1]
	v_mul_lo_u32 v4, v153, v156
	v_mul_lo_u32 v5, v159, v161
	v_bfe_u32 v9, v106, 8, 8
	v_cvt_f32_i32_e32 v5, v5
	v_cvt_f32_i32_e32 v4, v4
	v_mul_lo_u32 v10, v157, v9
	v_mul_lo_u32 v8, v162, v8
	v_cvt_f32_i32_e32 v9, v8
	v_cvt_f32_i32_e32 v8, v10
	v_cvt_f32_f16_sdwa v17, v158 dst_sel:DWORD dst_unused:UNUSED_PAD src0_sel:WORD_1
	v_cvt_f32_f16_sdwa v16, v167 dst_sel:DWORD dst_unused:UNUSED_PAD src0_sel:WORD_1
	v_bfe_u32 v18, v108, 16, 8
	v_bfe_u32 v19, v106, 16, 8
	v_lshrrev_b32_e32 v137, 24, v106
	v_lshrrev_b32_e32 v160, 24, v108
	v_cvt_f32_ubyte0_e32 v7, v109
	v_cvt_f32_ubyte0_e32 v6, v107
	v_cvt_f32_f16_e32 v15, v158
	v_cvt_f32_f16_e32 v14, v167
	v_mul_lo_u32 v20, v166, v19
	v_mul_lo_u32 v18, v169, v18
	v_cvt_f32_ubyte1_e32 v11, v109
	v_cvt_f32_ubyte1_e32 v10, v107
	v_cvt_f32_i32_e32 v19, v18
	v_cvt_f32_i32_e32 v18, v20
	v_mul_lo_u32 v106, v168, v137
	v_mul_lo_u32 v108, v170, v160
	v_pk_fma_f32 v[6:7], v[144:145], v[6:7], 0 op_sel_hi:[0,1,0]
	v_cvt_f32_i32_e32 v139, v108
	v_cvt_f32_i32_e32 v138, v106
	v_pk_fma_f32 v[4:5], v[142:143], v[4:5], 0 op_sel_hi:[0,1,0]
	v_pk_fma_f32 v[6:7], v[12:13], v[10:11], v[6:7] op_sel_hi:[0,1,1]
	;; [unrolled: 1-line block ×3, first 2 shown]
	v_pk_mul_f32 v[6:7], v[6:7], v[16:17]
	v_cvt_f32_ubyte2_e32 v21, v109
	v_pk_fma_f32 v[4:5], v[4:5], v[14:15], v[6:7] neg_lo:[0,0,1] neg_hi:[0,0,1]
	v_mov_b32_e32 v6, v143
	v_cvt_f32_ubyte2_e32 v20, v107
	v_pk_fma_f32 v[6:7], v[6:7], v[18:19], 0 op_sel_hi:[0,1,0]
	v_mov_b32_e32 v8, v145
	v_mov_b32_e32 v10, v147
	v_cvt_f32_ubyte3_e32 v109, v109
	v_cvt_f32_ubyte3_e32 v108, v107
	v_pk_fma_f32 v[8:9], v[8:9], v[20:21], 0 op_sel_hi:[0,1,0]
	v_pk_fma_f32 v[6:7], v[10:11], v[138:139], v[6:7] op_sel_hi:[0,1,1]
	v_mov_b32_e32 v10, v13
	v_mul_lo_u32 v110, v111, v110
	v_pk_fma_f32 v[8:9], v[10:11], v[108:109], v[8:9] op_sel_hi:[0,1,1]
	v_cvt_f32_i32_e32 v110, v110
	v_pk_mul_f32 v[8:9], v[8:9], v[16:17]
	v_cvt_f32_i32_e32 v114, v114
	v_pk_add_f32 v[4:5], v[24:25], v[4:5]
	v_pk_fma_f32 v[6:7], v[6:7], v[14:15], v[8:9] neg_lo:[0,0,1] neg_hi:[0,0,1]
	v_cvt_f32_ubyte0_e32 v111, v113
	v_pk_add_f32 v[24:25], v[4:5], v[6:7]
	v_cvt_f32_f16_sdwa v7, v23 dst_sel:DWORD dst_unused:UNUSED_PAD src0_sel:WORD_1
	v_mul_lo_u32 v4, v112, v163
	v_cvt_f32_f16_e32 v6, v23
	v_mov_b32_e32 v8, v142
	v_mov_b32_e32 v9, v144
	v_cvt_f32_ubyte1_e32 v115, v113
	v_cvt_f32_i32_e32 v4, v4
	v_pk_fma_f32 v[8:9], v[8:9], v[110:111], 0 op_sel_hi:[1,1,0]
	v_mov_b32_e32 v10, v146
	v_mov_b32_e32 v11, v12
	v_pk_fma_f32 v[8:9], v[10:11], v[114:115], v[8:9]
	v_cvt_f32_ubyte2_e32 v153, v113
	v_mul_f32_e32 v10, v9, v7
	v_mov_b32_e32 v144, v143
	v_cvt_f32_ubyte3_e32 v5, v113
	v_pk_fma_f32 v[8:9], v[8:9], v[6:7], v[10:11] op_sel_hi:[1,1,0] neg_lo:[0,0,1] neg_hi:[0,0,1]
	v_pk_fma_f32 v[10:11], v[144:145], v[152:153], 0 op_sel_hi:[1,1,0]
	v_mov_b32_e32 v12, v147
	v_pk_fma_f32 v[4:5], v[12:13], v[4:5], v[10:11]
	v_mov_b32_e32 v9, v2
	v_mul_f32_e32 v10, v5, v7
	v_pk_fma_f32 v[4:5], v[4:5], v[6:7], v[10:11] op_sel_hi:[1,1,0] neg_lo:[0,0,1] neg_hi:[0,0,1]
	v_pk_add_f32 v[6:7], v[70:71], v[8:9]
	v_mov_b32_e32 v5, v3
	v_pk_add_f32 v[70:71], v[6:7], v[4:5]
	s_cmp_ge_i32 s4, s5
	s_barrier
	s_cbranch_scc1 .LBB192_5
; %bb.12:                               ;   in Loop: Header=BB192_6 Depth=1
	v_cmp_gt_i32_e64 s[2:3], s6, v119
	s_and_b64 s[22:23], s[0:1], s[2:3]
	s_and_saveexec_b64 s[2:3], s[22:23]
	s_cbranch_execz .LBB192_14
; %bb.13:                               ;   in Loop: Header=BB192_6 Depth=1
	v_add_u32_e32 v2, v62, v119
	v_mad_i64_i32 v[2:3], s[22:23], v2, 36, v[60:61]
	global_load_dword v2, v[2:3], off offset:4
	s_waitcnt vmcnt(0)
	ds_write_b32 v31, v2
.LBB192_14:                             ;   in Loop: Header=BB192_6 Depth=1
	s_or_b64 exec, exec, s[2:3]
	s_and_saveexec_b64 s[22:23], vcc
	s_cbranch_execz .LBB192_4
; %bb.15:                               ;   in Loop: Header=BB192_6 Depth=1
	v_add_u32_e32 v2, 4, v22
	v_cmp_gt_i32_e64 s[2:3], s6, v2
	s_and_b64 s[2:3], s[0:1], s[2:3]
	s_and_b64 exec, exec, s[2:3]
	s_cbranch_execz .LBB192_4
; %bb.16:                               ;   in Loop: Header=BB192_6 Depth=1
	v_ashrrev_i32_e32 v23, 31, v22
	v_lshl_add_u64 v[2:3], v[62:63], 0, v[22:23]
	v_mad_u64_u32 v[4:5], s[2:3], v2, 36, s[14:15]
	v_mad_i32_i24 v5, v3, 36, v5
	global_load_dword v2, v[4:5], off offset:144
	s_waitcnt vmcnt(0)
	ds_write_b32 v35, v2
	s_branch .LBB192_4
.LBB192_17:
	s_mul_i32 s0, s10, s7
	s_waitcnt vmcnt(0)
	v_cmp_gt_i32_e32 vcc, s0, v1
	s_and_saveexec_b64 s[0:1], vcc
	s_cbranch_execz .LBB192_26
; %bb.18:
	v_and_b32_e32 v0, 0x3ff, v0
	v_add_u32_e32 v2, s11, v0
	v_mul_lo_u32 v0, v1, s9
	v_cmp_gt_u32_e32 vcc, s9, v2
	s_and_saveexec_b64 s[0:1], vcc
	s_cbranch_execz .LBB192_20
; %bb.19:
	v_add_u32_e32 v4, v0, v2
	v_mov_b32_e32 v5, 0
	v_lshl_add_u64 v[4:5], v[4:5], 2, s[16:17]
	global_store_dword v[4:5], v24, off
.LBB192_20:
	s_or_b64 exec, exec, s[0:1]
	v_add_u32_e32 v1, 32, v2
	v_cmp_gt_u32_e32 vcc, s9, v1
	s_and_saveexec_b64 s[0:1], vcc
	s_cbranch_execz .LBB192_22
; %bb.21:
	v_add_u32_e32 v4, v0, v1
	v_mov_b32_e32 v5, 0
	v_lshl_add_u64 v[4:5], v[4:5], 2, s[16:17]
	global_store_dword v[4:5], v25, off
.LBB192_22:
	s_or_b64 exec, exec, s[0:1]
	v_add_u32_e32 v1, 64, v2
	;; [unrolled: 11-line block ×3, first 2 shown]
	v_cmp_gt_u32_e32 vcc, s9, v1
	s_and_b64 exec, exec, vcc
	s_cbranch_execz .LBB192_26
; %bb.25:
	v_add_u32_e32 v0, v0, v1
	v_mov_b32_e32 v1, 0
	v_lshl_add_u64 v[0:1], v[0:1], 2, s[16:17]
	global_store_dword v[0:1], v71, off
.LBB192_26:
	s_endpgm
	.section	.rodata,"a",@progbits
	.p2align	6, 0x0
	.amdhsa_kernel _ZL8moe_q4_KIfLb1EEvPKvS1_PT_PKiS5_S5_iiiiiii
		.amdhsa_group_segment_fixed_size 20688
		.amdhsa_private_segment_fixed_size 0
		.amdhsa_kernarg_size 76
		.amdhsa_user_sgpr_count 2
		.amdhsa_user_sgpr_dispatch_ptr 0
		.amdhsa_user_sgpr_queue_ptr 0
		.amdhsa_user_sgpr_kernarg_segment_ptr 1
		.amdhsa_user_sgpr_dispatch_id 0
		.amdhsa_user_sgpr_kernarg_preload_length 0
		.amdhsa_user_sgpr_kernarg_preload_offset 0
		.amdhsa_user_sgpr_private_segment_size 0
		.amdhsa_uses_dynamic_stack 0
		.amdhsa_enable_private_segment 0
		.amdhsa_system_sgpr_workgroup_id_x 1
		.amdhsa_system_sgpr_workgroup_id_y 1
		.amdhsa_system_sgpr_workgroup_id_z 0
		.amdhsa_system_sgpr_workgroup_info 0
		.amdhsa_system_vgpr_workitem_id 1
		.amdhsa_next_free_vgpr 171
		.amdhsa_next_free_sgpr 75
		.amdhsa_accum_offset 172
		.amdhsa_reserve_vcc 1
		.amdhsa_float_round_mode_32 0
		.amdhsa_float_round_mode_16_64 0
		.amdhsa_float_denorm_mode_32 3
		.amdhsa_float_denorm_mode_16_64 3
		.amdhsa_dx10_clamp 1
		.amdhsa_ieee_mode 1
		.amdhsa_fp16_overflow 0
		.amdhsa_tg_split 0
		.amdhsa_exception_fp_ieee_invalid_op 0
		.amdhsa_exception_fp_denorm_src 0
		.amdhsa_exception_fp_ieee_div_zero 0
		.amdhsa_exception_fp_ieee_overflow 0
		.amdhsa_exception_fp_ieee_underflow 0
		.amdhsa_exception_fp_ieee_inexact 0
		.amdhsa_exception_int_div_zero 0
	.end_amdhsa_kernel
	.section	.text._ZL8moe_q4_KIfLb1EEvPKvS1_PT_PKiS5_S5_iiiiiii,"axG",@progbits,_ZL8moe_q4_KIfLb1EEvPKvS1_PT_PKiS5_S5_iiiiiii,comdat
.Lfunc_end192:
	.size	_ZL8moe_q4_KIfLb1EEvPKvS1_PT_PKiS5_S5_iiiiiii, .Lfunc_end192-_ZL8moe_q4_KIfLb1EEvPKvS1_PT_PKiS5_S5_iiiiiii
                                        ; -- End function
	.set _ZL8moe_q4_KIfLb1EEvPKvS1_PT_PKiS5_S5_iiiiiii.num_vgpr, 171
	.set _ZL8moe_q4_KIfLb1EEvPKvS1_PT_PKiS5_S5_iiiiiii.num_agpr, 0
	.set _ZL8moe_q4_KIfLb1EEvPKvS1_PT_PKiS5_S5_iiiiiii.numbered_sgpr, 28
	.set _ZL8moe_q4_KIfLb1EEvPKvS1_PT_PKiS5_S5_iiiiiii.num_named_barrier, 0
	.set _ZL8moe_q4_KIfLb1EEvPKvS1_PT_PKiS5_S5_iiiiiii.private_seg_size, 0
	.set _ZL8moe_q4_KIfLb1EEvPKvS1_PT_PKiS5_S5_iiiiiii.uses_vcc, 1
	.set _ZL8moe_q4_KIfLb1EEvPKvS1_PT_PKiS5_S5_iiiiiii.uses_flat_scratch, 0
	.set _ZL8moe_q4_KIfLb1EEvPKvS1_PT_PKiS5_S5_iiiiiii.has_dyn_sized_stack, 0
	.set _ZL8moe_q4_KIfLb1EEvPKvS1_PT_PKiS5_S5_iiiiiii.has_recursion, 0
	.set _ZL8moe_q4_KIfLb1EEvPKvS1_PT_PKiS5_S5_iiiiiii.has_indirect_call, 0
	.section	.AMDGPU.csdata,"",@progbits
; Kernel info:
; codeLenInByte = 10060
; TotalNumSgprs: 34
; NumVgprs: 171
; NumAgprs: 0
; TotalNumVgprs: 171
; ScratchSize: 0
; MemoryBound: 0
; FloatMode: 240
; IeeeMode: 1
; LDSByteSize: 20688 bytes/workgroup (compile time only)
; SGPRBlocks: 10
; VGPRBlocks: 21
; NumSGPRsForWavesPerEU: 81
; NumVGPRsForWavesPerEU: 171
; AccumOffset: 172
; Occupancy: 2
; WaveLimiterHint : 1
; COMPUTE_PGM_RSRC2:SCRATCH_EN: 0
; COMPUTE_PGM_RSRC2:USER_SGPR: 2
; COMPUTE_PGM_RSRC2:TRAP_HANDLER: 0
; COMPUTE_PGM_RSRC2:TGID_X_EN: 1
; COMPUTE_PGM_RSRC2:TGID_Y_EN: 1
; COMPUTE_PGM_RSRC2:TGID_Z_EN: 0
; COMPUTE_PGM_RSRC2:TIDIG_COMP_CNT: 1
; COMPUTE_PGM_RSRC3_GFX90A:ACCUM_OFFSET: 42
; COMPUTE_PGM_RSRC3_GFX90A:TG_SPLIT: 0
	.section	.text._ZL8moe_q5_KIfLb0EEvPKvS1_PT_PKiS5_S5_iiiiiii,"axG",@progbits,_ZL8moe_q5_KIfLb0EEvPKvS1_PT_PKiS5_S5_iiiiiii,comdat
	.globl	_ZL8moe_q5_KIfLb0EEvPKvS1_PT_PKiS5_S5_iiiiiii ; -- Begin function _ZL8moe_q5_KIfLb0EEvPKvS1_PT_PKiS5_S5_iiiiiii
	.p2align	8
	.type	_ZL8moe_q5_KIfLb0EEvPKvS1_PT_PKiS5_S5_iiiiiii,@function
_ZL8moe_q5_KIfLb0EEvPKvS1_PT_PKiS5_S5_iiiiiii: ; @_ZL8moe_q5_KIfLb0EEvPKvS1_PT_PKiS5_S5_iiiiiii
; %bb.0:
	s_load_dwordx4 s[4:7], s[0:1], 0x18
	s_mov_b32 s8, s3
	s_mov_b32 s9, 0
	s_lshl_b64 s[10:11], s[8:9], 2
	s_waitcnt lgkmcnt(0)
	s_add_u32 s6, s6, s10
	s_addc_u32 s7, s7, s11
	s_load_dword s3, s[6:7], 0x0
	s_waitcnt lgkmcnt(0)
	s_cmpk_gt_u32 s3, 0xff
	s_cbranch_scc1 .LBB193_26
; %bb.1:
	s_load_dwordx2 s[6:7], s[0:1], 0x28
	s_waitcnt lgkmcnt(0)
	s_load_dword s7, s[6:7], 0x0
	s_lshl_b32 s6, s8, 3
	s_waitcnt lgkmcnt(0)
	s_cmp_gt_u32 s6, s7
	s_cbranch_scc1 .LBB193_26
; %bb.2:
	v_bfe_u32 v4, v0, 10, 10
	v_mov_b32_e32 v2, s4
	v_mov_b32_e32 v3, s5
	v_add_u32_e32 v90, s6, v4
	v_mov_b32_e32 v91, 0
	v_lshl_add_u64 v[2:3], v[90:91], 2, v[2:3]
	global_load_dword v1, v[2:3], off
	s_load_dwordx2 s[14:15], s[0:1], 0x30
	s_load_dwordx2 s[12:13], s[0:1], 0x10
	s_load_dwordx4 s[4:7], s[0:1], 0x3c
	s_lshl_b32 s22, s2, 7
	v_mov_b32_e32 v90, v91
	s_waitcnt lgkmcnt(0)
	s_cmpk_lt_i32 s15, 0x100
	v_mov_b32_e32 v49, v91
	v_mov_b32_e32 v48, v91
	s_cbranch_scc1 .LBB193_17
; %bb.3:
	s_load_dwordx4 s[8:11], s[0:1], 0x0
	s_ashr_i32 s0, s15, 31
	s_lshr_b32 s0, s0, 24
	s_add_i32 s0, s15, s0
	s_ashr_i32 s23, s0, 8
	s_ashr_i32 s0, s5, 31
	s_lshr_b32 s0, s0, 27
	s_add_i32 s0, s5, s0
	v_and_b32_e32 v18, 0x3ff, v0
	v_and_b32_e32 v8, 7, v0
	s_ashr_i32 s5, s0, 5
	v_lshlrev_b32_e32 v11, 3, v18
	v_lshlrev_b32_e32 v8, 2, v8
	s_movk_i32 s0, 0xc0
	v_mul_u32_u24_e32 v10, 0x41, v4
	v_and_or_b32 v8, v11, s0, v8
	s_lshl_b32 s0, s23, 3
	v_lshl_add_u32 v124, v10, 2, v8
	v_mov_b32_e32 v8, s0
	v_mad_i32_i24 v12, s23, v4, v8
	v_add_u32_e32 v13, s0, v12
	v_add_u32_e32 v14, s0, v13
	;; [unrolled: 1-line block ×11, first 2 shown]
	v_lshl_add_u32 v8, v4, 5, v18
	v_add_u32_e32 v78, s0, v74
	v_and_b32_e32 v10, 0x7f, v8
	v_lshrrev_b32_e32 v8, 3, v8
	v_and_b32_e32 v11, 3, v0
	v_add_u32_e32 v82, s0, v78
	v_mul_i32_i24_e32 v90, s23, v10
	v_and_b32_e32 v8, 12, v8
	v_lshlrev_b32_e32 v10, 2, v10
	s_mov_b32 s0, 0x8e40
	v_add_u32_e32 v20, 0xfe, v11
	v_bfe_u32 v7, v0, 2, 8
	v_add3_u32 v125, v10, v8, s0
	v_lshlrev_b32_e32 v8, 3, v4
	v_and_b32_e32 v20, 0xff, v20
	v_cmp_gt_u32_e32 vcc, 2, v11
	v_and_b32_e32 v122, 6, v7
	v_add_u32_e32 v10, v7, v8
	v_cndmask_b32_e32 v20, v20, v11, vcc
	v_cmp_ne_u32_e32 vcc, 0, v11
	v_add_u16_e32 v7, v7, v8
	s_mul_i32 s16, s3, s14
	v_addc_co_u32_e32 v91, vcc, 0, v20, vcc
	v_cmp_lt_u32_e64 s[2:3], 1, v11
	v_lshlrev_b32_e32 v127, 1, v20
	v_and_b32_e32 v20, 0x7f, v10
	v_lshlrev_b32_e32 v11, 2, v11
	v_lshrrev_b16_e32 v7, 1, v7
	v_mul_i32_i24_e32 v94, s23, v20
	v_lshl_or_b32 v20, v20, 4, v11
	v_and_b32_e32 v7, 60, v7
	s_mov_b32 s1, 0x8200
	v_add3_u32 v128, v20, v7, s1
	v_mov_b32_e32 v7, 0x7f
	v_bitop3_b32 v7, v10, 64, v7 bitop3:0x6c
	v_mul_i32_i24_e32 v98, s23, v7
	v_lshl_or_b32 v8, v7, 4, v11
	v_lshrrev_b32_e32 v7, 1, v7
	v_and_b32_e32 v7, 60, v7
	v_add3_u32 v129, v8, v7, s1
	v_mov_b32_e32 v8, 0x8a40
	v_lshlrev_b32_e32 v6, 2, v18
	v_and_b32_e32 v7, 31, v0
	v_lshl_add_u32 v131, v4, 7, v8
	v_bfe_u32 v134, v0, 3, 7
	v_bfe_u32 v5, v0, 5, 5
	v_lshl_add_u32 v132, v7, 2, v131
	v_add_u32_e32 v7, v134, v6
	v_mov_b32_e32 v8, 0x8200
	v_lshl_add_u32 v135, v7, 2, v8
	v_lshlrev_b32_e32 v7, 2, v5
	v_add3_u32 v137, v7, v6, s0
	v_add_u32_e32 v7, 32, v18
	v_lshrrev_b32_e32 v138, 3, v7
	v_lshl_add_u32 v7, v7, 2, v138
	v_lshl_add_u32 v139, v7, 2, v8
	v_and_b32_e32 v7, 60, v138
	v_add3_u32 v140, v6, v7, s0
	v_add_u32_e32 v7, 64, v18
	v_lshrrev_b32_e32 v10, 3, v7
	v_lshl_add_u32 v7, v7, 2, v10
	s_abs_i32 s18, s7
	v_lshl_add_u32 v141, v7, 2, v8
	v_and_b32_e32 v7, 60, v10
	v_cvt_f32_u32_e32 v11, s18
	v_add3_u32 v142, v6, v7, s0
	v_add_u32_e32 v7, 0x60, v18
	v_lshrrev_b32_e32 v10, 3, v7
	v_lshl_add_u32 v7, v7, 2, v10
	v_lshl_add_u32 v143, v7, 2, v8
	v_rcp_iflag_f32_e32 v8, v11
	v_and_b32_e32 v7, 60, v10
	v_add3_u32 v144, v6, v7, s0
	s_sub_i32 s0, 0, s18
	v_mul_f32_e32 v7, 0x4f7ffffe, v8
	v_cvt_u32_f32_e32 v7, v7
	s_waitcnt vmcnt(0)
	v_sub_u32_e32 v8, 0, v1
	v_max_i32_e32 v8, v1, v8
	v_and_b32_e32 v48, 0x7c, v6
	v_mul_lo_u32 v10, s0, v7
	v_mul_hi_u32 v10, v7, v10
	v_add_u32_e32 v7, v7, v10
	v_mul_hi_u32 v7, v8, v7
	v_mul_lo_u32 v10, v7, s18
	v_sub_u32_e32 v8, v8, v10
	v_add_u32_e32 v10, 1, v7
	v_cmp_le_u32_e64 s[0:1], s18, v8
	v_and_b32_e32 v2, 28, v6
	v_and_b32_e32 v21, 4, v6
	v_cndmask_b32_e64 v7, v7, v10, s[0:1]
	v_subrev_u32_e32 v10, s18, v8
	v_cndmask_b32_e64 v8, v8, v10, s[0:1]
	v_add_u32_e32 v130, 0x9050, v6
	v_xor_b32_e32 v6, s7, v1
	v_add_u32_e32 v10, 1, v7
	v_cmp_le_u32_e64 s[0:1], s18, v8
	v_ashrrev_i32_e32 v6, 31, v6
	s_mul_i32 s14, s23, s22
	v_cndmask_b32_e64 v7, v7, v10, s[0:1]
	v_xor_b32_e32 v7, v7, v6
	v_sub_u32_e32 v6, v7, v6
	s_mul_hi_i32 s21, s14, 0xb0
	s_mul_i32 s20, s14, 0xb0
	v_cmp_gt_i32_e64 s[0:1], s4, v6
	v_mul_lo_u32 v22, v6, s5
	s_movk_i32 s26, 0xb0
	v_mov_b64_e32 v[6:7], s[20:21]
	v_mov_b32_e32 v49, 0
	v_mul_i32_i24_e32 v9, s23, v4
	v_mad_u64_u32 v[6:7], s[24:25], v5, s26, v[6:7]
	v_mov_b32_e32 v3, v49
	v_mad_u64_u32 v[8:9], s[24:25], v9, s26, v[6:7]
	v_lshl_add_u64 v[10:11], v[8:9], 0, v[2:3]
	v_lshl_add_u64 v[8:9], v[8:9], 0, v[48:49]
	s_waitcnt lgkmcnt(0)
	v_lshl_add_u64 v[8:9], s[8:9], 0, v[8:9]
	v_lshl_add_u64 v[10:11], s[8:9], 0, v[10:11]
	v_lshl_add_u64 v[26:27], v[8:9], 0, 48
	v_mad_u64_u32 v[8:9], s[24:25], v12, s26, v[6:7]
	v_lshl_add_u64 v[24:25], v[10:11], 0, 16
	v_lshl_add_u64 v[10:11], v[8:9], 0, v[2:3]
	v_lshl_add_u64 v[8:9], v[8:9], 0, v[48:49]
	v_lshl_add_u64 v[8:9], s[8:9], 0, v[8:9]
	v_lshl_add_u64 v[10:11], s[8:9], 0, v[10:11]
	v_lshl_add_u64 v[30:31], v[8:9], 0, 48
	v_mad_u64_u32 v[8:9], s[24:25], v13, s26, v[6:7]
	v_lshl_add_u64 v[28:29], v[10:11], 0, 16
	v_lshl_add_u64 v[10:11], v[8:9], 0, v[2:3]
	v_lshl_add_u64 v[8:9], v[8:9], 0, v[48:49]
	;; [unrolled: 7-line block ×13, first 2 shown]
	v_lshl_add_u64 v[8:9], s[8:9], 0, v[8:9]
	v_lshl_add_u64 v[80:81], v[8:9], 0, 48
	v_mad_u64_u32 v[8:9], s[24:25], v82, s26, v[6:7]
	s_mul_i32 s24, s23, 0x78
	s_nop 0
	v_mov_b32_e32 v5, s24
	v_lshlrev_b32_e32 v133, 4, v4
	v_mad_i32_i24 v4, s23, v4, v5
	v_lshl_add_u64 v[10:11], s[8:9], 0, v[10:11]
	v_mad_u64_u32 v[4:5], s[24:25], v4, s26, v[6:7]
	v_cndmask_b32_e64 v126, 0, v21, s[2:3]
	v_cmp_gt_u32_e32 vcc, 4, v18
	v_lshl_add_u64 v[20:21], s[10:11], 0, v[2:3]
	v_lshl_add_u64 v[78:79], v[10:11], 0, 16
	;; [unrolled: 1-line block ×4, first 2 shown]
	s_ashr_i32 s17, s16, 31
	s_and_b64 s[18:19], vcc, s[0:1]
	v_lshl_add_u64 v[2:3], s[8:9], 0, v[2:3]
	v_lshl_add_u64 v[86:87], v[2:3], 0, 16
	;; [unrolled: 1-line block ×3, first 2 shown]
	s_add_u32 s20, s8, s20
	v_lshl_add_u64 v[2:3], s[8:9], 0, v[2:3]
	s_addc_u32 s21, s9, s21
	v_lshl_add_u64 v[88:89], v[2:3], 0, 48
	v_mov_b64_e32 v[2:3], s[20:21]
	v_mad_u64_u32 v[92:93], s[20:21], v90, s26, v[2:3]
	v_mad_u64_u32 v[2:3], s[20:21], v94, s26, 0
	v_mov_b32_e32 v6, 0xb0
	v_cndmask_b32_e64 v4, 0, 1, s[2:3]
	v_lshl_add_u64 v[8:9], v[8:9], 0, v[48:49]
	v_mad_i64_i32 v[2:3], s[20:21], s14, v6, v[2:3]
	v_lshlrev_b32_e32 v7, 2, v4
	v_lshlrev_b32_e32 v48, 2, v91
	v_or_b32_e32 v4, v2, v7
	v_mov_b32_e32 v5, v3
	v_lshl_add_u64 v[2:3], v[2:3], 0, v[48:49]
	v_lshl_add_u64 v[2:3], s[8:9], 0, v[2:3]
	;; [unrolled: 1-line block ×3, first 2 shown]
	v_mad_u64_u32 v[2:3], s[2:3], v98, s26, 0
	v_lshl_add_u64 v[4:5], s[8:9], 0, v[4:5]
	v_mad_i64_i32 v[2:3], s[2:3], s14, v6, v[2:3]
	v_lshl_add_u64 v[94:95], v[4:5], 0, 4
	v_or_b32_e32 v4, v2, v7
	v_mov_b32_e32 v5, v3
	v_lshl_add_u64 v[2:3], v[2:3], 0, v[48:49]
	v_lshl_add_u64 v[10:11], s[8:9], 0, v[10:11]
	;; [unrolled: 1-line block ×5, first 2 shown]
	v_or_b32_e32 v123, 1, v122
	v_mul_u32_u24_e32 v136, 0x104, v18
	v_ashrrev_i32_e32 v23, 31, v22
	v_lshl_add_u64 v[82:83], v[10:11], 0, 16
	v_lshl_add_u64 v[84:85], v[8:9], 0, 48
	;; [unrolled: 1-line block ×4, first 2 shown]
	s_movk_i32 s14, 0x80
	s_mov_b32 s24, 0x10101010
	s_mov_b32 s25, 0x30303030
	s_mov_b64 s[8:9], 0xb0
	v_add_u32_e32 v145, 0x800, v124
	v_add_u32_e32 v146, 0x1000, v124
	;; [unrolled: 1-line block ×15, first 2 shown]
	v_mov_b32_e32 v48, v49
	v_mov_b32_e32 v90, v49
	;; [unrolled: 1-line block ×3, first 2 shown]
	s_branch .LBB193_6
.LBB193_4:                              ;   in Loop: Header=BB193_6 Depth=1
	s_or_b64 exec, exec, s[20:21]
	s_waitcnt lgkmcnt(0)
	s_barrier
	ds_read_b128 v[14:17], v131
	ds_read_b128 v[10:13], v131 offset:16
	ds_read2_b32 v[102:103], v136 offset0:32 offset1:33
	ds_read_b128 v[6:9], v131 offset:32
	ds_read_b128 v[2:5], v131 offset:48
	ds_read_b32 v19, v137
	ds_read_b128 v[160:163], v133 offset:36944
	ds_read2_b32 v[104:105], v136 offset0:34 offset1:35
	v_mov_b32_e32 v118, 0
	s_waitcnt lgkmcnt(5)
	v_dot4c_i32_i8_e32 v118, v102, v14
	v_dot4c_i32_i8_e32 v118, v103, v15
	ds_read2_b32 v[102:103], v136 offset0:36 offset1:37
	ds_read2_b32 v[106:107], v136 offset0:38 offset1:39
	;; [unrolled: 1-line block ×3, first 2 shown]
	s_waitcnt lgkmcnt(3)
	v_dot4c_i32_i8_e32 v118, v104, v16
	v_dot4c_i32_i8_e32 v118, v105, v17
	s_waitcnt lgkmcnt(2)
	v_dot4c_i32_i8_e32 v118, v102, v10
	v_dot4c_i32_i8_e32 v118, v103, v11
	ds_read2_b32 v[102:103], v136 offset0:42 offset1:43
	v_mov_b32_e32 v121, 0
	s_waitcnt lgkmcnt(1)
	v_dot4c_i32_i8_e32 v121, v108, v6
	v_dot4c_i32_i8_e32 v121, v109, v7
	;; [unrolled: 1-line block ×3, first 2 shown]
	s_waitcnt lgkmcnt(0)
	v_dot4c_i32_i8_e32 v121, v102, v8
	v_add_u32_e32 v102, 0x2100, v136
	v_dot4c_i32_i8_e32 v118, v107, v13
	ds_read2_b32 v[104:105], v136 offset0:44 offset1:45
	ds_read2_b32 v[106:107], v136 offset0:46 offset1:47
	;; [unrolled: 1-line block ×3, first 2 shown]
	v_dot4c_i32_i8_e32 v121, v103, v9
	ds_read2_b32 v[102:103], v102 offset1:1
	v_mov_b32_e32 v165, 0
	ds_read_b32 v182, v140 offset:128
	ds_read_b32 v119, v142 offset:256
	ds_read_b32 v117, v144 offset:384
	s_waitcnt lgkmcnt(6)
	v_dot4c_i32_i8_e32 v121, v104, v2
	v_dot4c_i32_i8_e32 v121, v105, v3
	s_waitcnt lgkmcnt(3)
	v_dot4c_i32_i8_e32 v165, v102, v14
	v_add_u32_e32 v102, 0x2108, v136
	v_dot4c_i32_i8_e32 v165, v103, v15
	ds_read2_b32 v[102:103], v102 offset1:1
	v_dot4c_i32_i8_e32 v121, v106, v4
	v_add_u32_e32 v104, 0x2110, v136
	v_add_u32_e32 v106, 0x2118, v136
	;; [unrolled: 1-line block ×3, first 2 shown]
	v_dot4c_i32_i8_e32 v121, v107, v5
	ds_read2_b32 v[104:105], v104 offset1:1
	ds_read2_b32 v[106:107], v106 offset1:1
	;; [unrolled: 1-line block ×3, first 2 shown]
	s_waitcnt lgkmcnt(3)
	v_dot4c_i32_i8_e32 v165, v102, v16
	v_add_u32_e32 v102, 0x2128, v136
	v_dot4c_i32_i8_e32 v165, v103, v17
	ds_read2_b32 v[102:103], v102 offset1:1
	s_waitcnt lgkmcnt(3)
	v_dot4c_i32_i8_e32 v165, v104, v10
	v_dot4c_i32_i8_e32 v165, v105, v11
	v_mov_b32_e32 v176, 0
	s_waitcnt lgkmcnt(2)
	v_dot4c_i32_i8_e32 v165, v106, v12
	s_waitcnt lgkmcnt(1)
	v_dot4c_i32_i8_e32 v176, v110, v6
	v_add_u32_e32 v104, 0x2130, v136
	v_add_u32_e32 v106, 0x2138, v136
	v_add_u32_e32 v110, 0x4180, v136
	v_dot4c_i32_i8_e32 v165, v107, v13
	v_dot4c_i32_i8_e32 v176, v111, v7
	ds_read2_b32 v[104:105], v104 offset1:1
	ds_read2_b32 v[106:107], v106 offset1:1
	;; [unrolled: 1-line block ×3, first 2 shown]
	s_waitcnt lgkmcnt(3)
	v_dot4c_i32_i8_e32 v176, v102, v8
	v_add_u32_e32 v102, 0x4188, v136
	v_dot4c_i32_i8_e32 v176, v103, v9
	ds_read2_b32 v[102:103], v102 offset1:1
	s_waitcnt lgkmcnt(3)
	v_dot4c_i32_i8_e32 v176, v104, v2
	v_dot4c_i32_i8_e32 v176, v105, v3
	v_mov_b32_e32 v114, 0
	s_waitcnt lgkmcnt(2)
	v_dot4c_i32_i8_e32 v176, v106, v4
	s_waitcnt lgkmcnt(1)
	v_dot4c_i32_i8_e32 v114, v110, v14
	v_add_u32_e32 v104, 0x4190, v136
	v_add_u32_e32 v112, 0x41a0, v136
	v_dot4c_i32_i8_e32 v176, v107, v5
	v_dot4c_i32_i8_e32 v114, v111, v15
	v_add_u32_e32 v105, 0x4198, v136
	ds_read2_b32 v[106:107], v104 offset1:1
	ds_read2_b32 v[110:111], v105 offset1:1
	;; [unrolled: 1-line block ×3, first 2 shown]
	s_waitcnt lgkmcnt(3)
	v_dot4c_i32_i8_e32 v114, v102, v16
	ds_read2_b32 v[104:105], v141 offset0:1 offset1:3
	v_dot4c_i32_i8_e32 v114, v103, v17
	s_waitcnt lgkmcnt(3)
	v_dot4c_i32_i8_e32 v114, v106, v10
	v_add_u32_e32 v106, 0x41a8, v136
	v_dot4c_i32_i8_e32 v114, v107, v11
	ds_read2_b32 v[106:107], v106 offset1:1
	s_waitcnt lgkmcnt(3)
	v_dot4c_i32_i8_e32 v114, v110, v12
	v_dot4c_i32_i8_e32 v114, v111, v13
	s_waitcnt lgkmcnt(1)
	v_and_b32_e32 v102, 0xff, v104
	v_mov_b32_e32 v116, 0
	v_dot4c_i32_i8_e32 v116, v112, v6
	v_mul_lo_u32 v102, v114, v102
	v_add_u32_e32 v110, 0x41b0, v136
	v_add_u32_e32 v112, 0x41b8, v136
	;; [unrolled: 1-line block ×3, first 2 shown]
	v_dot4c_i32_i8_e32 v116, v113, v7
	ds_read2_b32 v[110:111], v110 offset1:1
	ds_read2_b32 v[112:113], v112 offset1:1
	;; [unrolled: 1-line block ×3, first 2 shown]
	s_waitcnt lgkmcnt(3)
	v_dot4c_i32_i8_e32 v116, v106, v8
	v_dot4c_i32_i8_e32 v116, v107, v9
	s_waitcnt lgkmcnt(2)
	v_dot4c_i32_i8_e32 v116, v110, v2
	v_dot4c_i32_i8_e32 v116, v111, v3
	v_mov_b32_e32 v177, 0
	s_waitcnt lgkmcnt(1)
	v_dot4c_i32_i8_e32 v116, v112, v4
	s_waitcnt lgkmcnt(0)
	v_dot4c_i32_i8_e32 v177, v114, v14
	v_add_u32_e32 v14, 0x6208, v136
	v_add_u32_e32 v110, 0x6210, v136
	;; [unrolled: 1-line block ×4, first 2 shown]
	v_dot4c_i32_i8_e32 v116, v113, v5
	v_dot4c_i32_i8_e32 v177, v115, v15
	ds_read2_b32 v[14:15], v14 offset1:1
	ds_read2_b32 v[110:111], v110 offset1:1
	;; [unrolled: 1-line block ×4, first 2 shown]
	v_mov_b32_e32 v178, 0
	v_mov_b32_e32 v184, 0
	v_bfe_u32 v106, v104, 8, 8
	s_waitcnt lgkmcnt(3)
	v_dot4c_i32_i8_e32 v177, v14, v16
	s_waitcnt lgkmcnt(0)
	v_dot4c_i32_i8_e32 v178, v114, v6
	v_add_u32_e32 v6, 0x6228, v136
	v_dot4c_i32_i8_e32 v177, v15, v17
	v_dot4c_i32_i8_e32 v178, v115, v7
	ds_read2_b32 v[6:7], v6 offset1:1
	v_dot4c_i32_i8_e32 v177, v110, v10
	v_dot4c_i32_i8_e32 v177, v111, v11
	;; [unrolled: 1-line block ×3, first 2 shown]
	v_add_u32_e32 v10, 0x6230, v136
	v_add_u32_e32 v12, 0x6238, v136
	v_dot4c_i32_i8_e32 v177, v113, v13
	v_add_u32_e32 v14, 0x6240, v136
	ds_read2_b32 v[10:11], v10 offset1:1
	ds_read2_b32 v[12:13], v12 offset1:1
	;; [unrolled: 1-line block ×3, first 2 shown]
	s_waitcnt lgkmcnt(3)
	v_dot4c_i32_i8_e32 v178, v6, v8
	v_dot4c_i32_i8_e32 v178, v7, v9
	s_waitcnt lgkmcnt(2)
	v_dot4c_i32_i8_e32 v178, v10, v2
	v_dot4c_i32_i8_e32 v178, v11, v3
	;; [unrolled: 3-line block ×3, first 2 shown]
	ds_read_b128 v[14:17], v131 offset:64
	ds_read_b128 v[10:13], v131 offset:80
	;; [unrolled: 1-line block ×4, first 2 shown]
	ds_read2_b32 v[110:111], v136 offset0:50 offset1:51
	s_waitcnt lgkmcnt(4)
	v_dot4c_i32_i8_e32 v184, v108, v14
	v_dot4c_i32_i8_e32 v184, v109, v15
	ds_read2_b32 v[108:109], v136 offset0:52 offset1:53
	ds_read2_b32 v[112:113], v136 offset0:54 offset1:55
	;; [unrolled: 1-line block ×3, first 2 shown]
	v_mul_lo_u32 v106, v116, v106
	s_waitcnt lgkmcnt(3)
	v_dot4c_i32_i8_e32 v184, v110, v16
	v_mov_b32_e32 v110, 0
	v_dot4c_i32_i8_e32 v110, v114, v14
	v_add_u32_e32 v114, 0x6248, v136
	v_dot4c_i32_i8_e32 v184, v111, v17
	v_dot4c_i32_i8_e32 v110, v115, v15
	ds_read2_b32 v[114:115], v114 offset1:1
	s_waitcnt lgkmcnt(3)
	v_dot4c_i32_i8_e32 v184, v108, v10
	v_dot4c_i32_i8_e32 v184, v109, v11
	v_cvt_f32_f16_e32 v116, v117
	v_cvt_f32_f16_sdwa v164, v117 dst_sel:DWORD dst_unused:UNUSED_PAD src0_sel:WORD_1
	s_waitcnt lgkmcnt(2)
	v_dot4c_i32_i8_e32 v184, v112, v12
	v_add_u32_e32 v117, 0x6250, v136
	v_dot4c_i32_i8_e32 v184, v113, v13
	v_cvt_f32_f16_e32 v113, v162
	v_cvt_f32_f16_e32 v112, v160
	v_cvt_f32_f16_sdwa v109, v162 dst_sel:DWORD dst_unused:UNUSED_PAD src0_sel:WORD_1
	v_cvt_f32_f16_sdwa v108, v160 dst_sel:DWORD dst_unused:UNUSED_PAD src0_sel:WORD_1
	v_add_u32_e32 v160, 0x6258, v136
	v_add_u32_e32 v162, 0x6260, v136
	ds_read2_b32 v[168:169], v117 offset1:1
	ds_read2_b32 v[170:171], v160 offset1:1
	;; [unrolled: 1-line block ×3, first 2 shown]
	s_waitcnt lgkmcnt(3)
	v_dot4c_i32_i8_e32 v110, v114, v16
	ds_read2_b32 v[174:175], v143 offset0:1 offset1:3
	v_dot4c_i32_i8_e32 v110, v115, v17
	s_waitcnt lgkmcnt(3)
	v_dot4c_i32_i8_e32 v110, v168, v10
	v_dot4c_i32_i8_e32 v110, v169, v11
	s_waitcnt lgkmcnt(2)
	v_dot4c_i32_i8_e32 v110, v170, v12
	v_dot4c_i32_i8_e32 v110, v171, v13
	s_waitcnt lgkmcnt(0)
	v_and_b32_e32 v114, 0xff, v174
	v_bfe_u32 v115, v174, 16, 8
	v_mul_lo_u32 v114, v177, v114
	v_mul_lo_u32 v110, v110, v115
	v_add_u32_e32 v162, 0x6268, v136
	v_cvt_f32_f16_e32 v111, v163
	v_cvt_f32_i32_e32 v169, v110
	v_cvt_f32_i32_e32 v168, v114
	v_cvt_f32_f16_sdwa v115, v163 dst_sel:DWORD dst_unused:UNUSED_PAD src0_sel:WORD_1
	ds_read2_b32 v[162:163], v162 offset1:1
	v_mov_b32_e32 v185, 0
	v_mov_b32_e32 v117, 0
	v_dot4c_i32_i8_e32 v185, v166, v6
	v_dot4c_i32_i8_e32 v117, v172, v6
	v_add_u32_e32 v166, 0x6270, v136
	v_add_u32_e32 v170, 0x6278, v136
	;; [unrolled: 1-line block ×3, first 2 shown]
	v_cvt_f32_f16_e32 v110, v161
	v_cvt_f32_f16_sdwa v114, v161 dst_sel:DWORD dst_unused:UNUSED_PAD src0_sel:WORD_1
	v_pk_fma_f32 v[160:161], v[112:113], v[168:169], 0 op_sel_hi:[1,1,0]
	v_dot4c_i32_i8_e32 v117, v173, v7
	ds_read2_b32 v[168:169], v166 offset1:1
	ds_read2_b32 v[170:171], v170 offset1:1
	;; [unrolled: 1-line block ×3, first 2 shown]
	s_waitcnt lgkmcnt(3)
	v_dot4c_i32_i8_e32 v117, v162, v8
	v_dot4c_i32_i8_e32 v117, v163, v9
	s_waitcnt lgkmcnt(2)
	v_dot4c_i32_i8_e32 v117, v168, v2
	v_dot4c_i32_i8_e32 v117, v169, v3
	;; [unrolled: 3-line block ×3, first 2 shown]
	v_lshrrev_b32_e32 v162, 24, v174
	v_bfe_u32 v163, v174, 8, 8
	v_mul_lo_u32 v166, v178, v163
	v_mul_lo_u32 v117, v117, v162
	v_cvt_f32_i32_e32 v163, v117
	v_cvt_f32_i32_e32 v162, v166
	v_cvt_f32_ubyte2_e32 v169, v175
	v_cvt_f32_ubyte0_e32 v168, v175
	v_pk_fma_f32 v[168:169], v[108:109], v[168:169], 0 op_sel_hi:[1,1,0]
	v_pk_fma_f32 v[160:161], v[110:111], v[162:163], v[160:161]
	v_cvt_f32_ubyte3_e32 v163, v175
	v_cvt_f32_ubyte1_e32 v162, v175
	v_pk_fma_f32 v[162:163], v[114:115], v[162:163], v[168:169]
	ds_read2_b32 v[168:169], v135 offset0:1 offset1:3
	ds_read2_b32 v[170:171], v139 offset0:1 offset1:3
	v_pk_mul_f32 v[162:163], v[162:163], v[164:165] op_sel_hi:[1,0]
	v_cvt_f32_f16_e32 v175, v182
	v_pk_fma_f32 v[116:117], v[160:161], v[116:117], v[162:163] op_sel_hi:[1,0,1] neg_lo:[0,0,1] neg_hi:[0,0,1]
	s_waitcnt lgkmcnt(1)
	v_and_b32_e32 v161, 0xff, v168
	s_waitcnt lgkmcnt(0)
	v_and_b32_e32 v160, 0xff, v170
	v_mul_lo_u32 v118, v118, v161
	v_mul_lo_u32 v160, v165, v160
	v_cvt_f32_i32_e32 v161, v160
	v_cvt_f32_i32_e32 v160, v118
	v_bfe_u32 v118, v170, 8, 8
	v_bfe_u32 v164, v168, 8, 8
	v_mul_lo_u32 v121, v121, v164
	v_mul_lo_u32 v118, v176, v118
	v_cvt_f32_i32_e32 v165, v118
	v_cvt_f32_i32_e32 v164, v121
	v_cvt_f32_f16_sdwa v183, v182 dst_sel:DWORD dst_unused:UNUSED_PAD src0_sel:WORD_1
	v_cvt_f32_f16_sdwa v182, v19 dst_sel:DWORD dst_unused:UNUSED_PAD src0_sel:WORD_1
	v_cvt_f32_ubyte0_e32 v163, v171
	v_cvt_f32_ubyte0_e32 v162, v169
	v_cvt_f32_f16_e32 v174, v19
	v_dot4c_i32_i8_e32 v185, v167, v7
	v_cvt_f32_ubyte1_e32 v167, v171
	v_cvt_f32_ubyte1_e32 v166, v169
	v_pk_fma_f32 v[162:163], v[108:109], v[162:163], 0 op_sel_hi:[0,1,0]
	v_pk_fma_f32 v[160:161], v[112:113], v[160:161], 0 op_sel_hi:[0,1,0]
	;; [unrolled: 1-line block ×4, first 2 shown]
	v_pk_mul_f32 v[162:163], v[162:163], v[182:183]
	v_add_u32_e32 v118, 0x2148, v136
	v_pk_fma_f32 v[160:161], v[160:161], v[174:175], v[162:163] neg_lo:[0,0,1] neg_hi:[0,0,1]
	ds_read2_b32 v[176:177], v136 offset0:58 offset1:59
	ds_read2_b32 v[178:179], v136 offset0:60 offset1:61
	ds_read2_b32 v[180:181], v136 offset0:62 offset1:63
	v_pk_add_f32 v[48:49], v[48:49], v[160:161]
	ds_read2_b32 v[160:161], v118 offset1:1
	v_mov_b32_e32 v19, 0
	v_dot4c_i32_i8_e32 v19, v172, v14
	v_add_u32_e32 v118, 0x2150, v136
	v_add_u32_e32 v166, 0x2160, v136
	v_dot4c_i32_i8_e32 v19, v173, v15
	v_add_u32_e32 v121, 0x2158, v136
	ds_read2_b32 v[162:163], v118 offset1:1
	ds_read2_b32 v[164:165], v121 offset1:1
	;; [unrolled: 1-line block ×3, first 2 shown]
	s_waitcnt lgkmcnt(3)
	v_dot4c_i32_i8_e32 v19, v160, v16
	v_dot4c_i32_i8_e32 v19, v161, v17
	s_waitcnt lgkmcnt(2)
	v_dot4c_i32_i8_e32 v19, v162, v10
	v_dot4c_i32_i8_e32 v19, v163, v11
	;; [unrolled: 3-line block ×3, first 2 shown]
	v_bfe_u32 v118, v170, 16, 8
	v_bfe_u32 v121, v168, 16, 8
	v_mul_lo_u32 v121, v184, v121
	v_mul_lo_u32 v19, v19, v118
	v_cvt_f32_i32_e32 v161, v19
	v_cvt_f32_i32_e32 v160, v121
	v_mov_b32_e32 v118, v113
	v_mov_b32_e32 v19, 0
	v_dot4c_i32_i8_e32 v185, v176, v8
	v_pk_fma_f32 v[160:161], v[118:119], v[160:161], 0 op_sel_hi:[0,1,0]
	v_add_u32_e32 v118, 0x2168, v136
	ds_read2_b32 v[164:165], v118 offset1:1
	s_waitcnt lgkmcnt(1)
	v_dot4c_i32_i8_e32 v19, v166, v6
	v_add_u32_e32 v118, 0x2170, v136
	v_lshrrev_b32_e32 v186, 24, v168
	v_dot4c_i32_i8_e32 v185, v177, v9
	v_dot4c_i32_i8_e32 v19, v167, v7
	v_add_u32_e32 v121, 0x2178, v136
	v_add_u32_e32 v168, 0x41c0, v136
	ds_read2_b32 v[166:167], v118 offset1:1
	ds_read2_b32 v[172:173], v121 offset1:1
	;; [unrolled: 1-line block ×3, first 2 shown]
	s_waitcnt lgkmcnt(3)
	v_dot4c_i32_i8_e32 v19, v164, v8
	v_dot4c_i32_i8_e32 v19, v165, v9
	;; [unrolled: 1-line block ×3, first 2 shown]
	s_waitcnt lgkmcnt(2)
	v_dot4c_i32_i8_e32 v19, v166, v2
	v_dot4c_i32_i8_e32 v185, v179, v3
	;; [unrolled: 1-line block ×4, first 2 shown]
	s_waitcnt lgkmcnt(1)
	v_dot4c_i32_i8_e32 v19, v172, v4
	v_lshrrev_b32_e32 v187, 24, v170
	v_dot4c_i32_i8_e32 v185, v181, v5
	v_dot4c_i32_i8_e32 v19, v173, v5
	v_cvt_f32_ubyte2_e32 v163, v171
	v_cvt_f32_ubyte2_e32 v162, v169
	v_mul_lo_u32 v118, v185, v186
	v_mul_lo_u32 v19, v19, v187
	v_cvt_f32_i32_e32 v165, v19
	v_cvt_f32_i32_e32 v164, v118
	v_mov_b32_e32 v118, v109
	v_pk_fma_f32 v[162:163], v[118:119], v[162:163], 0 op_sel_hi:[0,1,0]
	v_mov_b32_e32 v118, v111
	v_pk_fma_f32 v[160:161], v[118:119], v[164:165], v[160:161] op_sel_hi:[0,1,1]
	v_cvt_f32_ubyte3_e32 v165, v171
	v_cvt_f32_ubyte3_e32 v164, v169
	v_mov_b32_e32 v118, v115
	v_mov_b32_e32 v19, 0
	v_pk_fma_f32 v[162:163], v[118:119], v[164:165], v[162:163] op_sel_hi:[0,1,1]
	s_waitcnt lgkmcnt(0)
	v_dot4c_i32_i8_e32 v19, v176, v14
	v_add_u32_e32 v14, 0x41c8, v136
	v_pk_mul_f32 v[162:163], v[162:163], v[182:183]
	v_dot4c_i32_i8_e32 v19, v177, v15
	ds_read2_b32 v[14:15], v14 offset1:1
	v_pk_fma_f32 v[160:161], v[160:161], v[174:175], v[162:163] neg_lo:[0,0,1] neg_hi:[0,0,1]
	v_add_u32_e32 v118, 0x41d0, v136
	v_add_u32_e32 v164, 0x41e0, v136
	v_pk_add_f32 v[48:49], v[48:49], v[160:161]
	v_add_u32_e32 v121, 0x41d8, v136
	ds_read2_b32 v[160:161], v118 offset1:1
	ds_read2_b32 v[162:163], v121 offset1:1
	;; [unrolled: 1-line block ×3, first 2 shown]
	s_waitcnt lgkmcnt(3)
	v_dot4c_i32_i8_e32 v19, v14, v16
	v_dot4c_i32_i8_e32 v19, v15, v17
	v_mov_b32_e32 v16, 0
	s_waitcnt lgkmcnt(2)
	v_dot4c_i32_i8_e32 v19, v160, v10
	s_waitcnt lgkmcnt(0)
	v_dot4c_i32_i8_e32 v16, v164, v6
	v_add_u32_e32 v6, 0x41e8, v136
	v_dot4c_i32_i8_e32 v19, v161, v11
	v_dot4c_i32_i8_e32 v16, v165, v7
	ds_read2_b32 v[6:7], v6 offset1:1
	v_dot4c_i32_i8_e32 v19, v162, v12
	v_add_u32_e32 v12, 0x41f0, v136
	v_dot4c_i32_i8_e32 v19, v163, v13
	ds_read2_b32 v[12:13], v12 offset1:1
	v_add_u32_e32 v14, 0x41f8, v136
	ds_read2_b32 v[14:15], v14 offset1:1
	s_waitcnt lgkmcnt(2)
	v_dot4c_i32_i8_e32 v16, v6, v8
	v_dot4c_i32_i8_e32 v16, v7, v9
	s_waitcnt lgkmcnt(1)
	v_dot4c_i32_i8_e32 v16, v12, v2
	v_cvt_f32_i32_e32 v102, v102
	v_dot4c_i32_i8_e32 v16, v13, v3
	v_cvt_f32_i32_e32 v106, v106
	v_bfe_u32 v10, v104, 16, 8
	s_waitcnt lgkmcnt(0)
	v_dot4c_i32_i8_e32 v16, v14, v4
	v_lshrrev_b32_e32 v120, 24, v104
	v_mul_lo_u32 v10, v19, v10
	v_dot4c_i32_i8_e32 v16, v15, v5
	v_cvt_f32_f16_sdwa v5, v119 dst_sel:DWORD dst_unused:UNUSED_PAD src0_sel:WORD_1
	v_cvt_f32_ubyte0_e32 v103, v105
	v_cvt_f32_i32_e32 v10, v10
	v_mul_lo_u32 v2, v16, v120
	v_cvt_f32_f16_e32 v4, v119
	v_mov_b32_e32 v6, v112
	v_mov_b32_e32 v7, v108
	v_cvt_f32_ubyte1_e32 v107, v105
	v_cvt_f32_i32_e32 v2, v2
	v_pk_fma_f32 v[6:7], v[6:7], v[102:103], 0 op_sel_hi:[1,1,0]
	v_mov_b32_e32 v8, v110
	v_mov_b32_e32 v9, v114
	v_pk_fma_f32 v[6:7], v[8:9], v[106:107], v[6:7]
	v_cvt_f32_ubyte2_e32 v11, v105
	v_mul_f32_e32 v8, v7, v5
	v_mov_b32_e32 v108, v113
	v_cvt_f32_ubyte3_e32 v3, v105
	v_pk_fma_f32 v[6:7], v[6:7], v[4:5], v[8:9] op_sel_hi:[1,1,0] neg_lo:[0,0,1] neg_hi:[0,0,1]
	v_pk_fma_f32 v[8:9], v[108:109], v[10:11], 0 op_sel_hi:[1,1,0]
	v_mov_b32_e32 v114, v111
	v_pk_fma_f32 v[2:3], v[114:115], v[2:3], v[8:9]
	v_mov_b32_e32 v7, v116
	v_mul_f32_e32 v8, v3, v5
	v_pk_fma_f32 v[2:3], v[2:3], v[4:5], v[8:9] op_sel_hi:[1,1,0] neg_lo:[0,0,1] neg_hi:[0,0,1]
	v_pk_add_f32 v[4:5], v[90:91], v[6:7]
	v_mov_b32_e32 v3, v117
	v_pk_add_f32 v[90:91], v[4:5], v[2:3]
	s_barrier
.LBB193_5:                              ;   in Loop: Header=BB193_6 Depth=1
	s_add_i32 s23, s23, -1
	s_addk_i32 s14, 0x100
	v_add_u32_e32 v138, 8, v138
	v_add_u32_e32 v134, 8, v134
	;; [unrolled: 1-line block ×3, first 2 shown]
	v_lshl_add_u64 v[24:25], v[24:25], 0, s[8:9]
	v_lshl_add_u64 v[26:27], v[26:27], 0, s[8:9]
	;; [unrolled: 1-line block ×36, first 2 shown]
	s_cmp_eq_u32 s23, 0
	v_lshl_add_u64 v[100:101], v[100:101], 0, s[8:9]
	s_cbranch_scc1 .LBB193_17
.LBB193_6:                              ; =>This Inner Loop Header: Depth=1
	v_lshl_add_u64 v[2:3], v[26:27], 0, s[16:17]
	global_load_dword v12, v[2:3], off
	v_lshl_add_u64 v[2:3], v[24:25], 0, s[16:17]
	global_load_dword v13, v[2:3], off
	;; [unrolled: 2-line block ×12, first 2 shown]
	v_lshl_add_u64 v[2:3], v[52:53], 0, s[16:17]
	v_lshl_add_u64 v[4:5], v[50:51], 0, s[16:17]
	global_load_dword v107, v[2:3], off
	global_load_dword v108, v[4:5], off
	v_lshl_add_u64 v[6:7], v[56:57], 0, s[16:17]
	v_lshl_add_u64 v[8:9], v[54:55], 0, s[16:17]
	;; [unrolled: 1-line block ×5, first 2 shown]
	global_load_dword v6, v[6:7], off
	s_nop 0
	global_load_dword v7, v[8:9], off
	s_nop 0
	global_load_dword v8, v[2:3], off
	global_load_dword v9, v[10:11], off
	s_nop 0
	global_load_dword v4, v[4:5], off
	s_add_i32 s2, s14, 0xffffff80
	s_cmp_lt_i32 s2, s15
	s_waitcnt vmcnt(18)
	v_lshrrev_b32_e32 v3, 4, v12
	v_and_b32_e32 v2, 0xf0f0f0f, v12
	s_waitcnt vmcnt(17)
	v_ashrrev_i32_e32 v5, v122, v13
	v_ashrrev_i32_e32 v10, v123, v13
	s_waitcnt vmcnt(16)
	v_and_b32_e32 v11, 0xf0f0f0f, v14
	v_lshrrev_b32_e32 v12, 4, v14
	s_waitcnt vmcnt(15)
	v_ashrrev_i32_e32 v13, v122, v15
	v_ashrrev_i32_e32 v14, v123, v15
	s_waitcnt vmcnt(14)
	v_and_b32_e32 v15, 0xf0f0f0f, v16
	v_lshrrev_b32_e32 v16, 4, v16
	;; [unrolled: 6-line block ×3, first 2 shown]
	s_waitcnt vmcnt(11)
	v_ashrrev_i32_e32 v111, v122, v102
	v_ashrrev_i32_e32 v102, v123, v102
	v_and_b32_e32 v3, 0xf0f0f0f, v3
	v_lshlrev_b32_e32 v5, 4, v5
	v_lshlrev_b32_e32 v10, 4, v10
	s_waitcnt vmcnt(10)
	v_and_b32_e32 v112, 0xf0f0f0f, v103
	v_lshrrev_b32_e32 v103, 4, v103
	s_waitcnt vmcnt(9)
	v_ashrrev_i32_e32 v113, v122, v104
	v_ashrrev_i32_e32 v104, v123, v104
	v_and_b32_e32 v12, 0xf0f0f0f, v12
	v_lshlrev_b32_e32 v13, 4, v13
	v_lshlrev_b32_e32 v14, 4, v14
	v_and_b32_e32 v16, 0xf0f0f0f, v16
	v_lshlrev_b32_e32 v109, 4, v109
	v_lshlrev_b32_e32 v17, 4, v17
	v_and_b32_e32 v19, 0xf0f0f0f, v19
	v_lshlrev_b32_e32 v111, 4, v111
	v_lshlrev_b32_e32 v102, 4, v102
	v_and_or_b32 v2, v5, s24, v2
	v_and_or_b32 v3, v10, s24, v3
	v_and_b32_e32 v103, 0xf0f0f0f, v103
	v_lshlrev_b32_e32 v113, 4, v113
	v_lshlrev_b32_e32 v104, 4, v104
	v_and_or_b32 v5, v13, s24, v11
	v_and_or_b32 v10, v14, s24, v12
	;; [unrolled: 1-line block ×6, first 2 shown]
	ds_write2_b32 v124, v2, v3 offset1:8
	ds_write2_b32 v145, v5, v10 offset0:8 offset1:16
	ds_write2_b32 v146, v11, v12 offset0:16 offset1:24
	;; [unrolled: 1-line block ×3, first 2 shown]
	v_lshl_add_u64 v[2:3], v[62:63], 0, s[16:17]
	v_and_or_b32 v5, v113, s24, v112
	global_load_dword v10, v[2:3], off
	v_and_or_b32 v2, v104, s24, v103
	ds_write2_b32 v148, v5, v2 offset0:32 offset1:40
	s_waitcnt vmcnt(9)
	v_lshrrev_b32_e32 v2, 4, v105
	v_and_b32_e32 v11, 0xf0f0f0f, v2
	v_lshl_add_u64 v[2:3], v[68:69], 0, s[16:17]
	global_load_dword v12, v[2:3], off
	v_lshl_add_u64 v[2:3], v[66:67], 0, s[16:17]
	s_waitcnt vmcnt(9)
	v_ashrrev_i32_e32 v13, v122, v106
	global_load_dword v14, v[2:3], off
	v_ashrrev_i32_e32 v3, v123, v106
	v_and_b32_e32 v5, 0xf0f0f0f, v105
	v_lshlrev_b32_e32 v2, 4, v13
	v_lshlrev_b32_e32 v3, 4, v3
	v_and_or_b32 v5, v2, s24, v5
	v_and_or_b32 v11, v3, s24, v11
	v_lshl_add_u64 v[2:3], v[72:73], 0, s[16:17]
	global_load_dword v13, v[2:3], off
	v_lshl_add_u64 v[2:3], v[70:71], 0, s[16:17]
	ds_write2_b32 v149, v5, v11 offset0:40 offset1:48
	global_load_dword v5, v[2:3], off
	s_waitcnt vmcnt(11)
	v_lshrrev_b32_e32 v2, 4, v107
	v_and_b32_e32 v15, 0xf0f0f0f, v2
	s_waitcnt vmcnt(10)
	v_ashrrev_i32_e32 v2, v122, v108
	v_lshlrev_b32_e32 v16, 4, v2
	v_lshl_add_u64 v[2:3], v[76:77], 0, s[16:17]
	global_load_dword v17, v[2:3], off
	v_ashrrev_i32_e32 v19, v123, v108
	v_lshl_add_u64 v[2:3], v[74:75], 0, s[16:17]
	v_and_b32_e32 v11, 0xf0f0f0f, v107
	global_load_dword v102, v[2:3], off
	v_lshlrev_b32_e32 v2, 4, v19
	v_and_or_b32 v3, v16, s24, v11
	v_and_or_b32 v2, v2, s24, v15
	ds_write2_b32 v150, v3, v2 offset0:48 offset1:56
	v_lshl_add_u64 v[2:3], v[80:81], 0, s[16:17]
	global_load_dword v15, v[2:3], off
	v_lshl_add_u64 v[2:3], v[78:79], 0, s[16:17]
	global_load_dword v16, v[2:3], off
	s_waitcnt vmcnt(12)
	v_ashrrev_i32_e32 v2, v122, v7
	v_lshlrev_b32_e32 v19, 4, v2
	v_ashrrev_i32_e32 v2, v123, v7
	v_and_b32_e32 v11, 0xf0f0f0f, v6
	v_lshrrev_b32_e32 v6, 4, v6
	v_lshlrev_b32_e32 v7, 4, v2
	v_lshl_add_u64 v[2:3], v[84:85], 0, s[16:17]
	v_and_b32_e32 v6, 0xf0f0f0f, v6
	global_load_dword v103, v[2:3], off
	v_lshl_add_u64 v[2:3], v[82:83], 0, s[16:17]
	v_and_or_b32 v11, v19, s24, v11
	global_load_dword v19, v[2:3], off
	v_and_or_b32 v2, v7, s24, v6
	ds_write2_b32 v151, v11, v2 offset0:56 offset1:64
	s_waitcnt vmcnt(13)
	v_lshrrev_b32_e32 v2, 4, v8
	v_and_b32_e32 v7, 0xf0f0f0f, v2
	v_lshl_add_u64 v[2:3], v[88:89], 0, s[16:17]
	v_and_b32_e32 v6, 0xf0f0f0f, v8
	global_load_dword v8, v[2:3], off
	s_waitcnt vmcnt(13)
	v_ashrrev_i32_e32 v11, v122, v9
	v_lshl_add_u64 v[2:3], v[86:87], 0, s[16:17]
	global_load_dword v104, v[2:3], off
	v_lshlrev_b32_e32 v2, 4, v11
	v_ashrrev_i32_e32 v3, v123, v9
	v_lshlrev_b32_e32 v9, 4, v3
	v_and_or_b32 v6, v2, s24, v6
	v_lshl_add_u64 v[2:3], v[92:93], 0, s[16:17]
	global_load_dword v11, v[2:3], off
	v_lshl_add_u64 v[2:3], v[96:97], 0, s[16:17]
	global_load_dword v105, v[2:3], off
	;; [unrolled: 2-line block ×3, first 2 shown]
	v_lshl_add_u64 v[2:3], v[100:101], 0, s[16:17]
	v_and_or_b32 v7, v9, s24, v7
	global_load_dword v9, v[2:3], off
	v_lshl_add_u64 v[2:3], v[98:99], 0, s[16:17]
	global_load_dword v2, v[2:3], off
	ds_write2_b32 v152, v6, v7 offset0:64 offset1:72
	s_waitcnt vmcnt(18)
	v_and_b32_e32 v3, 0xf0f0f0f, v4
	v_lshrrev_b32_e32 v4, 4, v4
	v_and_b32_e32 v4, 0xf0f0f0f, v4
	s_waitcnt vmcnt(17)
	v_ashrrev_i32_e32 v6, v122, v10
	v_ashrrev_i32_e32 v7, v123, v10
	v_lshlrev_b32_e32 v6, 4, v6
	v_lshlrev_b32_e32 v7, 4, v7
	v_and_or_b32 v3, v6, s24, v3
	v_and_or_b32 v4, v7, s24, v4
	ds_write2_b32 v153, v3, v4 offset0:72 offset1:80
	s_waitcnt vmcnt(16)
	v_lshrrev_b32_e32 v4, 4, v12
	v_and_b32_e32 v3, 0xf0f0f0f, v12
	s_waitcnt vmcnt(15)
	v_ashrrev_i32_e32 v6, v122, v14
	v_ashrrev_i32_e32 v7, v123, v14
	v_and_b32_e32 v4, 0xf0f0f0f, v4
	v_lshlrev_b32_e32 v6, 4, v6
	v_lshlrev_b32_e32 v7, 4, v7
	v_and_or_b32 v3, v6, s24, v3
	v_and_or_b32 v4, v7, s24, v4
	ds_write2_b32 v154, v3, v4 offset0:80 offset1:88
	s_waitcnt vmcnt(14)
	v_lshrrev_b32_e32 v4, 4, v13
	v_and_b32_e32 v3, 0xf0f0f0f, v13
	v_and_b32_e32 v4, 0xf0f0f0f, v4
	s_waitcnt vmcnt(13)
	v_ashrrev_i32_e32 v6, v122, v5
	v_ashrrev_i32_e32 v5, v123, v5
	v_lshlrev_b32_e32 v6, 4, v6
	v_lshlrev_b32_e32 v5, 4, v5
	v_and_or_b32 v3, v6, s24, v3
	v_and_or_b32 v4, v5, s24, v4
	ds_write2_b32 v155, v3, v4 offset0:88 offset1:96
	s_waitcnt vmcnt(12)
	v_lshrrev_b32_e32 v4, 4, v17
	v_and_b32_e32 v3, 0xf0f0f0f, v17
	v_and_b32_e32 v4, 0xf0f0f0f, v4
	s_waitcnt vmcnt(11)
	v_ashrrev_i32_e32 v5, v122, v102
	v_ashrrev_i32_e32 v6, v123, v102
	v_lshlrev_b32_e32 v5, 4, v5
	v_lshlrev_b32_e32 v6, 4, v6
	v_and_or_b32 v3, v5, s24, v3
	v_and_or_b32 v4, v6, s24, v4
	ds_write2_b32 v156, v3, v4 offset0:96 offset1:104
	s_waitcnt vmcnt(10)
	v_lshrrev_b32_e32 v4, 4, v15
	s_waitcnt vmcnt(9)
	v_ashrrev_i32_e32 v5, v122, v16
	v_ashrrev_i32_e32 v6, v123, v16
	v_and_b32_e32 v3, 0xf0f0f0f, v15
	v_and_b32_e32 v4, 0xf0f0f0f, v4
	v_lshlrev_b32_e32 v5, 4, v5
	v_lshlrev_b32_e32 v6, 4, v6
	v_and_or_b32 v3, v5, s24, v3
	v_and_or_b32 v4, v6, s24, v4
	ds_write2_b32 v157, v3, v4 offset0:104 offset1:112
	s_waitcnt vmcnt(8)
	v_lshrrev_b32_e32 v4, 4, v103
	v_and_b32_e32 v3, 0xf0f0f0f, v103
	v_and_b32_e32 v4, 0xf0f0f0f, v4
	s_waitcnt vmcnt(7)
	v_ashrrev_i32_e32 v5, v122, v19
	v_ashrrev_i32_e32 v6, v123, v19
	v_lshlrev_b32_e32 v5, 4, v5
	v_lshlrev_b32_e32 v6, 4, v6
	v_and_or_b32 v3, v5, s24, v3
	v_and_or_b32 v4, v6, s24, v4
	ds_write2_b32 v158, v3, v4 offset0:112 offset1:120
	s_waitcnt vmcnt(6)
	v_lshrrev_b32_e32 v4, 4, v8
	v_and_b32_e32 v3, 0xf0f0f0f, v8
	v_and_b32_e32 v4, 0xf0f0f0f, v4
	s_waitcnt vmcnt(5)
	v_ashrrev_i32_e32 v5, v122, v104
	v_ashrrev_i32_e32 v6, v123, v104
	v_lshlrev_b32_e32 v5, 4, v5
	v_lshlrev_b32_e32 v6, 4, v6
	v_and_or_b32 v3, v5, s24, v3
	v_and_or_b32 v4, v6, s24, v4
	ds_write2_b32 v159, v3, v4 offset0:120 offset1:128
	s_waitcnt vmcnt(4)
	ds_write_b32 v125, v11
	s_waitcnt vmcnt(3)
	v_ashrrev_i32_e32 v3, v126, v105
	v_and_b32_e32 v3, 0xf0f0f0f, v3
	s_waitcnt vmcnt(2)
	v_ashrrev_i32_e32 v4, v127, v106
	v_and_or_b32 v3, v4, s25, v3
	ds_write_b32 v128, v3
	s_waitcnt vmcnt(1)
	v_ashrrev_i32_e32 v3, v126, v9
	v_and_b32_e32 v3, 0xf0f0f0f, v3
	s_waitcnt vmcnt(0)
	v_ashrrev_i32_e32 v2, v127, v2
	v_and_or_b32 v2, v2, s25, v3
	ds_write_b32 v129, v2
	s_cbranch_scc0 .LBB193_5
; %bb.7:                                ;   in Loop: Header=BB193_6 Depth=1
	v_cmp_gt_i32_e64 s[2:3], s5, v134
	s_and_b64 s[20:21], s[0:1], s[2:3]
	s_and_saveexec_b64 s[2:3], s[20:21]
	s_cbranch_execz .LBB193_9
; %bb.8:                                ;   in Loop: Header=BB193_6 Depth=1
	v_add_u32_e32 v2, v22, v134
	v_mad_i64_i32 v[2:3], s[20:21], v2, 36, v[20:21]
	global_load_dword v2, v[2:3], off offset:4
	s_waitcnt vmcnt(0)
	ds_write_b32 v132, v2
.LBB193_9:                              ;   in Loop: Header=BB193_6 Depth=1
	s_or_b64 exec, exec, s[2:3]
	v_cmp_gt_i32_e64 s[2:3], s5, v18
	s_and_b64 s[20:21], s[18:19], s[2:3]
	s_and_saveexec_b64 s[2:3], s[20:21]
	s_cbranch_execz .LBB193_11
; %bb.10:                               ;   in Loop: Header=BB193_6 Depth=1
	v_add_u32_e32 v2, v22, v18
	v_mad_i64_i32 v[2:3], s[20:21], v2, 36, s[10:11]
	global_load_dword v2, v[2:3], off
	v_add_u32_e32 v3, v130, v133
	s_waitcnt vmcnt(0)
	ds_write_b32 v3, v2
.LBB193_11:                             ;   in Loop: Header=BB193_6 Depth=1
	s_or_b64 exec, exec, s[2:3]
	s_waitcnt lgkmcnt(0)
	s_barrier
	ds_read_b128 v[14:17], v131
	ds_read_b128 v[10:13], v131 offset:16
	ds_read2_b32 v[102:103], v136 offset1:1
	ds_read_b128 v[6:9], v131 offset:32
	ds_read_b128 v[2:5], v131 offset:48
	;; [unrolled: 1-line block ×3, first 2 shown]
	ds_read2_b32 v[104:105], v136 offset0:2 offset1:3
	v_mov_b32_e32 v19, 0
	s_waitcnt lgkmcnt(4)
	v_dot4c_i32_i8_e32 v19, v102, v14
	v_dot4c_i32_i8_e32 v19, v103, v15
	ds_read2_b32 v[102:103], v136 offset0:4 offset1:5
	ds_read2_b32 v[106:107], v136 offset0:6 offset1:7
	;; [unrolled: 1-line block ×3, first 2 shown]
	s_waitcnt lgkmcnt(3)
	v_dot4c_i32_i8_e32 v19, v104, v16
	v_dot4c_i32_i8_e32 v19, v105, v17
	s_waitcnt lgkmcnt(2)
	v_dot4c_i32_i8_e32 v19, v102, v10
	v_dot4c_i32_i8_e32 v19, v103, v11
	ds_read2_b32 v[102:103], v136 offset0:10 offset1:11
	v_mov_b32_e32 v179, 0
	s_waitcnt lgkmcnt(1)
	v_dot4c_i32_i8_e32 v179, v108, v6
	v_dot4c_i32_i8_e32 v179, v109, v7
	;; [unrolled: 1-line block ×3, first 2 shown]
	s_waitcnt lgkmcnt(0)
	v_dot4c_i32_i8_e32 v179, v102, v8
	v_add_u32_e32 v102, 0x2080, v136
	ds_read2_b32 v[104:105], v135 offset1:2
	v_dot4c_i32_i8_e32 v19, v107, v13
	ds_read2_b32 v[106:107], v136 offset0:12 offset1:13
	ds_read2_b32 v[108:109], v136 offset0:14 offset1:15
	;; [unrolled: 1-line block ×3, first 2 shown]
	v_dot4c_i32_i8_e32 v179, v103, v9
	ds_read2_b32 v[102:103], v102 offset1:1
	v_mov_b32_e32 v180, 0
	ds_read_b32 v181, v140 offset:128
	ds_read_b32 v160, v142 offset:256
	;; [unrolled: 1-line block ×3, first 2 shown]
	s_waitcnt lgkmcnt(6)
	v_dot4c_i32_i8_e32 v179, v106, v2
	v_dot4c_i32_i8_e32 v179, v107, v3
	s_waitcnt lgkmcnt(3)
	v_dot4c_i32_i8_e32 v180, v102, v14
	v_add_u32_e32 v102, 0x2088, v136
	v_dot4c_i32_i8_e32 v180, v103, v15
	ds_read2_b32 v[102:103], v102 offset1:1
	v_dot4c_i32_i8_e32 v179, v108, v4
	v_add_u32_e32 v106, 0x2090, v136
	v_add_u32_e32 v108, 0x2098, v136
	v_dot4c_i32_i8_e32 v179, v109, v5
	v_add_u32_e32 v110, 0x20a0, v136
	ds_read2_b32 v[106:107], v106 offset1:1
	ds_read2_b32 v[108:109], v108 offset1:1
	;; [unrolled: 1-line block ×3, first 2 shown]
	s_waitcnt lgkmcnt(3)
	v_dot4c_i32_i8_e32 v180, v102, v16
	v_add_u32_e32 v102, 0x20a8, v136
	v_dot4c_i32_i8_e32 v180, v103, v17
	ds_read2_b32 v[102:103], v102 offset1:1
	s_waitcnt lgkmcnt(3)
	v_dot4c_i32_i8_e32 v180, v106, v10
	v_dot4c_i32_i8_e32 v180, v107, v11
	v_mov_b32_e32 v184, 0
	s_waitcnt lgkmcnt(2)
	v_dot4c_i32_i8_e32 v180, v108, v12
	s_waitcnt lgkmcnt(1)
	v_dot4c_i32_i8_e32 v184, v114, v6
	v_add_u32_e32 v106, 0x20b0, v136
	v_add_u32_e32 v108, 0x20b8, v136
	;; [unrolled: 1-line block ×3, first 2 shown]
	ds_read2_b32 v[110:111], v139 offset1:2
	v_dot4c_i32_i8_e32 v180, v109, v13
	v_dot4c_i32_i8_e32 v184, v115, v7
	ds_read2_b32 v[106:107], v106 offset1:1
	ds_read2_b32 v[108:109], v108 offset1:1
	;; [unrolled: 1-line block ×3, first 2 shown]
	s_waitcnt lgkmcnt(4)
	v_dot4c_i32_i8_e32 v184, v102, v8
	v_add_u32_e32 v102, 0x4108, v136
	v_dot4c_i32_i8_e32 v184, v103, v9
	ds_read2_b32 v[102:103], v102 offset1:1
	s_waitcnt lgkmcnt(3)
	v_dot4c_i32_i8_e32 v184, v106, v2
	v_dot4c_i32_i8_e32 v184, v107, v3
	v_mov_b32_e32 v118, 0
	s_waitcnt lgkmcnt(2)
	v_dot4c_i32_i8_e32 v184, v108, v4
	s_waitcnt lgkmcnt(1)
	v_dot4c_i32_i8_e32 v118, v114, v14
	v_add_u32_e32 v106, 0x4110, v136
	v_add_u32_e32 v116, 0x4120, v136
	v_dot4c_i32_i8_e32 v184, v109, v5
	v_dot4c_i32_i8_e32 v118, v115, v15
	v_add_u32_e32 v107, 0x4118, v136
	ds_read2_b32 v[108:109], v106 offset1:1
	ds_read2_b32 v[114:115], v107 offset1:1
	;; [unrolled: 1-line block ×3, first 2 shown]
	s_waitcnt lgkmcnt(3)
	v_dot4c_i32_i8_e32 v118, v102, v16
	ds_read2_b32 v[106:107], v141 offset1:2
	v_dot4c_i32_i8_e32 v118, v103, v17
	s_waitcnt lgkmcnt(3)
	v_dot4c_i32_i8_e32 v118, v108, v10
	v_add_u32_e32 v108, 0x4128, v136
	v_dot4c_i32_i8_e32 v118, v109, v11
	ds_read2_b32 v[108:109], v108 offset1:1
	s_waitcnt lgkmcnt(3)
	v_dot4c_i32_i8_e32 v118, v114, v12
	v_dot4c_i32_i8_e32 v118, v115, v13
	s_waitcnt lgkmcnt(1)
	v_and_b32_e32 v102, 0xff, v106
	v_mov_b32_e32 v120, 0
	v_dot4c_i32_i8_e32 v120, v116, v6
	v_mul_lo_u32 v102, v118, v102
	v_add_u32_e32 v114, 0x4130, v136
	v_add_u32_e32 v116, 0x4138, v136
	;; [unrolled: 1-line block ×3, first 2 shown]
	v_dot4c_i32_i8_e32 v120, v117, v7
	ds_read2_b32 v[114:115], v114 offset1:1
	ds_read2_b32 v[116:117], v116 offset1:1
	ds_read2_b32 v[118:119], v118 offset1:1
	s_waitcnt lgkmcnt(3)
	v_dot4c_i32_i8_e32 v120, v108, v8
	v_dot4c_i32_i8_e32 v120, v109, v9
	s_waitcnt lgkmcnt(2)
	v_dot4c_i32_i8_e32 v120, v114, v2
	v_dot4c_i32_i8_e32 v120, v115, v3
	v_mov_b32_e32 v167, 0
	s_waitcnt lgkmcnt(1)
	v_dot4c_i32_i8_e32 v120, v116, v4
	s_waitcnt lgkmcnt(0)
	v_dot4c_i32_i8_e32 v167, v118, v14
	v_add_u32_e32 v14, 0x6188, v136
	v_add_u32_e32 v114, 0x6190, v136
	;; [unrolled: 1-line block ×4, first 2 shown]
	v_dot4c_i32_i8_e32 v120, v117, v5
	v_dot4c_i32_i8_e32 v167, v119, v15
	ds_read2_b32 v[14:15], v14 offset1:1
	ds_read2_b32 v[114:115], v114 offset1:1
	;; [unrolled: 1-line block ×4, first 2 shown]
	v_mov_b32_e32 v186, 0
	v_mov_b32_e32 v187, 0
	v_bfe_u32 v108, v106, 8, 8
	s_waitcnt lgkmcnt(3)
	v_dot4c_i32_i8_e32 v167, v14, v16
	s_waitcnt lgkmcnt(0)
	v_dot4c_i32_i8_e32 v186, v118, v6
	v_add_u32_e32 v6, 0x61a8, v136
	v_dot4c_i32_i8_e32 v167, v15, v17
	v_dot4c_i32_i8_e32 v186, v119, v7
	ds_read2_b32 v[6:7], v6 offset1:1
	v_dot4c_i32_i8_e32 v167, v114, v10
	v_dot4c_i32_i8_e32 v167, v115, v11
	;; [unrolled: 1-line block ×3, first 2 shown]
	v_add_u32_e32 v10, 0x61b0, v136
	v_add_u32_e32 v12, 0x61b8, v136
	v_dot4c_i32_i8_e32 v167, v117, v13
	v_add_u32_e32 v14, 0x61c0, v136
	ds_read2_b32 v[10:11], v10 offset1:1
	ds_read2_b32 v[12:13], v12 offset1:1
	;; [unrolled: 1-line block ×3, first 2 shown]
	s_waitcnt lgkmcnt(3)
	v_dot4c_i32_i8_e32 v186, v6, v8
	v_dot4c_i32_i8_e32 v186, v7, v9
	s_waitcnt lgkmcnt(2)
	v_dot4c_i32_i8_e32 v186, v10, v2
	v_dot4c_i32_i8_e32 v186, v11, v3
	;; [unrolled: 3-line block ×3, first 2 shown]
	ds_read_b128 v[14:17], v131 offset:64
	ds_read_b128 v[10:13], v131 offset:80
	;; [unrolled: 1-line block ×4, first 2 shown]
	ds_read2_b32 v[114:115], v136 offset0:18 offset1:19
	s_waitcnt lgkmcnt(4)
	v_dot4c_i32_i8_e32 v187, v112, v14
	v_dot4c_i32_i8_e32 v187, v113, v15
	ds_read2_b32 v[112:113], v136 offset0:20 offset1:21
	ds_read2_b32 v[116:117], v136 offset0:22 offset1:23
	;; [unrolled: 1-line block ×3, first 2 shown]
	v_mul_lo_u32 v108, v120, v108
	s_waitcnt lgkmcnt(3)
	v_dot4c_i32_i8_e32 v187, v114, v16
	v_mov_b32_e32 v114, 0
	v_dot4c_i32_i8_e32 v114, v118, v14
	v_add_u32_e32 v118, 0x61c8, v136
	v_dot4c_i32_i8_e32 v187, v115, v17
	v_dot4c_i32_i8_e32 v114, v119, v15
	ds_read2_b32 v[118:119], v118 offset1:1
	s_waitcnt lgkmcnt(3)
	v_dot4c_i32_i8_e32 v187, v112, v10
	v_dot4c_i32_i8_e32 v187, v113, v11
	v_cvt_f32_f16_e32 v120, v121
	v_cvt_f32_f16_sdwa v166, v121 dst_sel:DWORD dst_unused:UNUSED_PAD src0_sel:WORD_1
	s_waitcnt lgkmcnt(2)
	v_dot4c_i32_i8_e32 v187, v116, v12
	v_add_u32_e32 v121, 0x61d0, v136
	v_dot4c_i32_i8_e32 v187, v117, v13
	v_cvt_f32_f16_e32 v117, v164
	v_cvt_f32_f16_e32 v116, v162
	v_cvt_f32_f16_sdwa v113, v164 dst_sel:DWORD dst_unused:UNUSED_PAD src0_sel:WORD_1
	v_cvt_f32_f16_sdwa v112, v162 dst_sel:DWORD dst_unused:UNUSED_PAD src0_sel:WORD_1
	v_add_u32_e32 v162, 0x61d8, v136
	v_add_u32_e32 v164, 0x61e0, v136
	ds_read2_b32 v[170:171], v121 offset1:1
	ds_read2_b32 v[172:173], v162 offset1:1
	;; [unrolled: 1-line block ×3, first 2 shown]
	s_waitcnt lgkmcnt(3)
	v_dot4c_i32_i8_e32 v114, v118, v16
	ds_read2_b32 v[176:177], v143 offset1:2
	v_dot4c_i32_i8_e32 v114, v119, v17
	s_waitcnt lgkmcnt(3)
	v_dot4c_i32_i8_e32 v114, v170, v10
	v_dot4c_i32_i8_e32 v114, v171, v11
	s_waitcnt lgkmcnt(2)
	v_dot4c_i32_i8_e32 v114, v172, v12
	v_dot4c_i32_i8_e32 v114, v173, v13
	s_waitcnt lgkmcnt(0)
	v_and_b32_e32 v118, 0xff, v176
	v_bfe_u32 v119, v176, 16, 8
	v_mul_lo_u32 v118, v167, v118
	v_mul_lo_u32 v114, v114, v119
	v_add_u32_e32 v164, 0x61e8, v136
	v_cvt_f32_f16_e32 v115, v165
	v_cvt_f32_i32_e32 v171, v114
	v_cvt_f32_i32_e32 v170, v118
	v_cvt_f32_f16_sdwa v119, v165 dst_sel:DWORD dst_unused:UNUSED_PAD src0_sel:WORD_1
	ds_read2_b32 v[164:165], v164 offset1:1
	v_mov_b32_e32 v121, 0
	v_mov_b32_e32 v188, 0
	v_dot4c_i32_i8_e32 v121, v174, v6
	v_add_u32_e32 v167, 0x61f0, v136
	v_add_u32_e32 v174, 0x20c0, v136
	v_dot4c_i32_i8_e32 v188, v168, v6
	v_cvt_f32_f16_e32 v114, v163
	v_cvt_f32_f16_sdwa v118, v163 dst_sel:DWORD dst_unused:UNUSED_PAD src0_sel:WORD_1
	v_pk_fma_f32 v[162:163], v[116:117], v[170:171], 0 op_sel_hi:[1,1,0]
	v_dot4c_i32_i8_e32 v121, v175, v7
	v_add_u32_e32 v168, 0x61f8, v136
	ds_read2_b32 v[170:171], v167 offset1:1
	ds_read2_b32 v[172:173], v168 offset1:1
	;; [unrolled: 1-line block ×3, first 2 shown]
	s_waitcnt lgkmcnt(3)
	v_dot4c_i32_i8_e32 v121, v164, v8
	v_dot4c_i32_i8_e32 v121, v165, v9
	s_waitcnt lgkmcnt(2)
	v_dot4c_i32_i8_e32 v121, v170, v2
	v_dot4c_i32_i8_e32 v121, v171, v3
	;; [unrolled: 3-line block ×3, first 2 shown]
	v_lshrrev_b32_e32 v164, 24, v176
	v_bfe_u32 v165, v176, 8, 8
	v_mul_lo_u32 v167, v186, v165
	v_mul_lo_u32 v121, v121, v164
	v_cvt_f32_i32_e32 v165, v121
	v_cvt_f32_i32_e32 v164, v167
	v_cvt_f32_ubyte2_e32 v171, v177
	v_cvt_f32_ubyte0_e32 v170, v177
	v_pk_fma_f32 v[170:171], v[112:113], v[170:171], 0 op_sel_hi:[1,1,0]
	v_pk_fma_f32 v[162:163], v[114:115], v[164:165], v[162:163]
	v_cvt_f32_ubyte3_e32 v165, v177
	v_cvt_f32_ubyte1_e32 v164, v177
	v_pk_fma_f32 v[164:165], v[118:119], v[164:165], v[170:171]
	v_and_b32_e32 v178, 0xff, v104
	v_pk_mul_f32 v[164:165], v[164:165], v[166:167] op_sel_hi:[1,0]
	v_and_b32_e32 v183, 0xff, v110
	v_pk_fma_f32 v[120:121], v[162:163], v[120:121], v[164:165] op_sel_hi:[1,0,1] neg_lo:[0,0,1] neg_hi:[0,0,1]
	ds_read2_b32 v[162:163], v136 offset0:26 offset1:27
	v_dot4c_i32_i8_e32 v188, v169, v7
	ds_read_b32 v186, v137
	ds_read2_b32 v[164:165], v136 offset0:28 offset1:29
	ds_read2_b32 v[166:167], v136 offset0:30 offset1:31
	v_mul_lo_u32 v19, v19, v178
	v_cvt_f32_i32_e32 v168, v19
	s_waitcnt lgkmcnt(3)
	v_dot4c_i32_i8_e32 v188, v162, v8
	v_mul_lo_u32 v162, v180, v183
	v_cvt_f32_i32_e32 v169, v162
	v_bfe_u32 v19, v110, 8, 8
	v_bfe_u32 v162, v104, 8, 8
	v_mul_lo_u32 v162, v179, v162
	v_mul_lo_u32 v19, v184, v19
	v_cvt_f32_i32_e32 v173, v19
	v_cvt_f32_i32_e32 v172, v162
	v_cvt_f32_f16_e32 v179, v181
	v_cvt_f32_f16_sdwa v181, v181 dst_sel:DWORD dst_unused:UNUSED_PAD src0_sel:WORD_1
	s_waitcnt lgkmcnt(2)
	v_cvt_f32_f16_sdwa v180, v186 dst_sel:DWORD dst_unused:UNUSED_PAD src0_sel:WORD_1
	v_cvt_f32_ubyte0_e32 v171, v111
	v_cvt_f32_ubyte0_e32 v170, v105
	v_cvt_f32_f16_e32 v178, v186
	v_cvt_f32_ubyte1_e32 v177, v111
	v_cvt_f32_ubyte1_e32 v176, v105
	v_pk_fma_f32 v[170:171], v[112:113], v[170:171], 0 op_sel_hi:[0,1,0]
	v_add_u32_e32 v162, 0x20c8, v136
	v_pk_fma_f32 v[168:169], v[116:117], v[168:169], 0 op_sel_hi:[0,1,0]
	v_pk_fma_f32 v[170:171], v[118:119], v[176:177], v[170:171] op_sel_hi:[0,1,1]
	v_dot4c_i32_i8_e32 v188, v163, v9
	ds_read2_b32 v[162:163], v162 offset1:1
	v_pk_fma_f32 v[168:169], v[114:115], v[172:173], v[168:169] op_sel_hi:[0,1,1]
	v_pk_mul_f32 v[170:171], v[170:171], v[180:181]
	v_mov_b32_e32 v19, 0
	v_pk_fma_f32 v[168:169], v[168:169], v[178:179], v[170:171] neg_lo:[0,0,1] neg_hi:[0,0,1]
	s_waitcnt lgkmcnt(2)
	v_dot4c_i32_i8_e32 v188, v164, v2
	v_pk_add_f32 v[48:49], v[48:49], v[168:169]
	v_dot4c_i32_i8_e32 v19, v174, v14
	v_add_u32_e32 v164, 0x20d0, v136
	v_add_u32_e32 v168, 0x20d8, v136
	;; [unrolled: 1-line block ×3, first 2 shown]
	v_dot4c_i32_i8_e32 v188, v165, v3
	v_dot4c_i32_i8_e32 v19, v175, v15
	ds_read2_b32 v[164:165], v164 offset1:1
	ds_read2_b32 v[168:169], v168 offset1:1
	;; [unrolled: 1-line block ×3, first 2 shown]
	s_waitcnt lgkmcnt(3)
	v_dot4c_i32_i8_e32 v19, v162, v16
	v_dot4c_i32_i8_e32 v19, v163, v17
	s_waitcnt lgkmcnt(2)
	v_dot4c_i32_i8_e32 v19, v164, v10
	v_dot4c_i32_i8_e32 v19, v165, v11
	s_waitcnt lgkmcnt(1)
	v_dot4c_i32_i8_e32 v19, v168, v12
	v_lshrrev_b32_e32 v161, 24, v104
	v_lshrrev_b32_e32 v182, 24, v110
	v_dot4c_i32_i8_e32 v19, v169, v13
	v_bfe_u32 v110, v110, 16, 8
	v_bfe_u32 v104, v104, 16, 8
	v_mul_lo_u32 v104, v187, v104
	v_mul_lo_u32 v19, v19, v110
	v_cvt_f32_i32_e32 v163, v19
	v_cvt_f32_i32_e32 v162, v104
	v_mov_b32_e32 v104, v117
	v_dot4c_i32_i8_e32 v188, v166, v4
	v_dot4c_i32_i8_e32 v188, v167, v5
	v_pk_fma_f32 v[162:163], v[104:105], v[162:163], 0 op_sel_hi:[0,1,0]
	v_add_u32_e32 v104, 0x20e8, v136
	ds_read2_b32 v[166:167], v104 offset1:1
	v_mov_b32_e32 v19, 0
	s_waitcnt lgkmcnt(1)
	v_dot4c_i32_i8_e32 v19, v170, v6
	v_add_u32_e32 v104, 0x20f0, v136
	v_add_u32_e32 v172, 0x4140, v136
	v_dot4c_i32_i8_e32 v19, v171, v7
	v_add_u32_e32 v110, 0x20f8, v136
	ds_read2_b32 v[168:169], v104 offset1:1
	ds_read2_b32 v[170:171], v110 offset1:1
	;; [unrolled: 1-line block ×3, first 2 shown]
	s_waitcnt lgkmcnt(3)
	v_dot4c_i32_i8_e32 v19, v166, v8
	v_dot4c_i32_i8_e32 v19, v167, v9
	s_waitcnt lgkmcnt(2)
	v_dot4c_i32_i8_e32 v19, v168, v2
	v_dot4c_i32_i8_e32 v19, v169, v3
	;; [unrolled: 3-line block ×3, first 2 shown]
	v_mul_lo_u32 v104, v188, v161
	v_cvt_f32_i32_e32 v166, v104
	v_cvt_f32_ubyte2_e32 v165, v111
	v_mul_lo_u32 v19, v19, v182
	v_cvt_f32_i32_e32 v167, v19
	v_cvt_f32_ubyte2_e32 v164, v105
	v_mov_b32_e32 v104, v113
	v_pk_fma_f32 v[164:165], v[104:105], v[164:165], 0 op_sel_hi:[0,1,0]
	v_mov_b32_e32 v104, v115
	v_pk_fma_f32 v[162:163], v[104:105], v[166:167], v[162:163] op_sel_hi:[0,1,1]
	v_cvt_f32_ubyte3_e32 v111, v111
	v_cvt_f32_ubyte3_e32 v110, v105
	v_mov_b32_e32 v104, v119
	v_pk_fma_f32 v[104:105], v[104:105], v[110:111], v[164:165] op_sel_hi:[0,1,1]
	v_mov_b32_e32 v19, 0
	v_pk_mul_f32 v[104:105], v[104:105], v[180:181]
	s_waitcnt lgkmcnt(0)
	v_dot4c_i32_i8_e32 v19, v172, v14
	v_add_u32_e32 v14, 0x4148, v136
	v_pk_fma_f32 v[104:105], v[162:163], v[178:179], v[104:105] neg_lo:[0,0,1] neg_hi:[0,0,1]
	v_dot4c_i32_i8_e32 v19, v173, v15
	ds_read2_b32 v[14:15], v14 offset1:1
	v_pk_add_f32 v[48:49], v[48:49], v[104:105]
	v_add_u32_e32 v104, 0x4150, v136
	v_add_u32_e32 v110, 0x4158, v136
	;; [unrolled: 1-line block ×3, first 2 shown]
	ds_read2_b32 v[104:105], v104 offset1:1
	ds_read2_b32 v[110:111], v110 offset1:1
	;; [unrolled: 1-line block ×3, first 2 shown]
	s_waitcnt lgkmcnt(3)
	v_dot4c_i32_i8_e32 v19, v14, v16
	v_dot4c_i32_i8_e32 v19, v15, v17
	v_mov_b32_e32 v16, 0
	s_waitcnt lgkmcnt(2)
	v_dot4c_i32_i8_e32 v19, v104, v10
	s_waitcnt lgkmcnt(0)
	v_dot4c_i32_i8_e32 v16, v162, v6
	v_add_u32_e32 v6, 0x4168, v136
	v_dot4c_i32_i8_e32 v19, v105, v11
	v_dot4c_i32_i8_e32 v16, v163, v7
	ds_read2_b32 v[6:7], v6 offset1:1
	v_dot4c_i32_i8_e32 v19, v110, v12
	v_add_u32_e32 v12, 0x4170, v136
	v_dot4c_i32_i8_e32 v19, v111, v13
	ds_read2_b32 v[12:13], v12 offset1:1
	v_add_u32_e32 v14, 0x4178, v136
	ds_read2_b32 v[14:15], v14 offset1:1
	s_waitcnt lgkmcnt(2)
	v_dot4c_i32_i8_e32 v16, v6, v8
	v_dot4c_i32_i8_e32 v16, v7, v9
	s_waitcnt lgkmcnt(1)
	v_dot4c_i32_i8_e32 v16, v12, v2
	v_cvt_f32_i32_e32 v102, v102
	v_dot4c_i32_i8_e32 v16, v13, v3
	v_cvt_f32_i32_e32 v108, v108
	v_bfe_u32 v10, v106, 16, 8
	s_waitcnt lgkmcnt(0)
	v_dot4c_i32_i8_e32 v16, v14, v4
	v_lshrrev_b32_e32 v185, 24, v106
	v_mul_lo_u32 v10, v19, v10
	v_dot4c_i32_i8_e32 v16, v15, v5
	v_cvt_f32_f16_sdwa v5, v160 dst_sel:DWORD dst_unused:UNUSED_PAD src0_sel:WORD_1
	v_cvt_f32_ubyte0_e32 v103, v107
	v_cvt_f32_i32_e32 v10, v10
	v_mul_lo_u32 v2, v16, v185
	v_cvt_f32_f16_e32 v4, v160
	v_mov_b32_e32 v6, v116
	v_mov_b32_e32 v7, v112
	v_cvt_f32_ubyte1_e32 v109, v107
	v_cvt_f32_i32_e32 v2, v2
	v_pk_fma_f32 v[6:7], v[6:7], v[102:103], 0 op_sel_hi:[1,1,0]
	v_mov_b32_e32 v8, v114
	v_mov_b32_e32 v9, v118
	v_pk_fma_f32 v[6:7], v[8:9], v[108:109], v[6:7]
	v_cvt_f32_ubyte2_e32 v11, v107
	v_mul_f32_e32 v8, v7, v5
	v_mov_b32_e32 v112, v117
	v_cvt_f32_ubyte3_e32 v3, v107
	v_pk_fma_f32 v[6:7], v[6:7], v[4:5], v[8:9] op_sel_hi:[1,1,0] neg_lo:[0,0,1] neg_hi:[0,0,1]
	v_pk_fma_f32 v[8:9], v[112:113], v[10:11], 0 op_sel_hi:[1,1,0]
	v_mov_b32_e32 v118, v115
	v_pk_fma_f32 v[2:3], v[118:119], v[2:3], v[8:9]
	v_mov_b32_e32 v7, v120
	v_mul_f32_e32 v8, v3, v5
	v_pk_fma_f32 v[2:3], v[2:3], v[4:5], v[8:9] op_sel_hi:[1,1,0] neg_lo:[0,0,1] neg_hi:[0,0,1]
	v_pk_add_f32 v[4:5], v[90:91], v[6:7]
	v_mov_b32_e32 v3, v121
	v_pk_add_f32 v[90:91], v[4:5], v[2:3]
	s_cmp_ge_i32 s14, s15
	s_barrier
	s_cbranch_scc1 .LBB193_5
; %bb.12:                               ;   in Loop: Header=BB193_6 Depth=1
	v_cmp_gt_i32_e64 s[2:3], s5, v138
	s_and_b64 s[20:21], s[0:1], s[2:3]
	s_and_saveexec_b64 s[2:3], s[20:21]
	s_cbranch_execz .LBB193_14
; %bb.13:                               ;   in Loop: Header=BB193_6 Depth=1
	v_add_u32_e32 v2, v22, v138
	v_mad_i64_i32 v[2:3], s[20:21], v2, 36, v[20:21]
	global_load_dword v2, v[2:3], off offset:4
	s_waitcnt vmcnt(0)
	ds_write_b32 v132, v2
.LBB193_14:                             ;   in Loop: Header=BB193_6 Depth=1
	s_or_b64 exec, exec, s[2:3]
	s_and_saveexec_b64 s[20:21], vcc
	s_cbranch_execz .LBB193_4
; %bb.15:                               ;   in Loop: Header=BB193_6 Depth=1
	v_add_u32_e32 v2, 4, v18
	v_cmp_gt_i32_e64 s[2:3], s5, v2
	s_and_b64 s[2:3], s[0:1], s[2:3]
	s_and_b64 exec, exec, s[2:3]
	s_cbranch_execz .LBB193_4
; %bb.16:                               ;   in Loop: Header=BB193_6 Depth=1
	v_ashrrev_i32_e32 v19, 31, v18
	v_lshl_add_u64 v[2:3], v[22:23], 0, v[18:19]
	v_mad_u64_u32 v[4:5], s[2:3], v2, 36, s[10:11]
	v_mad_i32_i24 v5, v3, 36, v5
	global_load_dword v2, v[4:5], off offset:144
	v_add_u32_e32 v3, v130, v133
	s_waitcnt vmcnt(0)
	ds_write_b32 v3, v2
	s_branch .LBB193_4
.LBB193_17:
	s_mul_i32 s0, s7, s4
	s_waitcnt vmcnt(0)
	v_cmp_gt_i32_e32 vcc, s0, v1
	s_and_saveexec_b64 s[0:1], vcc
	s_cbranch_execz .LBB193_26
; %bb.18:
	v_and_b32_e32 v0, 0x3ff, v0
	v_add_u32_e32 v2, s22, v0
	v_mul_lo_u32 v0, v1, s6
	v_cmp_gt_u32_e32 vcc, s6, v2
	s_and_saveexec_b64 s[0:1], vcc
	s_cbranch_execz .LBB193_20
; %bb.19:
	v_add_u32_e32 v4, v0, v2
	v_mov_b32_e32 v5, 0
	v_lshl_add_u64 v[4:5], v[4:5], 2, s[12:13]
	global_store_dword v[4:5], v48, off
.LBB193_20:
	s_or_b64 exec, exec, s[0:1]
	v_add_u32_e32 v1, 32, v2
	v_cmp_gt_u32_e32 vcc, s6, v1
	s_and_saveexec_b64 s[0:1], vcc
	s_cbranch_execz .LBB193_22
; %bb.21:
	v_add_u32_e32 v4, v0, v1
	v_mov_b32_e32 v5, 0
	v_lshl_add_u64 v[4:5], v[4:5], 2, s[12:13]
	global_store_dword v[4:5], v49, off
.LBB193_22:
	s_or_b64 exec, exec, s[0:1]
	v_add_u32_e32 v1, 64, v2
	;; [unrolled: 11-line block ×3, first 2 shown]
	v_cmp_gt_u32_e32 vcc, s6, v1
	s_and_b64 exec, exec, vcc
	s_cbranch_execz .LBB193_26
; %bb.25:
	v_add_u32_e32 v0, v0, v1
	v_mov_b32_e32 v1, 0
	v_lshl_add_u64 v[0:1], v[0:1], 2, s[12:13]
	global_store_dword v[0:1], v91, off
.LBB193_26:
	s_endpgm
	.section	.rodata,"a",@progbits
	.p2align	6, 0x0
	.amdhsa_kernel _ZL8moe_q5_KIfLb0EEvPKvS1_PT_PKiS5_S5_iiiiiii
		.amdhsa_group_segment_fixed_size 37072
		.amdhsa_private_segment_fixed_size 0
		.amdhsa_kernarg_size 76
		.amdhsa_user_sgpr_count 2
		.amdhsa_user_sgpr_dispatch_ptr 0
		.amdhsa_user_sgpr_queue_ptr 0
		.amdhsa_user_sgpr_kernarg_segment_ptr 1
		.amdhsa_user_sgpr_dispatch_id 0
		.amdhsa_user_sgpr_kernarg_preload_length 0
		.amdhsa_user_sgpr_kernarg_preload_offset 0
		.amdhsa_user_sgpr_private_segment_size 0
		.amdhsa_uses_dynamic_stack 0
		.amdhsa_enable_private_segment 0
		.amdhsa_system_sgpr_workgroup_id_x 1
		.amdhsa_system_sgpr_workgroup_id_y 1
		.amdhsa_system_sgpr_workgroup_id_z 0
		.amdhsa_system_sgpr_workgroup_info 0
		.amdhsa_system_vgpr_workitem_id 1
		.amdhsa_next_free_vgpr 189
		.amdhsa_next_free_sgpr 96
		.amdhsa_accum_offset 192
		.amdhsa_reserve_vcc 1
		.amdhsa_float_round_mode_32 0
		.amdhsa_float_round_mode_16_64 0
		.amdhsa_float_denorm_mode_32 3
		.amdhsa_float_denorm_mode_16_64 3
		.amdhsa_dx10_clamp 1
		.amdhsa_ieee_mode 1
		.amdhsa_fp16_overflow 0
		.amdhsa_tg_split 0
		.amdhsa_exception_fp_ieee_invalid_op 0
		.amdhsa_exception_fp_denorm_src 0
		.amdhsa_exception_fp_ieee_div_zero 0
		.amdhsa_exception_fp_ieee_overflow 0
		.amdhsa_exception_fp_ieee_underflow 0
		.amdhsa_exception_fp_ieee_inexact 0
		.amdhsa_exception_int_div_zero 0
	.end_amdhsa_kernel
	.section	.text._ZL8moe_q5_KIfLb0EEvPKvS1_PT_PKiS5_S5_iiiiiii,"axG",@progbits,_ZL8moe_q5_KIfLb0EEvPKvS1_PT_PKiS5_S5_iiiiiii,comdat
.Lfunc_end193:
	.size	_ZL8moe_q5_KIfLb0EEvPKvS1_PT_PKiS5_S5_iiiiiii, .Lfunc_end193-_ZL8moe_q5_KIfLb0EEvPKvS1_PT_PKiS5_S5_iiiiiii
                                        ; -- End function
	.set _ZL8moe_q5_KIfLb0EEvPKvS1_PT_PKiS5_S5_iiiiiii.num_vgpr, 189
	.set _ZL8moe_q5_KIfLb0EEvPKvS1_PT_PKiS5_S5_iiiiiii.num_agpr, 0
	.set _ZL8moe_q5_KIfLb0EEvPKvS1_PT_PKiS5_S5_iiiiiii.numbered_sgpr, 27
	.set _ZL8moe_q5_KIfLb0EEvPKvS1_PT_PKiS5_S5_iiiiiii.num_named_barrier, 0
	.set _ZL8moe_q5_KIfLb0EEvPKvS1_PT_PKiS5_S5_iiiiiii.private_seg_size, 0
	.set _ZL8moe_q5_KIfLb0EEvPKvS1_PT_PKiS5_S5_iiiiiii.uses_vcc, 1
	.set _ZL8moe_q5_KIfLb0EEvPKvS1_PT_PKiS5_S5_iiiiiii.uses_flat_scratch, 0
	.set _ZL8moe_q5_KIfLb0EEvPKvS1_PT_PKiS5_S5_iiiiiii.has_dyn_sized_stack, 0
	.set _ZL8moe_q5_KIfLb0EEvPKvS1_PT_PKiS5_S5_iiiiiii.has_recursion, 0
	.set _ZL8moe_q5_KIfLb0EEvPKvS1_PT_PKiS5_S5_iiiiiii.has_indirect_call, 0
	.section	.AMDGPU.csdata,"",@progbits
; Kernel info:
; codeLenInByte = 10068
; TotalNumSgprs: 33
; NumVgprs: 189
; NumAgprs: 0
; TotalNumVgprs: 189
; ScratchSize: 0
; MemoryBound: 0
; FloatMode: 240
; IeeeMode: 1
; LDSByteSize: 37072 bytes/workgroup (compile time only)
; SGPRBlocks: 12
; VGPRBlocks: 23
; NumSGPRsForWavesPerEU: 102
; NumVGPRsForWavesPerEU: 189
; AccumOffset: 192
; Occupancy: 2
; WaveLimiterHint : 1
; COMPUTE_PGM_RSRC2:SCRATCH_EN: 0
; COMPUTE_PGM_RSRC2:USER_SGPR: 2
; COMPUTE_PGM_RSRC2:TRAP_HANDLER: 0
; COMPUTE_PGM_RSRC2:TGID_X_EN: 1
; COMPUTE_PGM_RSRC2:TGID_Y_EN: 1
; COMPUTE_PGM_RSRC2:TGID_Z_EN: 0
; COMPUTE_PGM_RSRC2:TIDIG_COMP_CNT: 1
; COMPUTE_PGM_RSRC3_GFX90A:ACCUM_OFFSET: 47
; COMPUTE_PGM_RSRC3_GFX90A:TG_SPLIT: 0
	.section	.text._ZL8moe_q5_KIfLb1EEvPKvS1_PT_PKiS5_S5_iiiiiii,"axG",@progbits,_ZL8moe_q5_KIfLb1EEvPKvS1_PT_PKiS5_S5_iiiiiii,comdat
	.globl	_ZL8moe_q5_KIfLb1EEvPKvS1_PT_PKiS5_S5_iiiiiii ; -- Begin function _ZL8moe_q5_KIfLb1EEvPKvS1_PT_PKiS5_S5_iiiiiii
	.p2align	8
	.type	_ZL8moe_q5_KIfLb1EEvPKvS1_PT_PKiS5_S5_iiiiiii,@function
_ZL8moe_q5_KIfLb1EEvPKvS1_PT_PKiS5_S5_iiiiiii: ; @_ZL8moe_q5_KIfLb1EEvPKvS1_PT_PKiS5_S5_iiiiiii
; %bb.0:
	s_load_dwordx4 s[4:7], s[0:1], 0x18
	s_mov_b32 s8, s3
	s_mov_b32 s9, 0
	s_lshl_b64 s[10:11], s[8:9], 2
	s_waitcnt lgkmcnt(0)
	s_add_u32 s6, s6, s10
	s_addc_u32 s7, s7, s11
	s_load_dword s3, s[6:7], 0x0
	s_waitcnt lgkmcnt(0)
	s_cmpk_gt_u32 s3, 0xff
	s_cbranch_scc1 .LBB194_26
; %bb.1:
	s_load_dwordx2 s[6:7], s[0:1], 0x28
	s_waitcnt lgkmcnt(0)
	s_load_dword s7, s[6:7], 0x0
	s_lshl_b32 s6, s8, 3
	s_waitcnt lgkmcnt(0)
	s_cmp_gt_u32 s6, s7
	s_cbranch_scc1 .LBB194_26
; %bb.2:
	v_bfe_u32 v2, v0, 10, 10
	v_mov_b32_e32 v4, s4
	v_mov_b32_e32 v5, s5
	v_add_u32_e32 v90, s6, v2
	v_mov_b32_e32 v91, 0
	v_lshl_add_u64 v[4:5], v[90:91], 2, v[4:5]
	global_load_dword v1, v[4:5], off
	s_load_dwordx8 s[4:11], s[0:1], 0x30
	s_load_dwordx2 s[16:17], s[0:1], 0x10
	s_waitcnt lgkmcnt(0)
	s_lshl_b32 s11, s2, 7
	v_mov_b32_e32 v90, v91
	v_mov_b32_e32 v53, v91
	s_cmpk_lt_i32 s5, 0x100
	v_mov_b32_e32 v52, v91
	s_cbranch_scc1 .LBB194_17
; %bb.3:
	s_load_dwordx4 s[12:15], s[0:1], 0x0
	s_ashr_i32 s0, s5, 31
	s_lshr_b32 s0, s0, 24
	s_add_i32 s0, s5, s0
	s_ashr_i32 s24, s0, 8
	s_ashr_i32 s0, s8, 31
	s_lshr_b32 s0, s0, 27
	s_add_i32 s0, s8, s0
	s_ashr_i32 s8, s0, 5
	s_not_b32 s0, s11
	v_lshlrev_b32_e32 v4, 1, v0
	v_and_b32_e32 v5, 7, v0
	s_add_i32 s2, s6, s0
	v_and_or_b32 v4, v4, 48, v5
	s_mul_i32 s18, s3, s4
	v_min_i32_e32 v5, s2, v2
	v_lshlrev_b32_e32 v4, 2, v4
	s_movk_i32 s3, 0x104
	v_mul_lo_u32 v6, v5, s24
	v_mad_u64_u32 v[20:21], s[0:1], v5, s3, v[4:5]
	v_add_u32_e32 v5, 8, v2
	v_min_i32_e32 v5, s2, v5
	v_mul_lo_u32 v10, v5, s24
	v_mad_u64_u32 v[22:23], s[0:1], v5, s3, v[4:5]
	v_add_u32_e32 v5, 16, v2
	v_min_i32_e32 v5, s2, v5
	;; [unrolled: 4-line block ×14, first 2 shown]
	v_mul_lo_u32 v47, v5, s24
	v_mad_u64_u32 v[48:49], s[0:1], v5, s3, v[4:5]
	v_add_u32_e32 v5, 0x78, v2
	v_and_b32_e32 v18, 0x3ff, v0
	v_min_i32_e32 v5, s2, v5
	v_mad_u64_u32 v[50:51], s[0:1], v5, s3, v[4:5]
	v_lshl_add_u32 v4, v2, 5, v18
	v_and_b32_e32 v4, 0x7f, v4
	v_min_i32_e32 v4, s2, v4
	v_mul_lo_u32 v49, v5, s24
	v_ashrrev_i32_e32 v5, 31, v4
	v_lshrrev_b32_e32 v5, 27, v5
	v_add_u32_e32 v5, v4, v5
	v_ashrrev_i32_e32 v5, 5, v5
	v_mul_lo_u32 v51, v4, s24
	v_lshlrev_b32_e32 v5, 2, v5
	v_lshlrev_b32_e32 v4, 2, v4
	s_mov_b32 s6, 0x8e40
	v_and_b32_e32 v93, 3, v0
	v_bfe_u32 v92, v0, 2, 8
	v_add3_u32 v21, v5, v4, s6
	v_add_u32_e32 v5, 0xfe, v93
	v_lshl_add_u32 v4, v2, 3, v92
	v_and_b32_e32 v5, 0xff, v5
	v_cmp_gt_u32_e32 vcc, 2, v93
	v_lshlrev_b32_e32 v7, 2, v93
	s_mov_b32 s0, 0x8200
	v_cndmask_b32_e32 v94, v5, v93, vcc
	v_and_b32_e32 v5, 0x7f, v4
	v_min_i32_e32 v98, s2, v5
	v_ashrrev_i32_e32 v5, 31, v98
	v_lshrrev_b32_e32 v5, 29, v5
	v_add_u32_e32 v5, v98, v5
	v_ashrrev_i32_e32 v5, 3, v5
	v_lshlrev_b32_e32 v5, 2, v5
	v_add3_u32 v99, v5, v7, s0
	v_mov_b32_e32 v5, 0x7f
	v_bitop3_b32 v4, v4, 64, v5 bitop3:0x6c
	v_min_i32_e32 v102, s2, v4
	v_ashrrev_i32_e32 v4, 31, v102
	v_lshrrev_b32_e32 v4, 29, v4
	v_add_u32_e32 v4, v102, v4
	v_ashrrev_i32_e32 v4, 3, v4
	v_lshlrev_b32_e32 v19, 2, v18
	v_lshlrev_b32_e32 v4, 2, v4
	v_bfe_u32 v23, v0, 3, 7
	v_add3_u32 v103, v4, v7, s0
	v_add_u32_e32 v4, v23, v19
	v_mov_b32_e32 v5, 0x8200
	v_lshl_add_u32 v25, v4, 2, v5
	v_add_u32_e32 v4, 32, v18
	v_lshrrev_b32_e32 v27, 3, v4
	v_lshl_add_u32 v4, v4, 2, v27
	v_lshl_add_u32 v29, v4, 2, v5
	v_add_u32_e32 v4, 64, v18
	v_lshrrev_b32_e32 v106, 3, v4
	v_lshl_add_u32 v4, v4, 2, v106
	s_abs_i32 s2, s10
	v_lshl_add_u32 v31, v4, 2, v5
	v_cvt_f32_u32_e32 v4, s2
	v_add_u32_e32 v7, 0x60, v18
	v_lshrrev_b32_e32 v107, 3, v7
	s_sub_i32 s0, 0, s2
	v_rcp_iflag_f32_e32 v4, v4
	v_lshl_add_u32 v7, v7, 2, v107
	v_lshl_add_u32 v33, v7, 2, v5
	s_waitcnt vmcnt(0)
	v_sub_u32_e32 v7, 0, v1
	v_mul_f32_e32 v4, 0x4f7ffffe, v4
	v_cvt_u32_f32_e32 v4, v4
	v_max_i32_e32 v7, v1, v7
	v_xor_b32_e32 v5, s10, v1
	v_ashrrev_i32_e32 v5, 31, v5
	v_mul_lo_u32 v8, s0, v4
	v_mul_hi_u32 v8, v4, v8
	v_add_u32_e32 v4, v4, v8
	v_mul_hi_u32 v4, v7, v4
	v_mul_lo_u32 v8, v4, s2
	v_sub_u32_e32 v7, v7, v8
	v_add_u32_e32 v8, 1, v4
	v_cmp_le_u32_e64 s[0:1], s2, v7
	s_mul_i32 s4, s24, s11
	v_cmp_ne_u32_e32 vcc, 0, v93
	v_cndmask_b32_e64 v4, v4, v8, s[0:1]
	v_subrev_u32_e32 v8, s2, v7
	v_cndmask_b32_e64 v7, v7, v8, s[0:1]
	v_add_u32_e32 v8, 1, v4
	v_cmp_le_u32_e64 s[0:1], s2, v7
	v_addc_co_u32_e32 v88, vcc, 0, v94, vcc
	s_nop 0
	v_cndmask_b32_e64 v4, v4, v8, s[0:1]
	v_xor_b32_e32 v4, v4, v5
	v_sub_u32_e32 v134, v4, v5
	s_mul_hi_i32 s3, s4, 0xb0
	s_mul_i32 s2, s4, 0xb0
	v_bfe_u32 v3, v0, 5, 5
	v_cmp_gt_u32_e32 vcc, 4, v18
	v_cmp_gt_i32_e64 s[0:1], s7, v134
	s_movk_i32 s25, 0xb0
	v_mov_b64_e32 v[4:5], s[2:3]
	s_ashr_i32 s19, s18, 31
	s_and_b64 s[20:21], vcc, s[0:1]
	v_mad_u64_u32 v[4:5], s[22:23], v3, s25, v[4:5]
	v_lshlrev_b32_e32 v3, 2, v3
	v_mad_i64_i32 v[80:81], s[22:23], v45, s25, v[4:5]
	s_waitcnt lgkmcnt(0)
	s_add_u32 s2, s12, s2
	v_add3_u32 v45, v3, v19, s6
	v_and_b32_e32 v3, 60, v27
	v_and_b32_e32 v52, 0x7c, v19
	v_mov_b32_e32 v53, 0
	v_mad_i64_i32 v[6:7], s[22:23], v6, s25, v[4:5]
	v_mad_i64_i32 v[10:11], s[22:23], v10, s25, v[4:5]
	;; [unrolled: 1-line block ×15, first 2 shown]
	s_addc_u32 s3, s13, s3
	v_mul_lo_u32 v35, v98, s24
	v_add3_u32 v47, v19, v3, s6
	v_and_b32_e32 v3, 60, v106
	v_lshl_add_u64 v[8:9], v[6:7], 0, v[52:53]
	v_lshl_add_u64 v[12:13], v[10:11], 0, v[52:53]
	;; [unrolled: 1-line block ×15, first 2 shown]
	v_mov_b64_e32 v[54:55], s[2:3]
	v_lshl_add_u64 v[124:125], v[4:5], 0, v[52:53]
	v_lshlrev_b32_e32 v52, 2, v88
	v_mad_i64_i32 v[88:89], s[2:3], v35, s25, 0
	v_mov_b32_e32 v35, 0xb0
	v_mul_lo_u32 v37, v102, s24
	v_add3_u32 v49, v19, v3, s6
	v_and_b32_e32 v3, 60, v107
	v_mad_i64_i32 v[54:55], s[2:3], v51, s25, v[54:55]
	v_mad_i64_i32 v[128:129], s[2:3], s4, v35, v[88:89]
	v_mad_i64_i32 v[88:89], s[2:3], v37, s25, 0
	v_add3_u32 v51, v19, v3, s6
	v_mov_b32_e32 v3, 0x8a40
	v_mad_i64_i32 v[132:133], s[2:3], s4, v35, v[88:89]
	v_and_b32_e32 v88, 28, v19
	v_mov_b32_e32 v89, v53
	v_lshl_add_u32 v155, v2, 7, v3
	v_and_b32_e32 v3, 31, v0
	v_lshl_add_u32 v156, v3, 2, v155
	v_lshlrev_b32_e32 v157, 4, v2
	v_lshl_add_u64 v[2:3], v[6:7], 0, v[88:89]
	v_and_b32_e32 v95, 4, v19
	v_cmp_lt_u32_e64 s[2:3], 1, v93
	v_lshl_add_u64 v[2:3], s[12:13], 0, v[2:3]
	v_lshlrev_b32_e32 v35, 4, v98
	v_cndmask_b32_e64 v41, 0, v95, s[2:3]
	v_lshlrev_b32_e32 v43, 1, v94
	v_lshl_add_u64 v[6:7], v[10:11], 0, v[88:89]
	v_lshl_add_u64 v[94:95], v[60:61], 0, v[88:89]
	;; [unrolled: 1-line block ×4, first 2 shown]
	v_add_u32_e32 v35, v99, v35
	v_lshlrev_b32_e32 v37, 4, v102
	v_lshl_add_u64 v[98:99], v[62:63], 0, v[88:89]
	v_lshl_add_u64 v[62:63], v[2:3], 0, 48
	v_lshl_add_u64 v[2:3], s[12:13], 0, v[6:7]
	v_add_u32_e32 v37, v103, v37
	v_lshl_add_u64 v[10:11], v[14:15], 0, v[88:89]
	v_lshl_add_u64 v[102:103], v[64:65], 0, v[88:89]
	;; [unrolled: 1-line block ×14, first 2 shown]
	v_and_b32_e32 v39, 6, v92
	v_lshl_add_u64 v[92:93], v[58:59], 0, v[88:89]
	v_lshl_add_u64 v[118:119], v[72:73], 0, v[88:89]
	;; [unrolled: 1-line block ×58, first 2 shown]
	v_cndmask_b32_e64 v2, 0, 1, s[2:3]
	v_lshlrev_b32_e32 v4, 2, v2
	v_or_b32_e32 v2, v128, v4
	v_mov_b32_e32 v3, v129
	v_lshl_add_u64 v[2:3], s[12:13], 0, v[2:3]
	v_lshl_add_u64 v[126:127], v[2:3], 0, 4
	;; [unrolled: 1-line block ×5, first 2 shown]
	v_or_b32_e32 v2, v132, v4
	v_mov_b32_e32 v3, v133
	v_lshl_add_u64 v[2:3], s[12:13], 0, v[2:3]
	v_lshl_add_u64 v[130:131], v[2:3], 0, 4
	;; [unrolled: 1-line block ×3, first 2 shown]
	v_mul_lo_u32 v58, v134, s8
	v_lshl_add_u64 v[2:3], s[12:13], 0, v[2:3]
	v_add_u32_e32 v154, 0x9050, v19
	v_ashrrev_i32_e32 v59, 31, v58
	v_lshl_add_u64 v[132:133], v[2:3], 0, 4
	s_movk_i32 s4, 0x80
	s_mov_b32 s6, 0x10101010
	s_mov_b32 s25, 0x30303030
	s_mov_b64 s[12:13], 0xb0
	v_mov_b32_e32 v52, v53
	v_mov_b32_e32 v90, v53
	;; [unrolled: 1-line block ×3, first 2 shown]
	v_or_b32_e32 v158, 1, v39
	v_mul_u32_u24_e32 v159, 0x104, v18
	s_branch .LBB194_6
.LBB194_4:                              ;   in Loop: Header=BB194_6 Depth=1
	s_or_b64 exec, exec, s[22:23]
	s_waitcnt lgkmcnt(0)
	s_barrier
	ds_read_b128 v[14:17], v155
	ds_read_b128 v[10:13], v155 offset:16
	ds_read2_b32 v[134:135], v159 offset0:32 offset1:33
	ds_read_b128 v[6:9], v155 offset:32
	ds_read_b128 v[2:5], v155 offset:48
	ds_read_b32 v19, v45
	ds_read_b128 v[160:163], v157 offset:36944
	ds_read2_b32 v[136:137], v159 offset0:34 offset1:35
	v_mov_b32_e32 v150, 0
	s_waitcnt lgkmcnt(5)
	v_dot4c_i32_i8_e32 v150, v134, v14
	v_dot4c_i32_i8_e32 v150, v135, v15
	ds_read2_b32 v[134:135], v159 offset0:36 offset1:37
	ds_read2_b32 v[138:139], v159 offset0:38 offset1:39
	;; [unrolled: 1-line block ×3, first 2 shown]
	s_waitcnt lgkmcnt(3)
	v_dot4c_i32_i8_e32 v150, v136, v16
	v_dot4c_i32_i8_e32 v150, v137, v17
	s_waitcnt lgkmcnt(2)
	v_dot4c_i32_i8_e32 v150, v134, v10
	v_dot4c_i32_i8_e32 v150, v135, v11
	ds_read2_b32 v[134:135], v159 offset0:42 offset1:43
	v_mov_b32_e32 v153, 0
	s_waitcnt lgkmcnt(1)
	v_dot4c_i32_i8_e32 v153, v140, v6
	v_dot4c_i32_i8_e32 v153, v141, v7
	;; [unrolled: 1-line block ×3, first 2 shown]
	s_waitcnt lgkmcnt(0)
	v_dot4c_i32_i8_e32 v153, v134, v8
	v_add_u32_e32 v134, 0x2100, v159
	v_dot4c_i32_i8_e32 v150, v139, v13
	ds_read2_b32 v[136:137], v159 offset0:44 offset1:45
	ds_read2_b32 v[138:139], v159 offset0:46 offset1:47
	;; [unrolled: 1-line block ×3, first 2 shown]
	v_dot4c_i32_i8_e32 v153, v135, v9
	ds_read2_b32 v[134:135], v134 offset1:1
	v_mov_b32_e32 v165, 0
	ds_read_b32 v182, v47 offset:128
	ds_read_b32 v151, v49 offset:256
	;; [unrolled: 1-line block ×3, first 2 shown]
	s_waitcnt lgkmcnt(6)
	v_dot4c_i32_i8_e32 v153, v136, v2
	v_dot4c_i32_i8_e32 v153, v137, v3
	s_waitcnt lgkmcnt(3)
	v_dot4c_i32_i8_e32 v165, v134, v14
	v_add_u32_e32 v134, 0x2108, v159
	v_dot4c_i32_i8_e32 v165, v135, v15
	ds_read2_b32 v[134:135], v134 offset1:1
	v_dot4c_i32_i8_e32 v153, v138, v4
	v_add_u32_e32 v136, 0x2110, v159
	v_add_u32_e32 v138, 0x2118, v159
	;; [unrolled: 1-line block ×3, first 2 shown]
	v_dot4c_i32_i8_e32 v153, v139, v5
	ds_read2_b32 v[136:137], v136 offset1:1
	ds_read2_b32 v[138:139], v138 offset1:1
	;; [unrolled: 1-line block ×3, first 2 shown]
	s_waitcnt lgkmcnt(3)
	v_dot4c_i32_i8_e32 v165, v134, v16
	v_add_u32_e32 v134, 0x2128, v159
	v_dot4c_i32_i8_e32 v165, v135, v17
	ds_read2_b32 v[134:135], v134 offset1:1
	s_waitcnt lgkmcnt(3)
	v_dot4c_i32_i8_e32 v165, v136, v10
	v_dot4c_i32_i8_e32 v165, v137, v11
	v_mov_b32_e32 v176, 0
	s_waitcnt lgkmcnt(2)
	v_dot4c_i32_i8_e32 v165, v138, v12
	s_waitcnt lgkmcnt(1)
	v_dot4c_i32_i8_e32 v176, v142, v6
	v_add_u32_e32 v136, 0x2130, v159
	v_add_u32_e32 v138, 0x2138, v159
	;; [unrolled: 1-line block ×3, first 2 shown]
	v_dot4c_i32_i8_e32 v165, v139, v13
	v_dot4c_i32_i8_e32 v176, v143, v7
	ds_read2_b32 v[136:137], v136 offset1:1
	ds_read2_b32 v[138:139], v138 offset1:1
	;; [unrolled: 1-line block ×3, first 2 shown]
	s_waitcnt lgkmcnt(3)
	v_dot4c_i32_i8_e32 v176, v134, v8
	v_add_u32_e32 v134, 0x4188, v159
	v_dot4c_i32_i8_e32 v176, v135, v9
	ds_read2_b32 v[134:135], v134 offset1:1
	s_waitcnt lgkmcnt(3)
	v_dot4c_i32_i8_e32 v176, v136, v2
	v_dot4c_i32_i8_e32 v176, v137, v3
	v_mov_b32_e32 v146, 0
	s_waitcnt lgkmcnt(2)
	v_dot4c_i32_i8_e32 v176, v138, v4
	s_waitcnt lgkmcnt(1)
	v_dot4c_i32_i8_e32 v146, v142, v14
	v_add_u32_e32 v136, 0x4190, v159
	v_add_u32_e32 v144, 0x41a0, v159
	v_dot4c_i32_i8_e32 v176, v139, v5
	v_dot4c_i32_i8_e32 v146, v143, v15
	v_add_u32_e32 v137, 0x4198, v159
	ds_read2_b32 v[138:139], v136 offset1:1
	ds_read2_b32 v[142:143], v137 offset1:1
	;; [unrolled: 1-line block ×3, first 2 shown]
	s_waitcnt lgkmcnt(3)
	v_dot4c_i32_i8_e32 v146, v134, v16
	ds_read2_b32 v[136:137], v31 offset0:1 offset1:3
	v_dot4c_i32_i8_e32 v146, v135, v17
	s_waitcnt lgkmcnt(3)
	v_dot4c_i32_i8_e32 v146, v138, v10
	v_add_u32_e32 v138, 0x41a8, v159
	v_dot4c_i32_i8_e32 v146, v139, v11
	ds_read2_b32 v[138:139], v138 offset1:1
	s_waitcnt lgkmcnt(3)
	v_dot4c_i32_i8_e32 v146, v142, v12
	v_dot4c_i32_i8_e32 v146, v143, v13
	s_waitcnt lgkmcnt(1)
	v_and_b32_e32 v134, 0xff, v136
	v_mov_b32_e32 v148, 0
	v_dot4c_i32_i8_e32 v148, v144, v6
	v_mul_lo_u32 v134, v146, v134
	v_add_u32_e32 v142, 0x41b0, v159
	v_add_u32_e32 v144, 0x41b8, v159
	;; [unrolled: 1-line block ×3, first 2 shown]
	v_dot4c_i32_i8_e32 v148, v145, v7
	ds_read2_b32 v[142:143], v142 offset1:1
	ds_read2_b32 v[144:145], v144 offset1:1
	;; [unrolled: 1-line block ×3, first 2 shown]
	s_waitcnt lgkmcnt(3)
	v_dot4c_i32_i8_e32 v148, v138, v8
	v_dot4c_i32_i8_e32 v148, v139, v9
	s_waitcnt lgkmcnt(2)
	v_dot4c_i32_i8_e32 v148, v142, v2
	v_dot4c_i32_i8_e32 v148, v143, v3
	v_mov_b32_e32 v177, 0
	s_waitcnt lgkmcnt(1)
	v_dot4c_i32_i8_e32 v148, v144, v4
	s_waitcnt lgkmcnt(0)
	v_dot4c_i32_i8_e32 v177, v146, v14
	v_add_u32_e32 v14, 0x6208, v159
	v_add_u32_e32 v142, 0x6210, v159
	;; [unrolled: 1-line block ×4, first 2 shown]
	v_dot4c_i32_i8_e32 v148, v145, v5
	v_dot4c_i32_i8_e32 v177, v147, v15
	ds_read2_b32 v[14:15], v14 offset1:1
	ds_read2_b32 v[142:143], v142 offset1:1
	;; [unrolled: 1-line block ×4, first 2 shown]
	v_mov_b32_e32 v178, 0
	v_mov_b32_e32 v184, 0
	v_bfe_u32 v138, v136, 8, 8
	s_waitcnt lgkmcnt(3)
	v_dot4c_i32_i8_e32 v177, v14, v16
	s_waitcnt lgkmcnt(0)
	v_dot4c_i32_i8_e32 v178, v146, v6
	v_add_u32_e32 v6, 0x6228, v159
	v_dot4c_i32_i8_e32 v177, v15, v17
	v_dot4c_i32_i8_e32 v178, v147, v7
	ds_read2_b32 v[6:7], v6 offset1:1
	v_dot4c_i32_i8_e32 v177, v142, v10
	v_dot4c_i32_i8_e32 v177, v143, v11
	;; [unrolled: 1-line block ×3, first 2 shown]
	v_add_u32_e32 v10, 0x6230, v159
	v_add_u32_e32 v12, 0x6238, v159
	v_dot4c_i32_i8_e32 v177, v145, v13
	v_add_u32_e32 v14, 0x6240, v159
	ds_read2_b32 v[10:11], v10 offset1:1
	ds_read2_b32 v[12:13], v12 offset1:1
	;; [unrolled: 1-line block ×3, first 2 shown]
	s_waitcnt lgkmcnt(3)
	v_dot4c_i32_i8_e32 v178, v6, v8
	v_dot4c_i32_i8_e32 v178, v7, v9
	s_waitcnt lgkmcnt(2)
	v_dot4c_i32_i8_e32 v178, v10, v2
	v_dot4c_i32_i8_e32 v178, v11, v3
	;; [unrolled: 3-line block ×3, first 2 shown]
	ds_read_b128 v[14:17], v155 offset:64
	ds_read_b128 v[10:13], v155 offset:80
	;; [unrolled: 1-line block ×4, first 2 shown]
	ds_read2_b32 v[142:143], v159 offset0:50 offset1:51
	s_waitcnt lgkmcnt(4)
	v_dot4c_i32_i8_e32 v184, v140, v14
	v_dot4c_i32_i8_e32 v184, v141, v15
	ds_read2_b32 v[140:141], v159 offset0:52 offset1:53
	ds_read2_b32 v[144:145], v159 offset0:54 offset1:55
	ds_read2_b32 v[166:167], v159 offset0:56 offset1:57
	v_mul_lo_u32 v138, v148, v138
	s_waitcnt lgkmcnt(3)
	v_dot4c_i32_i8_e32 v184, v142, v16
	v_mov_b32_e32 v142, 0
	v_dot4c_i32_i8_e32 v142, v146, v14
	v_add_u32_e32 v146, 0x6248, v159
	v_dot4c_i32_i8_e32 v184, v143, v17
	v_dot4c_i32_i8_e32 v142, v147, v15
	ds_read2_b32 v[146:147], v146 offset1:1
	s_waitcnt lgkmcnt(3)
	v_dot4c_i32_i8_e32 v184, v140, v10
	v_dot4c_i32_i8_e32 v184, v141, v11
	v_cvt_f32_f16_e32 v148, v149
	v_cvt_f32_f16_sdwa v164, v149 dst_sel:DWORD dst_unused:UNUSED_PAD src0_sel:WORD_1
	s_waitcnt lgkmcnt(2)
	v_dot4c_i32_i8_e32 v184, v144, v12
	v_add_u32_e32 v149, 0x6250, v159
	v_dot4c_i32_i8_e32 v184, v145, v13
	v_cvt_f32_f16_e32 v145, v162
	v_cvt_f32_f16_e32 v144, v160
	v_cvt_f32_f16_sdwa v141, v162 dst_sel:DWORD dst_unused:UNUSED_PAD src0_sel:WORD_1
	v_cvt_f32_f16_sdwa v140, v160 dst_sel:DWORD dst_unused:UNUSED_PAD src0_sel:WORD_1
	v_add_u32_e32 v160, 0x6258, v159
	v_add_u32_e32 v162, 0x6260, v159
	ds_read2_b32 v[168:169], v149 offset1:1
	ds_read2_b32 v[170:171], v160 offset1:1
	;; [unrolled: 1-line block ×3, first 2 shown]
	s_waitcnt lgkmcnt(3)
	v_dot4c_i32_i8_e32 v142, v146, v16
	ds_read2_b32 v[174:175], v33 offset0:1 offset1:3
	v_dot4c_i32_i8_e32 v142, v147, v17
	s_waitcnt lgkmcnt(3)
	v_dot4c_i32_i8_e32 v142, v168, v10
	v_dot4c_i32_i8_e32 v142, v169, v11
	s_waitcnt lgkmcnt(2)
	v_dot4c_i32_i8_e32 v142, v170, v12
	v_dot4c_i32_i8_e32 v142, v171, v13
	s_waitcnt lgkmcnt(0)
	v_and_b32_e32 v146, 0xff, v174
	v_bfe_u32 v147, v174, 16, 8
	v_mul_lo_u32 v146, v177, v146
	v_mul_lo_u32 v142, v142, v147
	v_add_u32_e32 v162, 0x6268, v159
	v_cvt_f32_f16_e32 v143, v163
	v_cvt_f32_i32_e32 v169, v142
	v_cvt_f32_i32_e32 v168, v146
	v_cvt_f32_f16_sdwa v147, v163 dst_sel:DWORD dst_unused:UNUSED_PAD src0_sel:WORD_1
	ds_read2_b32 v[162:163], v162 offset1:1
	v_mov_b32_e32 v185, 0
	v_mov_b32_e32 v149, 0
	v_dot4c_i32_i8_e32 v185, v166, v6
	v_dot4c_i32_i8_e32 v149, v172, v6
	v_add_u32_e32 v166, 0x6270, v159
	v_add_u32_e32 v170, 0x6278, v159
	v_add_u32_e32 v172, 0x2140, v159
	v_cvt_f32_f16_e32 v142, v161
	v_cvt_f32_f16_sdwa v146, v161 dst_sel:DWORD dst_unused:UNUSED_PAD src0_sel:WORD_1
	v_pk_fma_f32 v[160:161], v[144:145], v[168:169], 0 op_sel_hi:[1,1,0]
	v_dot4c_i32_i8_e32 v149, v173, v7
	ds_read2_b32 v[168:169], v166 offset1:1
	ds_read2_b32 v[170:171], v170 offset1:1
	;; [unrolled: 1-line block ×3, first 2 shown]
	s_waitcnt lgkmcnt(3)
	v_dot4c_i32_i8_e32 v149, v162, v8
	v_dot4c_i32_i8_e32 v149, v163, v9
	s_waitcnt lgkmcnt(2)
	v_dot4c_i32_i8_e32 v149, v168, v2
	v_dot4c_i32_i8_e32 v149, v169, v3
	;; [unrolled: 3-line block ×3, first 2 shown]
	v_lshrrev_b32_e32 v162, 24, v174
	v_bfe_u32 v163, v174, 8, 8
	v_mul_lo_u32 v166, v178, v163
	v_mul_lo_u32 v149, v149, v162
	v_cvt_f32_i32_e32 v163, v149
	v_cvt_f32_i32_e32 v162, v166
	v_cvt_f32_ubyte2_e32 v169, v175
	v_cvt_f32_ubyte0_e32 v168, v175
	v_pk_fma_f32 v[168:169], v[140:141], v[168:169], 0 op_sel_hi:[1,1,0]
	v_pk_fma_f32 v[160:161], v[142:143], v[162:163], v[160:161]
	v_cvt_f32_ubyte3_e32 v163, v175
	v_cvt_f32_ubyte1_e32 v162, v175
	v_pk_fma_f32 v[162:163], v[146:147], v[162:163], v[168:169]
	ds_read2_b32 v[168:169], v25 offset0:1 offset1:3
	ds_read2_b32 v[170:171], v29 offset0:1 offset1:3
	v_pk_mul_f32 v[162:163], v[162:163], v[164:165] op_sel_hi:[1,0]
	v_cvt_f32_f16_e32 v175, v182
	v_pk_fma_f32 v[148:149], v[160:161], v[148:149], v[162:163] op_sel_hi:[1,0,1] neg_lo:[0,0,1] neg_hi:[0,0,1]
	s_waitcnt lgkmcnt(1)
	v_and_b32_e32 v161, 0xff, v168
	s_waitcnt lgkmcnt(0)
	v_and_b32_e32 v160, 0xff, v170
	v_mul_lo_u32 v150, v150, v161
	v_mul_lo_u32 v160, v165, v160
	v_cvt_f32_i32_e32 v161, v160
	v_cvt_f32_i32_e32 v160, v150
	v_bfe_u32 v150, v170, 8, 8
	v_bfe_u32 v164, v168, 8, 8
	v_mul_lo_u32 v153, v153, v164
	v_mul_lo_u32 v150, v176, v150
	v_cvt_f32_i32_e32 v165, v150
	v_cvt_f32_i32_e32 v164, v153
	v_cvt_f32_f16_sdwa v183, v182 dst_sel:DWORD dst_unused:UNUSED_PAD src0_sel:WORD_1
	v_cvt_f32_f16_sdwa v182, v19 dst_sel:DWORD dst_unused:UNUSED_PAD src0_sel:WORD_1
	v_cvt_f32_ubyte0_e32 v163, v171
	v_cvt_f32_ubyte0_e32 v162, v169
	v_cvt_f32_f16_e32 v174, v19
	v_dot4c_i32_i8_e32 v185, v167, v7
	v_cvt_f32_ubyte1_e32 v167, v171
	v_cvt_f32_ubyte1_e32 v166, v169
	v_pk_fma_f32 v[162:163], v[140:141], v[162:163], 0 op_sel_hi:[0,1,0]
	v_pk_fma_f32 v[160:161], v[144:145], v[160:161], 0 op_sel_hi:[0,1,0]
	;; [unrolled: 1-line block ×4, first 2 shown]
	v_pk_mul_f32 v[162:163], v[162:163], v[182:183]
	v_add_u32_e32 v150, 0x2148, v159
	v_pk_fma_f32 v[160:161], v[160:161], v[174:175], v[162:163] neg_lo:[0,0,1] neg_hi:[0,0,1]
	ds_read2_b32 v[176:177], v159 offset0:58 offset1:59
	ds_read2_b32 v[178:179], v159 offset0:60 offset1:61
	;; [unrolled: 1-line block ×3, first 2 shown]
	v_pk_add_f32 v[52:53], v[52:53], v[160:161]
	ds_read2_b32 v[160:161], v150 offset1:1
	v_mov_b32_e32 v19, 0
	v_dot4c_i32_i8_e32 v19, v172, v14
	v_add_u32_e32 v150, 0x2150, v159
	v_add_u32_e32 v166, 0x2160, v159
	v_dot4c_i32_i8_e32 v19, v173, v15
	v_add_u32_e32 v153, 0x2158, v159
	ds_read2_b32 v[162:163], v150 offset1:1
	ds_read2_b32 v[164:165], v153 offset1:1
	;; [unrolled: 1-line block ×3, first 2 shown]
	s_waitcnt lgkmcnt(3)
	v_dot4c_i32_i8_e32 v19, v160, v16
	v_dot4c_i32_i8_e32 v19, v161, v17
	s_waitcnt lgkmcnt(2)
	v_dot4c_i32_i8_e32 v19, v162, v10
	v_dot4c_i32_i8_e32 v19, v163, v11
	s_waitcnt lgkmcnt(1)
	v_dot4c_i32_i8_e32 v19, v164, v12
	v_dot4c_i32_i8_e32 v19, v165, v13
	v_bfe_u32 v150, v170, 16, 8
	v_bfe_u32 v153, v168, 16, 8
	v_mul_lo_u32 v153, v184, v153
	v_mul_lo_u32 v19, v19, v150
	v_cvt_f32_i32_e32 v161, v19
	v_cvt_f32_i32_e32 v160, v153
	v_mov_b32_e32 v150, v145
	v_mov_b32_e32 v19, 0
	v_dot4c_i32_i8_e32 v185, v176, v8
	v_pk_fma_f32 v[160:161], v[150:151], v[160:161], 0 op_sel_hi:[0,1,0]
	v_add_u32_e32 v150, 0x2168, v159
	ds_read2_b32 v[164:165], v150 offset1:1
	s_waitcnt lgkmcnt(1)
	v_dot4c_i32_i8_e32 v19, v166, v6
	v_add_u32_e32 v150, 0x2170, v159
	v_lshrrev_b32_e32 v186, 24, v168
	v_dot4c_i32_i8_e32 v185, v177, v9
	v_dot4c_i32_i8_e32 v19, v167, v7
	v_add_u32_e32 v153, 0x2178, v159
	v_add_u32_e32 v168, 0x41c0, v159
	ds_read2_b32 v[166:167], v150 offset1:1
	ds_read2_b32 v[172:173], v153 offset1:1
	;; [unrolled: 1-line block ×3, first 2 shown]
	s_waitcnt lgkmcnt(3)
	v_dot4c_i32_i8_e32 v19, v164, v8
	v_dot4c_i32_i8_e32 v19, v165, v9
	;; [unrolled: 1-line block ×3, first 2 shown]
	s_waitcnt lgkmcnt(2)
	v_dot4c_i32_i8_e32 v19, v166, v2
	v_dot4c_i32_i8_e32 v185, v179, v3
	;; [unrolled: 1-line block ×4, first 2 shown]
	s_waitcnt lgkmcnt(1)
	v_dot4c_i32_i8_e32 v19, v172, v4
	v_lshrrev_b32_e32 v187, 24, v170
	v_dot4c_i32_i8_e32 v185, v181, v5
	v_dot4c_i32_i8_e32 v19, v173, v5
	v_cvt_f32_ubyte2_e32 v163, v171
	v_cvt_f32_ubyte2_e32 v162, v169
	v_mul_lo_u32 v150, v185, v186
	v_mul_lo_u32 v19, v19, v187
	v_cvt_f32_i32_e32 v165, v19
	v_cvt_f32_i32_e32 v164, v150
	v_mov_b32_e32 v150, v141
	v_pk_fma_f32 v[162:163], v[150:151], v[162:163], 0 op_sel_hi:[0,1,0]
	v_mov_b32_e32 v150, v143
	v_pk_fma_f32 v[160:161], v[150:151], v[164:165], v[160:161] op_sel_hi:[0,1,1]
	v_cvt_f32_ubyte3_e32 v165, v171
	v_cvt_f32_ubyte3_e32 v164, v169
	v_mov_b32_e32 v150, v147
	v_mov_b32_e32 v19, 0
	v_pk_fma_f32 v[162:163], v[150:151], v[164:165], v[162:163] op_sel_hi:[0,1,1]
	s_waitcnt lgkmcnt(0)
	v_dot4c_i32_i8_e32 v19, v176, v14
	v_add_u32_e32 v14, 0x41c8, v159
	v_pk_mul_f32 v[162:163], v[162:163], v[182:183]
	v_dot4c_i32_i8_e32 v19, v177, v15
	ds_read2_b32 v[14:15], v14 offset1:1
	v_pk_fma_f32 v[160:161], v[160:161], v[174:175], v[162:163] neg_lo:[0,0,1] neg_hi:[0,0,1]
	v_add_u32_e32 v150, 0x41d0, v159
	v_add_u32_e32 v164, 0x41e0, v159
	v_pk_add_f32 v[52:53], v[52:53], v[160:161]
	v_add_u32_e32 v153, 0x41d8, v159
	ds_read2_b32 v[160:161], v150 offset1:1
	ds_read2_b32 v[162:163], v153 offset1:1
	;; [unrolled: 1-line block ×3, first 2 shown]
	s_waitcnt lgkmcnt(3)
	v_dot4c_i32_i8_e32 v19, v14, v16
	v_dot4c_i32_i8_e32 v19, v15, v17
	v_mov_b32_e32 v16, 0
	s_waitcnt lgkmcnt(2)
	v_dot4c_i32_i8_e32 v19, v160, v10
	s_waitcnt lgkmcnt(0)
	v_dot4c_i32_i8_e32 v16, v164, v6
	v_add_u32_e32 v6, 0x41e8, v159
	v_dot4c_i32_i8_e32 v19, v161, v11
	v_dot4c_i32_i8_e32 v16, v165, v7
	ds_read2_b32 v[6:7], v6 offset1:1
	v_dot4c_i32_i8_e32 v19, v162, v12
	v_add_u32_e32 v12, 0x41f0, v159
	v_dot4c_i32_i8_e32 v19, v163, v13
	ds_read2_b32 v[12:13], v12 offset1:1
	v_add_u32_e32 v14, 0x41f8, v159
	ds_read2_b32 v[14:15], v14 offset1:1
	s_waitcnt lgkmcnt(2)
	v_dot4c_i32_i8_e32 v16, v6, v8
	v_dot4c_i32_i8_e32 v16, v7, v9
	s_waitcnt lgkmcnt(1)
	v_dot4c_i32_i8_e32 v16, v12, v2
	v_cvt_f32_i32_e32 v134, v134
	v_dot4c_i32_i8_e32 v16, v13, v3
	v_cvt_f32_i32_e32 v138, v138
	v_bfe_u32 v10, v136, 16, 8
	s_waitcnt lgkmcnt(0)
	v_dot4c_i32_i8_e32 v16, v14, v4
	v_lshrrev_b32_e32 v152, 24, v136
	v_mul_lo_u32 v10, v19, v10
	v_dot4c_i32_i8_e32 v16, v15, v5
	v_cvt_f32_f16_sdwa v5, v151 dst_sel:DWORD dst_unused:UNUSED_PAD src0_sel:WORD_1
	v_cvt_f32_ubyte0_e32 v135, v137
	v_cvt_f32_i32_e32 v10, v10
	v_mul_lo_u32 v2, v16, v152
	v_cvt_f32_f16_e32 v4, v151
	v_mov_b32_e32 v6, v144
	v_mov_b32_e32 v7, v140
	v_cvt_f32_ubyte1_e32 v139, v137
	v_cvt_f32_i32_e32 v2, v2
	v_pk_fma_f32 v[6:7], v[6:7], v[134:135], 0 op_sel_hi:[1,1,0]
	v_mov_b32_e32 v8, v142
	v_mov_b32_e32 v9, v146
	v_pk_fma_f32 v[6:7], v[8:9], v[138:139], v[6:7]
	v_cvt_f32_ubyte2_e32 v11, v137
	v_mul_f32_e32 v8, v7, v5
	v_mov_b32_e32 v140, v145
	v_cvt_f32_ubyte3_e32 v3, v137
	v_pk_fma_f32 v[6:7], v[6:7], v[4:5], v[8:9] op_sel_hi:[1,1,0] neg_lo:[0,0,1] neg_hi:[0,0,1]
	v_pk_fma_f32 v[8:9], v[140:141], v[10:11], 0 op_sel_hi:[1,1,0]
	v_mov_b32_e32 v146, v143
	v_pk_fma_f32 v[2:3], v[146:147], v[2:3], v[8:9]
	v_mov_b32_e32 v7, v148
	v_mul_f32_e32 v8, v3, v5
	v_pk_fma_f32 v[2:3], v[2:3], v[4:5], v[8:9] op_sel_hi:[1,1,0] neg_lo:[0,0,1] neg_hi:[0,0,1]
	v_pk_add_f32 v[4:5], v[90:91], v[6:7]
	v_mov_b32_e32 v3, v149
	v_pk_add_f32 v[90:91], v[4:5], v[2:3]
	s_barrier
.LBB194_5:                              ;   in Loop: Header=BB194_6 Depth=1
	s_add_i32 s24, s24, -1
	s_addk_i32 s4, 0x100
	v_add_u32_e32 v27, 8, v27
	v_add_u32_e32 v23, 8, v23
	;; [unrolled: 1-line block ×3, first 2 shown]
	v_lshl_add_u64 v[60:61], v[60:61], 0, s[12:13]
	v_lshl_add_u64 v[62:63], v[62:63], 0, s[12:13]
	;; [unrolled: 1-line block ×36, first 2 shown]
	s_cmp_eq_u32 s24, 0
	v_lshl_add_u64 v[132:133], v[132:133], 0, s[12:13]
	s_cbranch_scc1 .LBB194_17
.LBB194_6:                              ; =>This Inner Loop Header: Depth=1
	v_lshl_add_u64 v[2:3], v[62:63], 0, s[18:19]
	global_load_dword v12, v[2:3], off
	v_lshl_add_u64 v[2:3], v[60:61], 0, s[18:19]
	global_load_dword v13, v[2:3], off
	;; [unrolled: 2-line block ×12, first 2 shown]
	v_lshl_add_u64 v[2:3], v[86:87], 0, s[18:19]
	v_lshl_add_u64 v[4:5], v[84:85], 0, s[18:19]
	global_load_dword v139, v[2:3], off
	global_load_dword v140, v[4:5], off
	v_lshl_add_u64 v[6:7], v[92:93], 0, s[18:19]
	v_lshl_add_u64 v[8:9], v[88:89], 0, s[18:19]
	;; [unrolled: 1-line block ×5, first 2 shown]
	global_load_dword v6, v[6:7], off
	s_nop 0
	global_load_dword v7, v[8:9], off
	s_nop 0
	global_load_dword v8, v[2:3], off
	global_load_dword v9, v[10:11], off
	s_nop 0
	global_load_dword v4, v[4:5], off
	s_add_i32 s2, s4, 0xffffff80
	s_cmp_lt_i32 s2, s5
	s_waitcnt vmcnt(18)
	v_lshrrev_b32_e32 v3, 4, v12
	v_and_b32_e32 v2, 0xf0f0f0f, v12
	s_waitcnt vmcnt(17)
	v_ashrrev_i32_e32 v5, v39, v13
	v_ashrrev_i32_e32 v10, v158, v13
	s_waitcnt vmcnt(16)
	v_and_b32_e32 v11, 0xf0f0f0f, v14
	v_lshrrev_b32_e32 v12, 4, v14
	s_waitcnt vmcnt(15)
	v_ashrrev_i32_e32 v13, v39, v15
	v_ashrrev_i32_e32 v14, v158, v15
	s_waitcnt vmcnt(14)
	v_and_b32_e32 v15, 0xf0f0f0f, v16
	v_lshrrev_b32_e32 v16, 4, v16
	;; [unrolled: 6-line block ×3, first 2 shown]
	s_waitcnt vmcnt(11)
	v_ashrrev_i32_e32 v143, v39, v134
	v_ashrrev_i32_e32 v134, v158, v134
	v_and_b32_e32 v3, 0xf0f0f0f, v3
	v_lshlrev_b32_e32 v5, 4, v5
	v_lshlrev_b32_e32 v10, 4, v10
	s_waitcnt vmcnt(10)
	v_and_b32_e32 v144, 0xf0f0f0f, v135
	v_lshrrev_b32_e32 v135, 4, v135
	s_waitcnt vmcnt(9)
	v_ashrrev_i32_e32 v145, v39, v136
	v_ashrrev_i32_e32 v136, v158, v136
	v_and_b32_e32 v12, 0xf0f0f0f, v12
	v_lshlrev_b32_e32 v13, 4, v13
	v_lshlrev_b32_e32 v14, 4, v14
	v_and_b32_e32 v16, 0xf0f0f0f, v16
	v_lshlrev_b32_e32 v141, 4, v141
	v_lshlrev_b32_e32 v17, 4, v17
	;; [unrolled: 3-line block ×3, first 2 shown]
	v_and_or_b32 v2, v5, s6, v2
	v_and_or_b32 v3, v10, s6, v3
	v_and_b32_e32 v135, 0xf0f0f0f, v135
	v_lshlrev_b32_e32 v145, 4, v145
	v_lshlrev_b32_e32 v136, 4, v136
	v_and_or_b32 v5, v13, s6, v11
	v_and_or_b32 v10, v14, s6, v12
	v_and_or_b32 v11, v141, s6, v15
	v_and_or_b32 v12, v17, s6, v16
	v_and_or_b32 v13, v143, s6, v142
	v_and_or_b32 v14, v134, s6, v19
	ds_write2_b32 v20, v2, v3 offset1:8
	ds_write2_b32 v22, v5, v10 offset1:8
	;; [unrolled: 1-line block ×4, first 2 shown]
	v_lshl_add_u64 v[2:3], v[98:99], 0, s[18:19]
	v_and_or_b32 v5, v145, s6, v144
	global_load_dword v10, v[2:3], off
	v_and_or_b32 v2, v136, s6, v135
	ds_write2_b32 v28, v5, v2 offset1:8
	s_waitcnt vmcnt(9)
	v_lshrrev_b32_e32 v2, 4, v137
	v_and_b32_e32 v11, 0xf0f0f0f, v2
	v_lshl_add_u64 v[2:3], v[104:105], 0, s[18:19]
	global_load_dword v12, v[2:3], off
	v_lshl_add_u64 v[2:3], v[102:103], 0, s[18:19]
	s_waitcnt vmcnt(9)
	v_ashrrev_i32_e32 v13, v39, v138
	global_load_dword v14, v[2:3], off
	v_ashrrev_i32_e32 v3, v158, v138
	v_and_b32_e32 v5, 0xf0f0f0f, v137
	v_lshlrev_b32_e32 v2, 4, v13
	v_lshlrev_b32_e32 v3, 4, v3
	v_and_or_b32 v5, v2, s6, v5
	v_and_or_b32 v11, v3, s6, v11
	v_lshl_add_u64 v[2:3], v[108:109], 0, s[18:19]
	global_load_dword v13, v[2:3], off
	v_lshl_add_u64 v[2:3], v[106:107], 0, s[18:19]
	ds_write2_b32 v30, v5, v11 offset1:8
	global_load_dword v5, v[2:3], off
	s_waitcnt vmcnt(11)
	v_lshrrev_b32_e32 v2, 4, v139
	v_and_b32_e32 v15, 0xf0f0f0f, v2
	s_waitcnt vmcnt(10)
	v_ashrrev_i32_e32 v2, v39, v140
	v_lshlrev_b32_e32 v16, 4, v2
	v_lshl_add_u64 v[2:3], v[112:113], 0, s[18:19]
	global_load_dword v17, v[2:3], off
	v_ashrrev_i32_e32 v19, v158, v140
	v_lshl_add_u64 v[2:3], v[110:111], 0, s[18:19]
	v_and_b32_e32 v11, 0xf0f0f0f, v139
	global_load_dword v134, v[2:3], off
	v_lshlrev_b32_e32 v2, 4, v19
	v_and_or_b32 v3, v16, s6, v11
	v_and_or_b32 v2, v2, s6, v15
	ds_write2_b32 v32, v3, v2 offset1:8
	v_lshl_add_u64 v[2:3], v[116:117], 0, s[18:19]
	global_load_dword v15, v[2:3], off
	v_lshl_add_u64 v[2:3], v[114:115], 0, s[18:19]
	global_load_dword v16, v[2:3], off
	s_waitcnt vmcnt(12)
	v_ashrrev_i32_e32 v2, v39, v7
	v_lshlrev_b32_e32 v19, 4, v2
	v_ashrrev_i32_e32 v2, v158, v7
	v_and_b32_e32 v11, 0xf0f0f0f, v6
	v_lshrrev_b32_e32 v6, 4, v6
	v_lshlrev_b32_e32 v7, 4, v2
	v_lshl_add_u64 v[2:3], v[120:121], 0, s[18:19]
	v_and_b32_e32 v6, 0xf0f0f0f, v6
	global_load_dword v135, v[2:3], off
	v_lshl_add_u64 v[2:3], v[118:119], 0, s[18:19]
	v_and_or_b32 v11, v19, s6, v11
	global_load_dword v19, v[2:3], off
	v_and_or_b32 v2, v7, s6, v6
	ds_write2_b32 v34, v11, v2 offset1:8
	s_waitcnt vmcnt(13)
	v_lshrrev_b32_e32 v2, 4, v8
	v_and_b32_e32 v7, 0xf0f0f0f, v2
	v_lshl_add_u64 v[2:3], v[124:125], 0, s[18:19]
	v_and_b32_e32 v6, 0xf0f0f0f, v8
	global_load_dword v8, v[2:3], off
	s_waitcnt vmcnt(13)
	v_ashrrev_i32_e32 v11, v39, v9
	v_lshl_add_u64 v[2:3], v[122:123], 0, s[18:19]
	global_load_dword v136, v[2:3], off
	v_lshlrev_b32_e32 v2, 4, v11
	v_ashrrev_i32_e32 v3, v158, v9
	v_lshlrev_b32_e32 v9, 4, v3
	v_and_or_b32 v6, v2, s6, v6
	v_lshl_add_u64 v[2:3], v[54:55], 0, s[18:19]
	global_load_dword v11, v[2:3], off
	v_lshl_add_u64 v[2:3], v[128:129], 0, s[18:19]
	global_load_dword v137, v[2:3], off
	;; [unrolled: 2-line block ×3, first 2 shown]
	v_lshl_add_u64 v[2:3], v[132:133], 0, s[18:19]
	v_and_or_b32 v7, v9, s6, v7
	global_load_dword v9, v[2:3], off
	v_lshl_add_u64 v[2:3], v[130:131], 0, s[18:19]
	global_load_dword v2, v[2:3], off
	ds_write2_b32 v36, v6, v7 offset1:8
	s_waitcnt vmcnt(18)
	v_and_b32_e32 v3, 0xf0f0f0f, v4
	v_lshrrev_b32_e32 v4, 4, v4
	v_and_b32_e32 v4, 0xf0f0f0f, v4
	s_waitcnt vmcnt(17)
	v_ashrrev_i32_e32 v6, v39, v10
	v_ashrrev_i32_e32 v7, v158, v10
	v_lshlrev_b32_e32 v6, 4, v6
	v_lshlrev_b32_e32 v7, 4, v7
	v_and_or_b32 v3, v6, s6, v3
	v_and_or_b32 v4, v7, s6, v4
	ds_write2_b32 v38, v3, v4 offset1:8
	s_waitcnt vmcnt(16)
	v_lshrrev_b32_e32 v4, 4, v12
	v_and_b32_e32 v3, 0xf0f0f0f, v12
	s_waitcnt vmcnt(15)
	v_ashrrev_i32_e32 v6, v39, v14
	v_ashrrev_i32_e32 v7, v158, v14
	v_and_b32_e32 v4, 0xf0f0f0f, v4
	v_lshlrev_b32_e32 v6, 4, v6
	v_lshlrev_b32_e32 v7, 4, v7
	v_and_or_b32 v3, v6, s6, v3
	v_and_or_b32 v4, v7, s6, v4
	ds_write2_b32 v40, v3, v4 offset1:8
	s_waitcnt vmcnt(14)
	v_lshrrev_b32_e32 v4, 4, v13
	v_and_b32_e32 v3, 0xf0f0f0f, v13
	v_and_b32_e32 v4, 0xf0f0f0f, v4
	s_waitcnt vmcnt(13)
	v_ashrrev_i32_e32 v6, v39, v5
	v_ashrrev_i32_e32 v5, v158, v5
	v_lshlrev_b32_e32 v6, 4, v6
	v_lshlrev_b32_e32 v5, 4, v5
	v_and_or_b32 v3, v6, s6, v3
	v_and_or_b32 v4, v5, s6, v4
	ds_write2_b32 v42, v3, v4 offset1:8
	s_waitcnt vmcnt(12)
	v_lshrrev_b32_e32 v4, 4, v17
	v_and_b32_e32 v3, 0xf0f0f0f, v17
	v_and_b32_e32 v4, 0xf0f0f0f, v4
	s_waitcnt vmcnt(11)
	v_ashrrev_i32_e32 v5, v39, v134
	v_ashrrev_i32_e32 v6, v158, v134
	v_lshlrev_b32_e32 v5, 4, v5
	v_lshlrev_b32_e32 v6, 4, v6
	v_and_or_b32 v3, v5, s6, v3
	v_and_or_b32 v4, v6, s6, v4
	ds_write2_b32 v44, v3, v4 offset1:8
	s_waitcnt vmcnt(10)
	v_lshrrev_b32_e32 v4, 4, v15
	s_waitcnt vmcnt(9)
	v_ashrrev_i32_e32 v5, v39, v16
	v_ashrrev_i32_e32 v6, v158, v16
	v_and_b32_e32 v3, 0xf0f0f0f, v15
	v_and_b32_e32 v4, 0xf0f0f0f, v4
	v_lshlrev_b32_e32 v5, 4, v5
	v_lshlrev_b32_e32 v6, 4, v6
	v_and_or_b32 v3, v5, s6, v3
	v_and_or_b32 v4, v6, s6, v4
	ds_write2_b32 v46, v3, v4 offset1:8
	s_waitcnt vmcnt(8)
	v_lshrrev_b32_e32 v4, 4, v135
	v_and_b32_e32 v3, 0xf0f0f0f, v135
	v_and_b32_e32 v4, 0xf0f0f0f, v4
	s_waitcnt vmcnt(7)
	v_ashrrev_i32_e32 v5, v39, v19
	v_ashrrev_i32_e32 v6, v158, v19
	v_lshlrev_b32_e32 v5, 4, v5
	v_lshlrev_b32_e32 v6, 4, v6
	v_and_or_b32 v3, v5, s6, v3
	v_and_or_b32 v4, v6, s6, v4
	ds_write2_b32 v48, v3, v4 offset1:8
	s_waitcnt vmcnt(6)
	v_lshrrev_b32_e32 v4, 4, v8
	v_and_b32_e32 v3, 0xf0f0f0f, v8
	v_and_b32_e32 v4, 0xf0f0f0f, v4
	s_waitcnt vmcnt(5)
	v_ashrrev_i32_e32 v5, v39, v136
	v_ashrrev_i32_e32 v6, v158, v136
	v_lshlrev_b32_e32 v5, 4, v5
	v_lshlrev_b32_e32 v6, 4, v6
	v_and_or_b32 v3, v5, s6, v3
	v_and_or_b32 v4, v6, s6, v4
	ds_write2_b32 v50, v3, v4 offset1:8
	s_waitcnt vmcnt(4)
	ds_write_b32 v21, v11
	s_waitcnt vmcnt(3)
	v_ashrrev_i32_e32 v3, v41, v137
	v_and_b32_e32 v3, 0xf0f0f0f, v3
	s_waitcnt vmcnt(2)
	v_ashrrev_i32_e32 v4, v43, v138
	v_and_or_b32 v3, v4, s25, v3
	ds_write_b32 v35, v3
	s_waitcnt vmcnt(1)
	v_ashrrev_i32_e32 v3, v41, v9
	v_and_b32_e32 v3, 0xf0f0f0f, v3
	s_waitcnt vmcnt(0)
	v_ashrrev_i32_e32 v2, v43, v2
	v_and_or_b32 v2, v2, s25, v3
	ds_write_b32 v37, v2
	s_cbranch_scc0 .LBB194_5
; %bb.7:                                ;   in Loop: Header=BB194_6 Depth=1
	v_cmp_gt_i32_e64 s[2:3], s8, v23
	s_and_b64 s[22:23], s[0:1], s[2:3]
	s_and_saveexec_b64 s[2:3], s[22:23]
	s_cbranch_execz .LBB194_9
; %bb.8:                                ;   in Loop: Header=BB194_6 Depth=1
	v_add_u32_e32 v2, v58, v23
	v_mad_i64_i32 v[2:3], s[22:23], v2, 36, v[56:57]
	global_load_dword v2, v[2:3], off offset:4
	s_waitcnt vmcnt(0)
	ds_write_b32 v156, v2
.LBB194_9:                              ;   in Loop: Header=BB194_6 Depth=1
	s_or_b64 exec, exec, s[2:3]
	v_cmp_gt_i32_e64 s[2:3], s8, v18
	s_and_b64 s[22:23], s[20:21], s[2:3]
	s_and_saveexec_b64 s[2:3], s[22:23]
	s_cbranch_execz .LBB194_11
; %bb.10:                               ;   in Loop: Header=BB194_6 Depth=1
	v_add_u32_e32 v2, v58, v18
	v_mad_i64_i32 v[2:3], s[22:23], v2, 36, s[14:15]
	global_load_dword v2, v[2:3], off
	v_add_u32_e32 v3, v154, v157
	s_waitcnt vmcnt(0)
	ds_write_b32 v3, v2
.LBB194_11:                             ;   in Loop: Header=BB194_6 Depth=1
	s_or_b64 exec, exec, s[2:3]
	s_waitcnt lgkmcnt(0)
	s_barrier
	ds_read_b128 v[14:17], v155
	ds_read_b128 v[10:13], v155 offset:16
	ds_read2_b32 v[134:135], v159 offset1:1
	ds_read_b128 v[6:9], v155 offset:32
	ds_read_b128 v[2:5], v155 offset:48
	;; [unrolled: 1-line block ×3, first 2 shown]
	ds_read2_b32 v[136:137], v159 offset0:2 offset1:3
	v_mov_b32_e32 v19, 0
	s_waitcnt lgkmcnt(4)
	v_dot4c_i32_i8_e32 v19, v134, v14
	v_dot4c_i32_i8_e32 v19, v135, v15
	ds_read2_b32 v[134:135], v159 offset0:4 offset1:5
	ds_read2_b32 v[138:139], v159 offset0:6 offset1:7
	;; [unrolled: 1-line block ×3, first 2 shown]
	s_waitcnt lgkmcnt(3)
	v_dot4c_i32_i8_e32 v19, v136, v16
	v_dot4c_i32_i8_e32 v19, v137, v17
	s_waitcnt lgkmcnt(2)
	v_dot4c_i32_i8_e32 v19, v134, v10
	v_dot4c_i32_i8_e32 v19, v135, v11
	ds_read2_b32 v[134:135], v159 offset0:10 offset1:11
	v_mov_b32_e32 v179, 0
	s_waitcnt lgkmcnt(1)
	v_dot4c_i32_i8_e32 v179, v140, v6
	v_dot4c_i32_i8_e32 v179, v141, v7
	;; [unrolled: 1-line block ×3, first 2 shown]
	s_waitcnt lgkmcnt(0)
	v_dot4c_i32_i8_e32 v179, v134, v8
	v_add_u32_e32 v134, 0x2080, v159
	ds_read2_b32 v[136:137], v25 offset1:2
	v_dot4c_i32_i8_e32 v19, v139, v13
	ds_read2_b32 v[138:139], v159 offset0:12 offset1:13
	ds_read2_b32 v[140:141], v159 offset0:14 offset1:15
	;; [unrolled: 1-line block ×3, first 2 shown]
	v_dot4c_i32_i8_e32 v179, v135, v9
	ds_read2_b32 v[134:135], v134 offset1:1
	v_mov_b32_e32 v180, 0
	ds_read_b32 v181, v47 offset:128
	ds_read_b32 v160, v49 offset:256
	ds_read_b32 v153, v51 offset:384
	s_waitcnt lgkmcnt(6)
	v_dot4c_i32_i8_e32 v179, v138, v2
	v_dot4c_i32_i8_e32 v179, v139, v3
	s_waitcnt lgkmcnt(3)
	v_dot4c_i32_i8_e32 v180, v134, v14
	v_add_u32_e32 v134, 0x2088, v159
	v_dot4c_i32_i8_e32 v180, v135, v15
	ds_read2_b32 v[134:135], v134 offset1:1
	v_dot4c_i32_i8_e32 v179, v140, v4
	v_add_u32_e32 v138, 0x2090, v159
	v_add_u32_e32 v140, 0x2098, v159
	v_dot4c_i32_i8_e32 v179, v141, v5
	v_add_u32_e32 v142, 0x20a0, v159
	ds_read2_b32 v[138:139], v138 offset1:1
	ds_read2_b32 v[140:141], v140 offset1:1
	;; [unrolled: 1-line block ×3, first 2 shown]
	s_waitcnt lgkmcnt(3)
	v_dot4c_i32_i8_e32 v180, v134, v16
	v_add_u32_e32 v134, 0x20a8, v159
	v_dot4c_i32_i8_e32 v180, v135, v17
	ds_read2_b32 v[134:135], v134 offset1:1
	s_waitcnt lgkmcnt(3)
	v_dot4c_i32_i8_e32 v180, v138, v10
	v_dot4c_i32_i8_e32 v180, v139, v11
	v_mov_b32_e32 v184, 0
	s_waitcnt lgkmcnt(2)
	v_dot4c_i32_i8_e32 v180, v140, v12
	s_waitcnt lgkmcnt(1)
	v_dot4c_i32_i8_e32 v184, v146, v6
	v_add_u32_e32 v138, 0x20b0, v159
	v_add_u32_e32 v140, 0x20b8, v159
	;; [unrolled: 1-line block ×3, first 2 shown]
	ds_read2_b32 v[142:143], v29 offset1:2
	v_dot4c_i32_i8_e32 v180, v141, v13
	v_dot4c_i32_i8_e32 v184, v147, v7
	ds_read2_b32 v[138:139], v138 offset1:1
	ds_read2_b32 v[140:141], v140 offset1:1
	;; [unrolled: 1-line block ×3, first 2 shown]
	s_waitcnt lgkmcnt(4)
	v_dot4c_i32_i8_e32 v184, v134, v8
	v_add_u32_e32 v134, 0x4108, v159
	v_dot4c_i32_i8_e32 v184, v135, v9
	ds_read2_b32 v[134:135], v134 offset1:1
	s_waitcnt lgkmcnt(3)
	v_dot4c_i32_i8_e32 v184, v138, v2
	v_dot4c_i32_i8_e32 v184, v139, v3
	v_mov_b32_e32 v150, 0
	s_waitcnt lgkmcnt(2)
	v_dot4c_i32_i8_e32 v184, v140, v4
	s_waitcnt lgkmcnt(1)
	v_dot4c_i32_i8_e32 v150, v146, v14
	v_add_u32_e32 v138, 0x4110, v159
	v_add_u32_e32 v148, 0x4120, v159
	v_dot4c_i32_i8_e32 v184, v141, v5
	v_dot4c_i32_i8_e32 v150, v147, v15
	v_add_u32_e32 v139, 0x4118, v159
	ds_read2_b32 v[140:141], v138 offset1:1
	ds_read2_b32 v[146:147], v139 offset1:1
	ds_read2_b32 v[148:149], v148 offset1:1
	s_waitcnt lgkmcnt(3)
	v_dot4c_i32_i8_e32 v150, v134, v16
	ds_read2_b32 v[138:139], v31 offset1:2
	v_dot4c_i32_i8_e32 v150, v135, v17
	s_waitcnt lgkmcnt(3)
	v_dot4c_i32_i8_e32 v150, v140, v10
	v_add_u32_e32 v140, 0x4128, v159
	v_dot4c_i32_i8_e32 v150, v141, v11
	ds_read2_b32 v[140:141], v140 offset1:1
	s_waitcnt lgkmcnt(3)
	v_dot4c_i32_i8_e32 v150, v146, v12
	v_dot4c_i32_i8_e32 v150, v147, v13
	s_waitcnt lgkmcnt(1)
	v_and_b32_e32 v134, 0xff, v138
	v_mov_b32_e32 v152, 0
	v_dot4c_i32_i8_e32 v152, v148, v6
	v_mul_lo_u32 v134, v150, v134
	v_add_u32_e32 v146, 0x4130, v159
	v_add_u32_e32 v148, 0x4138, v159
	;; [unrolled: 1-line block ×3, first 2 shown]
	v_dot4c_i32_i8_e32 v152, v149, v7
	ds_read2_b32 v[146:147], v146 offset1:1
	ds_read2_b32 v[148:149], v148 offset1:1
	;; [unrolled: 1-line block ×3, first 2 shown]
	s_waitcnt lgkmcnt(3)
	v_dot4c_i32_i8_e32 v152, v140, v8
	v_dot4c_i32_i8_e32 v152, v141, v9
	s_waitcnt lgkmcnt(2)
	v_dot4c_i32_i8_e32 v152, v146, v2
	v_dot4c_i32_i8_e32 v152, v147, v3
	v_mov_b32_e32 v167, 0
	s_waitcnt lgkmcnt(1)
	v_dot4c_i32_i8_e32 v152, v148, v4
	s_waitcnt lgkmcnt(0)
	v_dot4c_i32_i8_e32 v167, v150, v14
	v_add_u32_e32 v14, 0x6188, v159
	v_add_u32_e32 v146, 0x6190, v159
	;; [unrolled: 1-line block ×4, first 2 shown]
	v_dot4c_i32_i8_e32 v152, v149, v5
	v_dot4c_i32_i8_e32 v167, v151, v15
	ds_read2_b32 v[14:15], v14 offset1:1
	ds_read2_b32 v[146:147], v146 offset1:1
	;; [unrolled: 1-line block ×4, first 2 shown]
	v_mov_b32_e32 v186, 0
	v_mov_b32_e32 v187, 0
	v_bfe_u32 v140, v138, 8, 8
	s_waitcnt lgkmcnt(3)
	v_dot4c_i32_i8_e32 v167, v14, v16
	s_waitcnt lgkmcnt(0)
	v_dot4c_i32_i8_e32 v186, v150, v6
	v_add_u32_e32 v6, 0x61a8, v159
	v_dot4c_i32_i8_e32 v167, v15, v17
	v_dot4c_i32_i8_e32 v186, v151, v7
	ds_read2_b32 v[6:7], v6 offset1:1
	v_dot4c_i32_i8_e32 v167, v146, v10
	v_dot4c_i32_i8_e32 v167, v147, v11
	;; [unrolled: 1-line block ×3, first 2 shown]
	v_add_u32_e32 v10, 0x61b0, v159
	v_add_u32_e32 v12, 0x61b8, v159
	v_dot4c_i32_i8_e32 v167, v149, v13
	v_add_u32_e32 v14, 0x61c0, v159
	ds_read2_b32 v[10:11], v10 offset1:1
	ds_read2_b32 v[12:13], v12 offset1:1
	;; [unrolled: 1-line block ×3, first 2 shown]
	s_waitcnt lgkmcnt(3)
	v_dot4c_i32_i8_e32 v186, v6, v8
	v_dot4c_i32_i8_e32 v186, v7, v9
	s_waitcnt lgkmcnt(2)
	v_dot4c_i32_i8_e32 v186, v10, v2
	v_dot4c_i32_i8_e32 v186, v11, v3
	;; [unrolled: 3-line block ×3, first 2 shown]
	ds_read_b128 v[14:17], v155 offset:64
	ds_read_b128 v[10:13], v155 offset:80
	;; [unrolled: 1-line block ×4, first 2 shown]
	ds_read2_b32 v[146:147], v159 offset0:18 offset1:19
	s_waitcnt lgkmcnt(4)
	v_dot4c_i32_i8_e32 v187, v144, v14
	v_dot4c_i32_i8_e32 v187, v145, v15
	ds_read2_b32 v[144:145], v159 offset0:20 offset1:21
	ds_read2_b32 v[148:149], v159 offset0:22 offset1:23
	;; [unrolled: 1-line block ×3, first 2 shown]
	v_mul_lo_u32 v140, v152, v140
	s_waitcnt lgkmcnt(3)
	v_dot4c_i32_i8_e32 v187, v146, v16
	v_mov_b32_e32 v146, 0
	v_dot4c_i32_i8_e32 v146, v150, v14
	v_add_u32_e32 v150, 0x61c8, v159
	v_dot4c_i32_i8_e32 v187, v147, v17
	v_dot4c_i32_i8_e32 v146, v151, v15
	ds_read2_b32 v[150:151], v150 offset1:1
	s_waitcnt lgkmcnt(3)
	v_dot4c_i32_i8_e32 v187, v144, v10
	v_dot4c_i32_i8_e32 v187, v145, v11
	v_cvt_f32_f16_e32 v152, v153
	v_cvt_f32_f16_sdwa v166, v153 dst_sel:DWORD dst_unused:UNUSED_PAD src0_sel:WORD_1
	s_waitcnt lgkmcnt(2)
	v_dot4c_i32_i8_e32 v187, v148, v12
	v_add_u32_e32 v153, 0x61d0, v159
	v_dot4c_i32_i8_e32 v187, v149, v13
	v_cvt_f32_f16_e32 v149, v164
	v_cvt_f32_f16_e32 v148, v162
	v_cvt_f32_f16_sdwa v145, v164 dst_sel:DWORD dst_unused:UNUSED_PAD src0_sel:WORD_1
	v_cvt_f32_f16_sdwa v144, v162 dst_sel:DWORD dst_unused:UNUSED_PAD src0_sel:WORD_1
	v_add_u32_e32 v162, 0x61d8, v159
	v_add_u32_e32 v164, 0x61e0, v159
	ds_read2_b32 v[170:171], v153 offset1:1
	ds_read2_b32 v[172:173], v162 offset1:1
	;; [unrolled: 1-line block ×3, first 2 shown]
	s_waitcnt lgkmcnt(3)
	v_dot4c_i32_i8_e32 v146, v150, v16
	ds_read2_b32 v[176:177], v33 offset1:2
	v_dot4c_i32_i8_e32 v146, v151, v17
	s_waitcnt lgkmcnt(3)
	v_dot4c_i32_i8_e32 v146, v170, v10
	v_dot4c_i32_i8_e32 v146, v171, v11
	s_waitcnt lgkmcnt(2)
	v_dot4c_i32_i8_e32 v146, v172, v12
	v_dot4c_i32_i8_e32 v146, v173, v13
	s_waitcnt lgkmcnt(0)
	v_and_b32_e32 v150, 0xff, v176
	v_bfe_u32 v151, v176, 16, 8
	v_mul_lo_u32 v150, v167, v150
	v_mul_lo_u32 v146, v146, v151
	v_add_u32_e32 v164, 0x61e8, v159
	v_cvt_f32_f16_e32 v147, v165
	v_cvt_f32_i32_e32 v171, v146
	v_cvt_f32_i32_e32 v170, v150
	v_cvt_f32_f16_sdwa v151, v165 dst_sel:DWORD dst_unused:UNUSED_PAD src0_sel:WORD_1
	ds_read2_b32 v[164:165], v164 offset1:1
	v_mov_b32_e32 v153, 0
	v_mov_b32_e32 v188, 0
	v_dot4c_i32_i8_e32 v153, v174, v6
	v_add_u32_e32 v167, 0x61f0, v159
	v_add_u32_e32 v174, 0x20c0, v159
	v_dot4c_i32_i8_e32 v188, v168, v6
	v_cvt_f32_f16_e32 v146, v163
	v_cvt_f32_f16_sdwa v150, v163 dst_sel:DWORD dst_unused:UNUSED_PAD src0_sel:WORD_1
	v_pk_fma_f32 v[162:163], v[148:149], v[170:171], 0 op_sel_hi:[1,1,0]
	v_dot4c_i32_i8_e32 v153, v175, v7
	v_add_u32_e32 v168, 0x61f8, v159
	ds_read2_b32 v[170:171], v167 offset1:1
	ds_read2_b32 v[172:173], v168 offset1:1
	;; [unrolled: 1-line block ×3, first 2 shown]
	s_waitcnt lgkmcnt(3)
	v_dot4c_i32_i8_e32 v153, v164, v8
	v_dot4c_i32_i8_e32 v153, v165, v9
	s_waitcnt lgkmcnt(2)
	v_dot4c_i32_i8_e32 v153, v170, v2
	v_dot4c_i32_i8_e32 v153, v171, v3
	;; [unrolled: 3-line block ×3, first 2 shown]
	v_lshrrev_b32_e32 v164, 24, v176
	v_bfe_u32 v165, v176, 8, 8
	v_mul_lo_u32 v167, v186, v165
	v_mul_lo_u32 v153, v153, v164
	v_cvt_f32_i32_e32 v165, v153
	v_cvt_f32_i32_e32 v164, v167
	v_cvt_f32_ubyte2_e32 v171, v177
	v_cvt_f32_ubyte0_e32 v170, v177
	v_pk_fma_f32 v[170:171], v[144:145], v[170:171], 0 op_sel_hi:[1,1,0]
	v_pk_fma_f32 v[162:163], v[146:147], v[164:165], v[162:163]
	v_cvt_f32_ubyte3_e32 v165, v177
	v_cvt_f32_ubyte1_e32 v164, v177
	v_pk_fma_f32 v[164:165], v[150:151], v[164:165], v[170:171]
	v_and_b32_e32 v178, 0xff, v136
	v_pk_mul_f32 v[164:165], v[164:165], v[166:167] op_sel_hi:[1,0]
	v_and_b32_e32 v183, 0xff, v142
	v_pk_fma_f32 v[152:153], v[162:163], v[152:153], v[164:165] op_sel_hi:[1,0,1] neg_lo:[0,0,1] neg_hi:[0,0,1]
	ds_read2_b32 v[162:163], v159 offset0:26 offset1:27
	v_dot4c_i32_i8_e32 v188, v169, v7
	ds_read_b32 v186, v45
	ds_read2_b32 v[164:165], v159 offset0:28 offset1:29
	ds_read2_b32 v[166:167], v159 offset0:30 offset1:31
	v_mul_lo_u32 v19, v19, v178
	v_cvt_f32_i32_e32 v168, v19
	s_waitcnt lgkmcnt(3)
	v_dot4c_i32_i8_e32 v188, v162, v8
	v_mul_lo_u32 v162, v180, v183
	v_cvt_f32_i32_e32 v169, v162
	v_bfe_u32 v19, v142, 8, 8
	v_bfe_u32 v162, v136, 8, 8
	v_mul_lo_u32 v162, v179, v162
	v_mul_lo_u32 v19, v184, v19
	v_cvt_f32_i32_e32 v173, v19
	v_cvt_f32_i32_e32 v172, v162
	v_cvt_f32_f16_e32 v179, v181
	v_cvt_f32_f16_sdwa v181, v181 dst_sel:DWORD dst_unused:UNUSED_PAD src0_sel:WORD_1
	s_waitcnt lgkmcnt(2)
	v_cvt_f32_f16_sdwa v180, v186 dst_sel:DWORD dst_unused:UNUSED_PAD src0_sel:WORD_1
	v_cvt_f32_ubyte0_e32 v171, v143
	v_cvt_f32_ubyte0_e32 v170, v137
	v_cvt_f32_f16_e32 v178, v186
	v_cvt_f32_ubyte1_e32 v177, v143
	v_cvt_f32_ubyte1_e32 v176, v137
	v_pk_fma_f32 v[170:171], v[144:145], v[170:171], 0 op_sel_hi:[0,1,0]
	v_add_u32_e32 v162, 0x20c8, v159
	v_pk_fma_f32 v[168:169], v[148:149], v[168:169], 0 op_sel_hi:[0,1,0]
	v_pk_fma_f32 v[170:171], v[150:151], v[176:177], v[170:171] op_sel_hi:[0,1,1]
	v_dot4c_i32_i8_e32 v188, v163, v9
	ds_read2_b32 v[162:163], v162 offset1:1
	v_pk_fma_f32 v[168:169], v[146:147], v[172:173], v[168:169] op_sel_hi:[0,1,1]
	v_pk_mul_f32 v[170:171], v[170:171], v[180:181]
	v_mov_b32_e32 v19, 0
	v_pk_fma_f32 v[168:169], v[168:169], v[178:179], v[170:171] neg_lo:[0,0,1] neg_hi:[0,0,1]
	s_waitcnt lgkmcnt(2)
	v_dot4c_i32_i8_e32 v188, v164, v2
	v_pk_add_f32 v[52:53], v[52:53], v[168:169]
	v_dot4c_i32_i8_e32 v19, v174, v14
	v_add_u32_e32 v164, 0x20d0, v159
	v_add_u32_e32 v168, 0x20d8, v159
	;; [unrolled: 1-line block ×3, first 2 shown]
	v_dot4c_i32_i8_e32 v188, v165, v3
	v_dot4c_i32_i8_e32 v19, v175, v15
	ds_read2_b32 v[164:165], v164 offset1:1
	ds_read2_b32 v[168:169], v168 offset1:1
	;; [unrolled: 1-line block ×3, first 2 shown]
	s_waitcnt lgkmcnt(3)
	v_dot4c_i32_i8_e32 v19, v162, v16
	v_dot4c_i32_i8_e32 v19, v163, v17
	s_waitcnt lgkmcnt(2)
	v_dot4c_i32_i8_e32 v19, v164, v10
	v_dot4c_i32_i8_e32 v19, v165, v11
	s_waitcnt lgkmcnt(1)
	v_dot4c_i32_i8_e32 v19, v168, v12
	v_lshrrev_b32_e32 v161, 24, v136
	v_lshrrev_b32_e32 v182, 24, v142
	v_dot4c_i32_i8_e32 v19, v169, v13
	v_bfe_u32 v142, v142, 16, 8
	v_bfe_u32 v136, v136, 16, 8
	v_mul_lo_u32 v136, v187, v136
	v_mul_lo_u32 v19, v19, v142
	v_cvt_f32_i32_e32 v163, v19
	v_cvt_f32_i32_e32 v162, v136
	v_mov_b32_e32 v136, v149
	v_dot4c_i32_i8_e32 v188, v166, v4
	v_dot4c_i32_i8_e32 v188, v167, v5
	v_pk_fma_f32 v[162:163], v[136:137], v[162:163], 0 op_sel_hi:[0,1,0]
	v_add_u32_e32 v136, 0x20e8, v159
	ds_read2_b32 v[166:167], v136 offset1:1
	v_mov_b32_e32 v19, 0
	s_waitcnt lgkmcnt(1)
	v_dot4c_i32_i8_e32 v19, v170, v6
	v_add_u32_e32 v136, 0x20f0, v159
	v_add_u32_e32 v172, 0x4140, v159
	v_dot4c_i32_i8_e32 v19, v171, v7
	v_add_u32_e32 v142, 0x20f8, v159
	ds_read2_b32 v[168:169], v136 offset1:1
	ds_read2_b32 v[170:171], v142 offset1:1
	;; [unrolled: 1-line block ×3, first 2 shown]
	s_waitcnt lgkmcnt(3)
	v_dot4c_i32_i8_e32 v19, v166, v8
	v_dot4c_i32_i8_e32 v19, v167, v9
	s_waitcnt lgkmcnt(2)
	v_dot4c_i32_i8_e32 v19, v168, v2
	v_dot4c_i32_i8_e32 v19, v169, v3
	;; [unrolled: 3-line block ×3, first 2 shown]
	v_mul_lo_u32 v136, v188, v161
	v_cvt_f32_i32_e32 v166, v136
	v_cvt_f32_ubyte2_e32 v165, v143
	v_mul_lo_u32 v19, v19, v182
	v_cvt_f32_i32_e32 v167, v19
	v_cvt_f32_ubyte2_e32 v164, v137
	v_mov_b32_e32 v136, v145
	v_pk_fma_f32 v[164:165], v[136:137], v[164:165], 0 op_sel_hi:[0,1,0]
	v_mov_b32_e32 v136, v147
	v_pk_fma_f32 v[162:163], v[136:137], v[166:167], v[162:163] op_sel_hi:[0,1,1]
	v_cvt_f32_ubyte3_e32 v143, v143
	v_cvt_f32_ubyte3_e32 v142, v137
	v_mov_b32_e32 v136, v151
	v_pk_fma_f32 v[136:137], v[136:137], v[142:143], v[164:165] op_sel_hi:[0,1,1]
	v_mov_b32_e32 v19, 0
	v_pk_mul_f32 v[136:137], v[136:137], v[180:181]
	s_waitcnt lgkmcnt(0)
	v_dot4c_i32_i8_e32 v19, v172, v14
	v_add_u32_e32 v14, 0x4148, v159
	v_pk_fma_f32 v[136:137], v[162:163], v[178:179], v[136:137] neg_lo:[0,0,1] neg_hi:[0,0,1]
	v_dot4c_i32_i8_e32 v19, v173, v15
	ds_read2_b32 v[14:15], v14 offset1:1
	v_pk_add_f32 v[52:53], v[52:53], v[136:137]
	v_add_u32_e32 v136, 0x4150, v159
	v_add_u32_e32 v142, 0x4158, v159
	;; [unrolled: 1-line block ×3, first 2 shown]
	ds_read2_b32 v[136:137], v136 offset1:1
	ds_read2_b32 v[142:143], v142 offset1:1
	;; [unrolled: 1-line block ×3, first 2 shown]
	s_waitcnt lgkmcnt(3)
	v_dot4c_i32_i8_e32 v19, v14, v16
	v_dot4c_i32_i8_e32 v19, v15, v17
	v_mov_b32_e32 v16, 0
	s_waitcnt lgkmcnt(2)
	v_dot4c_i32_i8_e32 v19, v136, v10
	s_waitcnt lgkmcnt(0)
	v_dot4c_i32_i8_e32 v16, v162, v6
	v_add_u32_e32 v6, 0x4168, v159
	v_dot4c_i32_i8_e32 v19, v137, v11
	v_dot4c_i32_i8_e32 v16, v163, v7
	ds_read2_b32 v[6:7], v6 offset1:1
	v_dot4c_i32_i8_e32 v19, v142, v12
	v_add_u32_e32 v12, 0x4170, v159
	v_dot4c_i32_i8_e32 v19, v143, v13
	ds_read2_b32 v[12:13], v12 offset1:1
	v_add_u32_e32 v14, 0x4178, v159
	ds_read2_b32 v[14:15], v14 offset1:1
	s_waitcnt lgkmcnt(2)
	v_dot4c_i32_i8_e32 v16, v6, v8
	v_dot4c_i32_i8_e32 v16, v7, v9
	s_waitcnt lgkmcnt(1)
	v_dot4c_i32_i8_e32 v16, v12, v2
	v_cvt_f32_i32_e32 v134, v134
	v_dot4c_i32_i8_e32 v16, v13, v3
	v_cvt_f32_i32_e32 v140, v140
	v_bfe_u32 v10, v138, 16, 8
	s_waitcnt lgkmcnt(0)
	v_dot4c_i32_i8_e32 v16, v14, v4
	v_lshrrev_b32_e32 v185, 24, v138
	v_mul_lo_u32 v10, v19, v10
	v_dot4c_i32_i8_e32 v16, v15, v5
	v_cvt_f32_f16_sdwa v5, v160 dst_sel:DWORD dst_unused:UNUSED_PAD src0_sel:WORD_1
	v_cvt_f32_ubyte0_e32 v135, v139
	v_cvt_f32_i32_e32 v10, v10
	v_mul_lo_u32 v2, v16, v185
	v_cvt_f32_f16_e32 v4, v160
	v_mov_b32_e32 v6, v148
	v_mov_b32_e32 v7, v144
	v_cvt_f32_ubyte1_e32 v141, v139
	v_cvt_f32_i32_e32 v2, v2
	v_pk_fma_f32 v[6:7], v[6:7], v[134:135], 0 op_sel_hi:[1,1,0]
	v_mov_b32_e32 v8, v146
	v_mov_b32_e32 v9, v150
	v_pk_fma_f32 v[6:7], v[8:9], v[140:141], v[6:7]
	v_cvt_f32_ubyte2_e32 v11, v139
	v_mul_f32_e32 v8, v7, v5
	v_mov_b32_e32 v144, v149
	v_cvt_f32_ubyte3_e32 v3, v139
	v_pk_fma_f32 v[6:7], v[6:7], v[4:5], v[8:9] op_sel_hi:[1,1,0] neg_lo:[0,0,1] neg_hi:[0,0,1]
	v_pk_fma_f32 v[8:9], v[144:145], v[10:11], 0 op_sel_hi:[1,1,0]
	v_mov_b32_e32 v150, v147
	v_pk_fma_f32 v[2:3], v[150:151], v[2:3], v[8:9]
	v_mov_b32_e32 v7, v152
	v_mul_f32_e32 v8, v3, v5
	v_pk_fma_f32 v[2:3], v[2:3], v[4:5], v[8:9] op_sel_hi:[1,1,0] neg_lo:[0,0,1] neg_hi:[0,0,1]
	v_pk_add_f32 v[4:5], v[90:91], v[6:7]
	v_mov_b32_e32 v3, v153
	v_pk_add_f32 v[90:91], v[4:5], v[2:3]
	s_cmp_ge_i32 s4, s5
	s_barrier
	s_cbranch_scc1 .LBB194_5
; %bb.12:                               ;   in Loop: Header=BB194_6 Depth=1
	v_cmp_gt_i32_e64 s[2:3], s8, v27
	s_and_b64 s[22:23], s[0:1], s[2:3]
	s_and_saveexec_b64 s[2:3], s[22:23]
	s_cbranch_execz .LBB194_14
; %bb.13:                               ;   in Loop: Header=BB194_6 Depth=1
	v_add_u32_e32 v2, v58, v27
	v_mad_i64_i32 v[2:3], s[22:23], v2, 36, v[56:57]
	global_load_dword v2, v[2:3], off offset:4
	s_waitcnt vmcnt(0)
	ds_write_b32 v156, v2
.LBB194_14:                             ;   in Loop: Header=BB194_6 Depth=1
	s_or_b64 exec, exec, s[2:3]
	s_and_saveexec_b64 s[22:23], vcc
	s_cbranch_execz .LBB194_4
; %bb.15:                               ;   in Loop: Header=BB194_6 Depth=1
	v_add_u32_e32 v2, 4, v18
	v_cmp_gt_i32_e64 s[2:3], s8, v2
	s_and_b64 s[2:3], s[0:1], s[2:3]
	s_and_b64 exec, exec, s[2:3]
	s_cbranch_execz .LBB194_4
; %bb.16:                               ;   in Loop: Header=BB194_6 Depth=1
	v_ashrrev_i32_e32 v19, 31, v18
	v_lshl_add_u64 v[2:3], v[58:59], 0, v[18:19]
	v_mad_u64_u32 v[4:5], s[2:3], v2, 36, s[14:15]
	v_mad_i32_i24 v5, v3, 36, v5
	global_load_dword v2, v[4:5], off offset:144
	v_add_u32_e32 v3, v154, v157
	s_waitcnt vmcnt(0)
	ds_write_b32 v3, v2
	s_branch .LBB194_4
.LBB194_17:
	s_mul_i32 s0, s10, s7
	s_waitcnt vmcnt(0)
	v_cmp_gt_i32_e32 vcc, s0, v1
	s_and_saveexec_b64 s[0:1], vcc
	s_cbranch_execz .LBB194_26
; %bb.18:
	v_and_b32_e32 v0, 0x3ff, v0
	v_add_u32_e32 v2, s11, v0
	v_mul_lo_u32 v0, v1, s9
	v_cmp_gt_u32_e32 vcc, s9, v2
	s_and_saveexec_b64 s[0:1], vcc
	s_cbranch_execz .LBB194_20
; %bb.19:
	v_add_u32_e32 v4, v0, v2
	v_mov_b32_e32 v5, 0
	v_lshl_add_u64 v[4:5], v[4:5], 2, s[16:17]
	global_store_dword v[4:5], v52, off
.LBB194_20:
	s_or_b64 exec, exec, s[0:1]
	v_add_u32_e32 v1, 32, v2
	v_cmp_gt_u32_e32 vcc, s9, v1
	s_and_saveexec_b64 s[0:1], vcc
	s_cbranch_execz .LBB194_22
; %bb.21:
	v_add_u32_e32 v4, v0, v1
	v_mov_b32_e32 v5, 0
	v_lshl_add_u64 v[4:5], v[4:5], 2, s[16:17]
	global_store_dword v[4:5], v53, off
.LBB194_22:
	s_or_b64 exec, exec, s[0:1]
	v_add_u32_e32 v1, 64, v2
	;; [unrolled: 11-line block ×3, first 2 shown]
	v_cmp_gt_u32_e32 vcc, s9, v1
	s_and_b64 exec, exec, vcc
	s_cbranch_execz .LBB194_26
; %bb.25:
	v_add_u32_e32 v0, v0, v1
	v_mov_b32_e32 v1, 0
	v_lshl_add_u64 v[0:1], v[0:1], 2, s[16:17]
	global_store_dword v[0:1], v91, off
.LBB194_26:
	s_endpgm
	.section	.rodata,"a",@progbits
	.p2align	6, 0x0
	.amdhsa_kernel _ZL8moe_q5_KIfLb1EEvPKvS1_PT_PKiS5_S5_iiiiiii
		.amdhsa_group_segment_fixed_size 37072
		.amdhsa_private_segment_fixed_size 0
		.amdhsa_kernarg_size 76
		.amdhsa_user_sgpr_count 2
		.amdhsa_user_sgpr_dispatch_ptr 0
		.amdhsa_user_sgpr_queue_ptr 0
		.amdhsa_user_sgpr_kernarg_segment_ptr 1
		.amdhsa_user_sgpr_dispatch_id 0
		.amdhsa_user_sgpr_kernarg_preload_length 0
		.amdhsa_user_sgpr_kernarg_preload_offset 0
		.amdhsa_user_sgpr_private_segment_size 0
		.amdhsa_uses_dynamic_stack 0
		.amdhsa_enable_private_segment 0
		.amdhsa_system_sgpr_workgroup_id_x 1
		.amdhsa_system_sgpr_workgroup_id_y 1
		.amdhsa_system_sgpr_workgroup_id_z 0
		.amdhsa_system_sgpr_workgroup_info 0
		.amdhsa_system_vgpr_workitem_id 1
		.amdhsa_next_free_vgpr 189
		.amdhsa_next_free_sgpr 96
		.amdhsa_accum_offset 192
		.amdhsa_reserve_vcc 1
		.amdhsa_float_round_mode_32 0
		.amdhsa_float_round_mode_16_64 0
		.amdhsa_float_denorm_mode_32 3
		.amdhsa_float_denorm_mode_16_64 3
		.amdhsa_dx10_clamp 1
		.amdhsa_ieee_mode 1
		.amdhsa_fp16_overflow 0
		.amdhsa_tg_split 0
		.amdhsa_exception_fp_ieee_invalid_op 0
		.amdhsa_exception_fp_denorm_src 0
		.amdhsa_exception_fp_ieee_div_zero 0
		.amdhsa_exception_fp_ieee_overflow 0
		.amdhsa_exception_fp_ieee_underflow 0
		.amdhsa_exception_fp_ieee_inexact 0
		.amdhsa_exception_int_div_zero 0
	.end_amdhsa_kernel
	.section	.text._ZL8moe_q5_KIfLb1EEvPKvS1_PT_PKiS5_S5_iiiiiii,"axG",@progbits,_ZL8moe_q5_KIfLb1EEvPKvS1_PT_PKiS5_S5_iiiiiii,comdat
.Lfunc_end194:
	.size	_ZL8moe_q5_KIfLb1EEvPKvS1_PT_PKiS5_S5_iiiiiii, .Lfunc_end194-_ZL8moe_q5_KIfLb1EEvPKvS1_PT_PKiS5_S5_iiiiiii
                                        ; -- End function
	.set _ZL8moe_q5_KIfLb1EEvPKvS1_PT_PKiS5_S5_iiiiiii.num_vgpr, 189
	.set _ZL8moe_q5_KIfLb1EEvPKvS1_PT_PKiS5_S5_iiiiiii.num_agpr, 0
	.set _ZL8moe_q5_KIfLb1EEvPKvS1_PT_PKiS5_S5_iiiiiii.numbered_sgpr, 26
	.set _ZL8moe_q5_KIfLb1EEvPKvS1_PT_PKiS5_S5_iiiiiii.num_named_barrier, 0
	.set _ZL8moe_q5_KIfLb1EEvPKvS1_PT_PKiS5_S5_iiiiiii.private_seg_size, 0
	.set _ZL8moe_q5_KIfLb1EEvPKvS1_PT_PKiS5_S5_iiiiiii.uses_vcc, 1
	.set _ZL8moe_q5_KIfLb1EEvPKvS1_PT_PKiS5_S5_iiiiiii.uses_flat_scratch, 0
	.set _ZL8moe_q5_KIfLb1EEvPKvS1_PT_PKiS5_S5_iiiiiii.has_dyn_sized_stack, 0
	.set _ZL8moe_q5_KIfLb1EEvPKvS1_PT_PKiS5_S5_iiiiiii.has_recursion, 0
	.set _ZL8moe_q5_KIfLb1EEvPKvS1_PT_PKiS5_S5_iiiiiii.has_indirect_call, 0
	.section	.AMDGPU.csdata,"",@progbits
; Kernel info:
; codeLenInByte = 10304
; TotalNumSgprs: 32
; NumVgprs: 189
; NumAgprs: 0
; TotalNumVgprs: 189
; ScratchSize: 0
; MemoryBound: 0
; FloatMode: 240
; IeeeMode: 1
; LDSByteSize: 37072 bytes/workgroup (compile time only)
; SGPRBlocks: 12
; VGPRBlocks: 23
; NumSGPRsForWavesPerEU: 102
; NumVGPRsForWavesPerEU: 189
; AccumOffset: 192
; Occupancy: 2
; WaveLimiterHint : 1
; COMPUTE_PGM_RSRC2:SCRATCH_EN: 0
; COMPUTE_PGM_RSRC2:USER_SGPR: 2
; COMPUTE_PGM_RSRC2:TRAP_HANDLER: 0
; COMPUTE_PGM_RSRC2:TGID_X_EN: 1
; COMPUTE_PGM_RSRC2:TGID_Y_EN: 1
; COMPUTE_PGM_RSRC2:TGID_Z_EN: 0
; COMPUTE_PGM_RSRC2:TIDIG_COMP_CNT: 1
; COMPUTE_PGM_RSRC3_GFX90A:ACCUM_OFFSET: 47
; COMPUTE_PGM_RSRC3_GFX90A:TG_SPLIT: 0
	.section	.text._ZL8moe_q6_KIfLb0EEvPKvS1_PT_PKiS5_S5_iiiiiii,"axG",@progbits,_ZL8moe_q6_KIfLb0EEvPKvS1_PT_PKiS5_S5_iiiiiii,comdat
	.globl	_ZL8moe_q6_KIfLb0EEvPKvS1_PT_PKiS5_S5_iiiiiii ; -- Begin function _ZL8moe_q6_KIfLb0EEvPKvS1_PT_PKiS5_S5_iiiiiii
	.p2align	8
	.type	_ZL8moe_q6_KIfLb0EEvPKvS1_PT_PKiS5_S5_iiiiiii,@function
_ZL8moe_q6_KIfLb0EEvPKvS1_PT_PKiS5_S5_iiiiiii: ; @_ZL8moe_q6_KIfLb0EEvPKvS1_PT_PKiS5_S5_iiiiiii
; %bb.0:
	s_load_dwordx4 s[4:7], s[0:1], 0x18
	s_mov_b32 s8, s3
	s_mov_b32 s9, 0
	s_lshl_b64 s[10:11], s[8:9], 2
	s_waitcnt lgkmcnt(0)
	s_add_u32 s6, s6, s10
	s_addc_u32 s7, s7, s11
	s_load_dword s3, s[6:7], 0x0
	s_waitcnt lgkmcnt(0)
	s_cmpk_gt_u32 s3, 0xff
	s_cbranch_scc1 .LBB195_26
; %bb.1:
	s_load_dwordx2 s[6:7], s[0:1], 0x28
	s_waitcnt lgkmcnt(0)
	s_load_dword s7, s[6:7], 0x0
	s_lshl_b32 s6, s8, 3
	s_waitcnt lgkmcnt(0)
	s_cmp_gt_u32 s6, s7
	s_cbranch_scc1 .LBB195_26
; %bb.2:
	v_bfe_u32 v2, v0, 10, 10
	v_mov_b32_e32 v4, s4
	v_mov_b32_e32 v5, s5
	v_add_u32_e32 v86, s6, v2
	v_mov_b32_e32 v87, 0
	v_lshl_add_u64 v[4:5], v[86:87], 2, v[4:5]
	global_load_dword v1, v[4:5], off
	s_load_dwordx2 s[14:15], s[0:1], 0x30
	s_load_dwordx2 s[12:13], s[0:1], 0x10
	s_load_dwordx4 s[4:7], s[0:1], 0x3c
	s_lshl_b32 s22, s2, 7
	v_mov_b32_e32 v86, v87
	s_waitcnt lgkmcnt(0)
	s_cmpk_lt_i32 s15, 0x100
	v_mov_b32_e32 v23, v87
	v_mov_b32_e32 v22, v87
	s_cbranch_scc1 .LBB195_17
; %bb.3:
	s_load_dwordx4 s[8:11], s[0:1], 0x0
	s_ashr_i32 s0, s15, 31
	s_lshr_b32 s0, s0, 24
	s_add_i32 s0, s15, s0
	s_ashr_i32 s23, s0, 8
	s_ashr_i32 s0, s5, 31
	v_and_b32_e32 v4, 31, v0
	s_lshr_b32 s0, s0, 27
	v_add_u16_e32 v6, -16, v4
	v_cmp_gt_u32_e32 vcc, 16, v4
	s_add_i32 s0, s5, s0
	v_lshlrev_b32_e32 v5, 1, v4
	v_lshlrev_b32_e32 v22, 2, v4
	v_cndmask_b32_e32 v4, v6, v4, vcc
	s_ashr_i32 s5, s0, 5
	v_cmp_lt_u16_e64 s[0:1], 7, v4
	v_add_u32_e32 v4, 0xe0, v5
	v_cndmask_b32_e32 v4, v4, v5, vcc
	v_and_b32_e32 v4, 0xfe, v4
	v_sub_u32_e32 v4, v5, v4
	v_and_b32_e32 v5, 15, v0
	v_mul_u32_u24_e32 v6, 0x41, v2
	v_cndmask_b32_e64 v105, 0, 2, s[0:1]
	v_lshlrev_b32_e32 v4, 2, v4
	v_lshlrev_b32_e32 v5, 2, v5
	;; [unrolled: 1-line block ×3, first 2 shown]
	s_lshl_b32 s0, s23, 3
	v_add3_u32 v112, v4, v5, v6
	v_mov_b32_e32 v4, s0
	v_mad_i32_i24 v14, s23, v2, v4
	v_add_u32_e32 v15, s0, v14
	v_add_u32_e32 v16, s0, v15
	;; [unrolled: 1-line block ×9, first 2 shown]
	v_and_b32_e32 v24, 0x3ff, v0
	v_add_u32_e32 v74, s0, v70
	v_add_u32_e32 v78, s0, v74
	v_lshl_add_u32 v4, v2, 5, v24
	v_add_u32_e32 v82, s0, v78
	v_and_b32_e32 v5, 0x7f, v4
	v_lshrrev_b32_e32 v4, 3, v4
	v_add_u32_e32 v86, s0, v82
	v_mul_i32_i24_e32 v87, s23, v5
	v_and_b32_e32 v4, 12, v4
	v_lshlrev_b32_e32 v5, 2, v5
	s_mov_b32 s0, 0x8e40
	v_lshlrev_b32_e32 v6, 3, v2
	v_bfe_u32 v7, v0, 2, 8
	v_add3_u32 v114, v5, v4, s0
	v_add_u32_e32 v9, v7, v6
	v_lshlrev_b32_e32 v4, 2, v0
	v_add_u16_e32 v6, v7, v6
	v_and_b32_e32 v4, 12, v4
	v_and_b32_e32 v11, 0x7f, v9
	v_lshrrev_b16_e32 v6, 1, v6
	v_mul_i32_i24_e32 v98, s23, v11
	v_lshl_or_b32 v11, v11, 4, v4
	v_and_b32_e32 v6, 60, v6
	s_mov_b32 s1, 0x8200
	v_add3_u32 v115, v11, v6, s1
	v_mov_b32_e32 v11, 0x8a40
	v_bfe_u32 v121, v0, 3, 7
	v_bfe_u32 v3, v0, 5, 5
	v_mov_b32_e32 v6, 0x7f
	v_lshl_add_u32 v118, v2, 7, v11
	v_lshlrev_b32_e32 v11, 2, v121
	v_lshlrev_b32_e32 v12, 4, v24
	v_bitop3_b32 v6, v9, 64, v6 bitop3:0x6c
	v_lshlrev_b32_e32 v9, 2, v24
	v_add3_u32 v122, v12, v11, s1
	v_lshlrev_b32_e32 v11, 2, v3
	v_add3_u32 v124, v11, v9, s0
	v_add_u32_e32 v11, 32, v24
	v_lshrrev_b32_e32 v125, 3, v11
	v_lshlrev_b32_e32 v12, 2, v125
	v_lshlrev_b32_e32 v11, 4, v11
	v_add3_u32 v126, v12, v11, s1
	v_and_b32_e32 v11, 60, v125
	v_add3_u32 v127, v9, v11, s0
	v_add_u32_e32 v11, 64, v24
	v_lshrrev_b32_e32 v12, 3, v11
	v_lshlrev_b32_e32 v13, 2, v12
	v_lshlrev_b32_e32 v11, 4, v11
	s_abs_i32 s2, s7
	v_add3_u32 v128, v13, v11, s1
	v_and_b32_e32 v11, 60, v12
	v_cvt_f32_u32_e32 v26, s2
	v_add3_u32 v129, v9, v11, s0
	v_add_u32_e32 v11, 0x60, v24
	v_lshrrev_b32_e32 v12, 3, v11
	v_lshlrev_b32_e32 v13, 2, v12
	v_lshlrev_b32_e32 v11, 4, v11
	v_add3_u32 v130, v13, v11, s1
	v_and_b32_e32 v11, 60, v12
	v_rcp_iflag_f32_e32 v12, v26
	v_add3_u32 v131, v9, v11, s0
	s_sub_i32 s0, 0, s2
	v_mul_i32_i24_e32 v100, s23, v6
	v_mul_f32_e32 v11, 0x4f7ffffe, v12
	v_cvt_u32_f32_e32 v11, v11
	s_waitcnt vmcnt(0)
	v_sub_u32_e32 v12, 0, v1
	v_max_i32_e32 v12, v1, v12
	v_lshl_or_b32 v7, v6, 4, v4
	v_mul_lo_u32 v13, s0, v11
	v_mul_hi_u32 v13, v11, v13
	v_add_u32_e32 v11, v11, v13
	v_mul_hi_u32 v11, v12, v11
	v_lshrrev_b32_e32 v6, 1, v6
	v_mul_lo_u32 v13, v11, s2
	v_and_b32_e32 v6, 60, v6
	v_sub_u32_e32 v12, v12, v13
	v_add3_u32 v116, v7, v6, s1
	v_add_u32_e32 v13, 1, v11
	v_cmp_le_u32_e64 s[0:1], s2, v12
	s_mul_i32 s16, s3, s14
	s_mul_i32 s14, s23, s22
	v_cndmask_b32_e64 v11, v11, v13, s[0:1]
	v_subrev_u32_e32 v13, s2, v12
	v_cndmask_b32_e64 v12, v12, v13, s[0:1]
	v_mov_b32_e32 v23, 0
	v_add_u32_e32 v117, 0x9050, v9
	v_and_b32_e32 v6, 28, v9
	v_xor_b32_e32 v9, s7, v1
	v_add_u32_e32 v13, 1, v11
	v_cmp_le_u32_e64 s[0:1], s2, v12
	v_mov_b32_e32 v7, v23
	v_ashrrev_i32_e32 v9, 31, v9
	v_cndmask_b32_e64 v11, v11, v13, s[0:1]
	s_mul_hi_i32 s3, s14, 0xd2
	s_mul_i32 s2, s14, 0xd2
	v_and_b32_e32 v10, 7, v0
	v_xor_b32_e32 v11, v11, v9
	s_waitcnt lgkmcnt(0)
	v_lshl_add_u64 v[26:27], s[10:11], 0, v[6:7]
	s_movk_i32 s26, 0xd2
	v_mov_b64_e32 v[6:7], s[2:3]
	v_mul_i32_i24_e32 v8, s23, v2
	v_sub_u32_e32 v9, v11, v9
	v_mad_u64_u32 v[6:7], s[20:21], v3, s26, v[6:7]
	v_lshlrev_b32_e32 v3, 1, v24
	v_lshlrev_b32_e32 v10, 2, v10
	v_cmp_gt_i32_e64 s[0:1], s4, v9
	v_mul_lo_u32 v28, v9, s5
	v_mad_u64_u32 v[8:9], s[20:21], v8, s26, v[6:7]
	v_and_or_b32 v10, v3, 32, v10
	v_mov_b32_e32 v11, v23
	v_lshl_add_u64 v[12:13], v[8:9], 0, v[10:11]
	v_lshl_add_u64 v[8:9], v[8:9], 0, v[22:23]
	v_lshl_add_u64 v[12:13], s[8:9], 0, v[12:13]
	s_mov_b64 s[20:21], 0x80
	v_lshl_add_u64 v[32:33], s[8:9], 0, v[8:9]
	v_mad_u64_u32 v[8:9], s[24:25], v14, s26, v[6:7]
	v_lshl_add_u64 v[30:31], v[12:13], 0, s[20:21]
	v_lshl_add_u64 v[12:13], v[8:9], 0, v[10:11]
	v_lshl_add_u64 v[8:9], v[8:9], 0, v[22:23]
	v_lshl_add_u64 v[12:13], s[8:9], 0, v[12:13]
	v_lshl_add_u64 v[36:37], s[8:9], 0, v[8:9]
	v_mad_u64_u32 v[8:9], s[24:25], v15, s26, v[6:7]
	v_lshl_add_u64 v[34:35], v[12:13], 0, s[20:21]
	v_lshl_add_u64 v[12:13], v[8:9], 0, v[10:11]
	v_lshl_add_u64 v[8:9], v[8:9], 0, v[22:23]
	v_lshl_add_u64 v[12:13], s[8:9], 0, v[12:13]
	;; [unrolled: 6-line block ×13, first 2 shown]
	v_mad_u64_u32 v[8:9], s[24:25], v86, s26, v[6:7]
	s_mul_i32 s24, s23, 0x78
	v_cmp_gt_u32_e32 vcc, 4, v24
	v_mov_b32_e32 v3, s24
	s_ashr_i32 s17, s16, 31
	v_lshlrev_b32_e32 v120, 4, v2
	s_and_b64 s[18:19], vcc, s[0:1]
	v_mad_i32_i24 v2, s23, v2, v3
	v_mad_u64_u32 v[2:3], s[24:25], v2, s26, v[6:7]
	s_add_u32 s2, s8, s2
	v_lshl_add_u64 v[6:7], v[2:3], 0, v[10:11]
	v_lshl_add_u64 v[2:3], v[2:3], 0, v[22:23]
	s_addc_u32 s3, s9, s3
	v_lshl_add_u64 v[94:95], s[8:9], 0, v[2:3]
	v_mov_b64_e32 v[2:3], s[2:3]
	v_mad_u64_u32 v[2:3], s[2:3], v87, s26, v[2:3]
	v_lshl_add_u64 v[6:7], s[8:9], 0, v[6:7]
	s_mov_b64 s[2:3], 0xd0
	v_lshl_add_u64 v[92:93], v[6:7], 0, s[20:21]
	v_lshl_add_u64 v[96:97], v[2:3], 0, s[2:3]
	v_mad_u64_u32 v[2:3], s[2:3], v98, s26, 0
	v_mov_b32_e32 v6, 0xd2
	v_mov_b32_e32 v5, v23
	v_lshl_add_u64 v[12:13], s[8:9], 0, v[12:13]
	v_mad_i64_i32 v[2:3], s[2:3], s14, v6, v[2:3]
	v_lshl_add_u64 v[82:83], v[12:13], 0, s[20:21]
	v_lshl_add_u64 v[12:13], v[8:9], 0, v[10:11]
	;; [unrolled: 1-line block ×5, first 2 shown]
	s_mov_b64 s[2:3], 0xc0
	v_lshl_add_u64 v[88:89], v[12:13], 0, s[20:21]
	v_lshl_add_u64 v[98:99], v[2:3], 0, s[2:3]
	v_mad_u64_u32 v[2:3], s[20:21], v100, s26, 0
	v_mad_i64_i32 v[2:3], s[20:21], s14, v6, v[2:3]
	v_lshl_add_u64 v[2:3], v[2:3], 0, v[4:5]
	v_add_u32_e32 v113, 0x30c0, v112
	v_lshl_add_u64 v[8:9], v[8:9], 0, v[22:23]
	v_lshl_add_u64 v[2:3], s[8:9], 0, v[2:3]
	v_add_u32_e32 v119, v118, v22
	v_mul_u32_u24_e32 v123, 0x104, v24
	v_ashrrev_i32_e32 v29, 31, v28
	v_lshl_add_u64 v[90:91], s[8:9], 0, v[8:9]
	v_lshl_add_u64 v[100:101], v[2:3], 0, s[2:3]
	s_movk_i32 s14, 0x80
	s_mov_b32 s24, 0x30303030
	s_movk_i32 s25, 0xe000
	s_movk_i32 s26, 0x3f00
	s_mov_b64 s[8:9], 0xd2
	v_add_u32_e32 v132, 0x2000, v112
	v_add_u32_e32 v133, 0x2800, v112
	;; [unrolled: 1-line block ×5, first 2 shown]
	v_mov_b32_e32 v22, v23
	v_mov_b32_e32 v86, v23
	;; [unrolled: 1-line block ×3, first 2 shown]
	s_branch .LBB195_6
.LBB195_4:                              ;   in Loop: Header=BB195_6 Depth=1
	s_or_b64 exec, exec, s[20:21]
	s_waitcnt lgkmcnt(0)
	s_barrier
	ds_read_b128 v[2:5], v118
	ds_read_b128 v[6:9], v118 offset:16
	ds_read_b128 v[10:13], v118 offset:32
	;; [unrolled: 1-line block ×3, first 2 shown]
	ds_read2_b32 v[18:19], v123 offset0:44 offset1:45
	ds_read2_b32 v[20:21], v123 offset0:38 offset1:39
	;; [unrolled: 1-line block ×7, first 2 shown]
	v_mov_b32_e32 v146, 0
	v_mov_b32_e32 v147, 0
	;; [unrolled: 1-line block ×3, first 2 shown]
	s_waitcnt lgkmcnt(4)
	v_dot4c_i32_i8_e32 v146, v102, v6
	s_waitcnt lgkmcnt(2)
	v_dot4c_i32_i8_e32 v147, v108, v2
	v_dot4c_i32_i8_e32 v25, v18, v14
	ds_read2_b32 v[140:141], v123 offset0:40 offset1:41
	v_dot4c_i32_i8_e32 v146, v103, v7
	v_dot4c_i32_i8_e32 v147, v109, v3
	;; [unrolled: 1-line block ×5, first 2 shown]
	v_add_u32_e32 v18, 0x2118, v123
	v_add_u32_e32 v20, 0x2110, v123
	;; [unrolled: 1-line block ×5, first 2 shown]
	s_waitcnt lgkmcnt(2)
	v_dot4c_i32_i8_e32 v25, v110, v16
	v_dot4c_i32_i8_e32 v146, v21, v9
	;; [unrolled: 1-line block ×3, first 2 shown]
	ds_read2_b32 v[18:19], v18 offset1:1
	ds_read2_b32 v[20:21], v20 offset1:1
	ds_read2_b32 v[102:103], v102 offset1:1
	ds_read2_b32 v[106:107], v104 offset1:1
	ds_read2_b32 v[108:109], v108 offset1:1
	v_add_u32_e32 v104, 0x2130, v123
	v_dot4c_i32_i8_e32 v25, v111, v17
	ds_read2_b32 v[110:111], v104 offset1:1
	v_mov_b32_e32 v137, 0
	s_waitcnt lgkmcnt(6)
	v_dot4c_i32_i8_e32 v137, v140, v10
	v_dot4c_i32_i8_e32 v137, v141, v11
	;; [unrolled: 1-line block ×3, first 2 shown]
	v_mov_b32_e32 v148, 0
	v_add_u32_e32 v104, 0x2128, v123
	v_add_u32_e32 v140, 0x2120, v123
	;; [unrolled: 1-line block ×3, first 2 shown]
	v_mov_b32_e32 v150, 0
	v_mov_b32_e32 v151, 0
	v_dot4c_i32_i8_e32 v137, v139, v13
	ds_read2_b32 v[138:139], v104 offset1:1
	ds_read2_b32 v[140:141], v140 offset1:1
	;; [unrolled: 1-line block ×3, first 2 shown]
	s_waitcnt lgkmcnt(3)
	v_dot4c_i32_i8_e32 v148, v110, v14
	v_dot4c_i32_i8_e32 v150, v20, v6
	;; [unrolled: 1-line block ×9, first 2 shown]
	v_add_u32_e32 v18, 0x4190, v123
	v_add_u32_e32 v20, 0x4188, v123
	;; [unrolled: 1-line block ×4, first 2 shown]
	v_dot4c_i32_i8_e32 v148, v109, v17
	v_mov_b32_e32 v149, 0
	ds_read_b32 v104, v131 offset:384
	v_dot4c_i32_i8_e32 v150, v19, v9
	v_dot4c_i32_i8_e32 v151, v103, v5
	ds_read_b32 v103, v129 offset:256
	ds_read2_b32 v[18:19], v18 offset1:1
	ds_read2_b32 v[20:21], v20 offset1:1
	;; [unrolled: 1-line block ×4, first 2 shown]
	v_add_u32_e32 v102, 0x41b0, v123
	s_waitcnt lgkmcnt(7)
	v_dot4c_i32_i8_e32 v149, v140, v10
	ds_read2_b32 v[110:111], v102 offset1:1
	v_dot4c_i32_i8_e32 v149, v141, v11
	v_dot4c_i32_i8_e32 v149, v138, v12
	v_add_u32_e32 v102, 0x41a8, v123
	v_add_u32_e32 v140, 0x41a0, v123
	;; [unrolled: 1-line block ×3, first 2 shown]
	v_dot4c_i32_i8_e32 v149, v139, v13
	ds_read2_b32 v[138:139], v102 offset1:1
	ds_read2_b32 v[140:141], v140 offset1:1
	;; [unrolled: 1-line block ×3, first 2 shown]
	v_mov_b32_e32 v152, 0
	v_mov_b32_e32 v155, 0
	s_waitcnt lgkmcnt(3)
	v_dot4c_i32_i8_e32 v152, v110, v14
	v_dot4c_i32_i8_e32 v155, v106, v2
	;; [unrolled: 1-line block ×3, first 2 shown]
	v_mov_b32_e32 v153, 0
	v_mov_b32_e32 v154, 0
	v_dot4c_i32_i8_e32 v155, v107, v3
	v_dot4c_i32_i8_e32 v152, v108, v16
	s_waitcnt lgkmcnt(1)
	v_dot4c_i32_i8_e32 v153, v140, v10
	v_dot4c_i32_i8_e32 v154, v18, v6
	;; [unrolled: 1-line block ×3, first 2 shown]
	v_add_u32_e32 v18, 0x6210, v123
	v_add_u32_e32 v20, 0x6208, v123
	;; [unrolled: 1-line block ×4, first 2 shown]
	v_dot4c_i32_i8_e32 v152, v109, v17
	v_dot4c_i32_i8_e32 v153, v141, v11
	;; [unrolled: 1-line block ×4, first 2 shown]
	ds_read2_b32 v[18:19], v18 offset1:1
	ds_read2_b32 v[20:21], v20 offset1:1
	;; [unrolled: 1-line block ×4, first 2 shown]
	v_add_u32_e32 v102, 0x6230, v123
	v_dot4c_i32_i8_e32 v153, v138, v12
	v_dot4c_i32_i8_e32 v154, v142, v8
	ds_read2_b32 v[110:111], v102 offset1:1
	v_add_u32_e32 v102, 0x6228, v123
	v_add_u32_e32 v140, 0x6220, v123
	;; [unrolled: 1-line block ×3, first 2 shown]
	v_dot4c_i32_i8_e32 v153, v139, v13
	v_dot4c_i32_i8_e32 v154, v143, v9
	ds_read2_b32 v[138:139], v102 offset1:1
	ds_read2_b32 v[140:141], v140 offset1:1
	;; [unrolled: 1-line block ×3, first 2 shown]
	v_mov_b32_e32 v162, 0
	v_mov_b32_e32 v163, 0
	;; [unrolled: 1-line block ×4, first 2 shown]
	s_waitcnt lgkmcnt(3)
	v_dot4c_i32_i8_e32 v162, v110, v14
	s_waitcnt lgkmcnt(1)
	v_dot4c_i32_i8_e32 v163, v140, v10
	v_dot4c_i32_i8_e32 v164, v18, v6
	;; [unrolled: 1-line block ×15, first 2 shown]
	ds_read_b128 v[10:13], v118 offset:80
	ds_read_b128 v[6:9], v118 offset:64
	;; [unrolled: 1-line block ×4, first 2 shown]
	ds_read2_b32 v[2:3], v123 offset0:62 offset1:63
	ds_read2_b32 v[4:5], v123 offset0:60 offset1:61
	;; [unrolled: 1-line block ×6, first 2 shown]
	v_mov_b32_e32 v166, 0
	s_waitcnt lgkmcnt(4)
	v_dot4c_i32_i8_e32 v166, v4, v18
	v_dot4c_i32_i8_e32 v166, v5, v19
	;; [unrolled: 1-line block ×3, first 2 shown]
	ds_read2_b32 v[140:141], v123 offset0:58 offset1:59
	v_dot4c_i32_i8_e32 v166, v3, v21
	ds_read_b128 v[2:5], v120 offset:36944
	ds_read2_b32 v[144:145], v122 offset0:2 offset1:3
	v_mov_b32_e32 v167, 0
	s_waitcnt lgkmcnt(5)
	v_dot4c_i32_i8_e32 v167, v108, v10
	v_dot4c_i32_i8_e32 v167, v109, v11
	;; [unrolled: 1-line block ×3, first 2 shown]
	s_waitcnt lgkmcnt(0)
	v_ashrrev_i32_e32 v102, 24, v144
	v_bfe_i32 v106, v144, 8, 8
	v_dot4c_i32_i8_e32 v167, v107, v13
	v_mov_b32_e32 v168, 0
	v_bfe_i32 v108, v144, 16, 8
	v_bfe_i32 v107, v144, 0, 8
	v_mul_lo_u32 v102, v25, v102
	v_mul_lo_u32 v106, v146, v106
	v_dot4c_i32_i8_e32 v168, v138, v6
	v_mad_u64_u32 v[106:107], s[2:3], v147, v107, v[106:107]
	v_mad_u64_u32 v[108:109], s[2:3], v137, v108, v[102:103]
	v_dot4c_i32_i8_e32 v168, v139, v7
	v_cvt_f32_i32_e32 v139, v108
	v_cvt_f32_i32_e32 v138, v106
	ds_read_b32 v25, v124
	ds_read_b32 v102, v127 offset:128
	ds_read2_b32 v[106:107], v128 offset0:2 offset1:3
	ds_read2_b32 v[108:109], v126 offset0:2 offset1:3
	v_dot4c_i32_i8_e32 v168, v110, v8
	v_dot4c_i32_i8_e32 v168, v111, v9
	v_pk_mul_f32 v[110:111], v[2:3], v[138:139]
	s_waitcnt lgkmcnt(1)
	v_bfe_i32 v144, v106, 0, 8
	v_add_f32_e32 v137, 0, v110
	v_bfe_i32 v110, v106, 8, 8
	s_waitcnt lgkmcnt(0)
	v_bfe_i32 v138, v108, 8, 8
	v_mul_lo_u32 v110, v154, v110
	v_mul_lo_u32 v138, v150, v138
	v_bfe_i32 v139, v108, 0, 8
	v_mad_u64_u32 v[146:147], s[2:3], v155, v144, v[110:111]
	v_bfe_i32 v110, v106, 16, 8
	v_bfe_i32 v144, v108, 16, 8
	v_ashrrev_i32_e32 v108, 24, v108
	v_ashrrev_i32_e32 v106, 24, v106
	v_mad_u64_u32 v[138:139], s[2:3], v151, v139, v[138:139]
	v_mul_lo_u32 v106, v152, v106
	v_mul_lo_u32 v108, v148, v108
	v_cvt_f32_i32_e32 v139, v146
	v_cvt_f32_i32_e32 v138, v138
	v_mad_u64_u32 v[146:147], s[2:3], v149, v144, v[108:109]
	v_mad_u64_u32 v[148:149], s[2:3], v153, v110, v[106:107]
	v_cvt_f32_i32_e32 v147, v148
	v_cvt_f32_i32_e32 v146, v146
	v_add_f32_e32 v106, v137, v111
	v_pk_fma_f32 v[110:111], v[2:3], v[138:139], 0 op_sel_hi:[0,1,0]
	v_add_u32_e32 v108, 0x6250, v123
	v_add_u32_e32 v152, 0x6278, v123
	v_pk_fma_f32 v[110:111], v[2:3], v[146:147], v[110:111] op_sel:[1,0,0]
	ds_read2_b32 v[138:139], v130 offset0:2 offset1:3
	v_add_u32_e32 v137, 0x6248, v123
	v_add_u32_e32 v144, 0x6240, v123
	ds_read2_b32 v[146:147], v108 offset1:1
	ds_read2_b32 v[148:149], v137 offset1:1
	;; [unrolled: 1-line block ×4, first 2 shown]
	v_add_u32_e32 v108, 0x6270, v123
	ds_read2_b32 v[154:155], v108 offset1:1
	v_add_u32_e32 v108, 0x6268, v123
	v_add_u32_e32 v160, 0x2158, v123
	;; [unrolled: 1-line block ×3, first 2 shown]
	ds_read2_b32 v[156:157], v108 offset1:1
	ds_read2_b32 v[158:159], v144 offset1:1
	;; [unrolled: 1-line block ×3, first 2 shown]
	v_mov_b32_e32 v108, 0
	s_waitcnt lgkmcnt(7)
	v_dot4c_i32_i8_e32 v108, v146, v10
	v_mov_b32_e32 v146, 0
	v_dot4c_i32_i8_e32 v108, v147, v11
	s_waitcnt lgkmcnt(5)
	v_dot4c_i32_i8_e32 v146, v150, v6
	v_dot4c_i32_i8_e32 v108, v142, v12
	v_dot4c_i32_i8_e32 v146, v151, v7
	v_dot4c_i32_i8_e32 v108, v143, v13
	v_bfe_i32 v142, v138, 8, 8
	v_bfe_i32 v143, v139, 8, 8
	v_dot4c_i32_i8_e32 v146, v148, v8
	v_mul_lo_u32 v108, v108, v143
	v_mul_lo_u32 v142, v164, v142
	v_dot4c_i32_i8_e32 v146, v149, v9
	v_bfe_i32 v147, v139, 0, 8
	v_bfe_i32 v143, v138, 0, 8
	v_mov_b32_e32 v137, 0
	v_mad_u64_u32 v[142:143], s[2:3], v165, v143, v[142:143]
	v_mad_u64_u32 v[146:147], s[2:3], v146, v147, v[108:109]
	s_waitcnt lgkmcnt(3)
	v_dot4c_i32_i8_e32 v137, v154, v18
	v_mov_b32_e32 v144, 0
	v_cvt_f32_i32_e32 v143, v146
	v_cvt_f32_i32_e32 v142, v142
	v_dot4c_i32_i8_e32 v137, v155, v19
	s_waitcnt lgkmcnt(1)
	v_dot4c_i32_i8_e32 v144, v158, v14
	ds_read2_b32 v[148:149], v123 offset0:56 offset1:57
	v_dot4c_i32_i8_e32 v137, v152, v20
	v_dot4c_i32_i8_e32 v144, v159, v15
	;; [unrolled: 1-line block ×4, first 2 shown]
	v_mov_b32_e32 v146, v2
	v_mov_b32_e32 v147, v4
	v_ashrrev_i32_e32 v108, 24, v138
	v_ashrrev_i32_e32 v2, 24, v139
	v_dot4c_i32_i8_e32 v144, v157, v17
	v_pk_fma_f32 v[142:143], v[146:147], v[142:143], 0 op_sel_hi:[1,1,0]
	v_bfe_i32 v146, v139, 16, 8
	v_bfe_i32 v147, v138, 16, 8
	v_mul_lo_u32 v2, v137, v2
	v_mul_lo_u32 v108, v162, v108
	v_mad_u64_u32 v[138:139], s[2:3], v163, v147, v[108:109]
	v_mad_u64_u32 v[146:147], s[2:3], v144, v146, v[2:3]
	v_mov_b32_e32 v2, v3
	v_mov_b32_e32 v3, 0
	s_waitcnt lgkmcnt(0)
	v_dot4c_i32_i8_e32 v3, v148, v14
	v_dot4c_i32_i8_e32 v3, v149, v15
	;; [unrolled: 1-line block ×3, first 2 shown]
	v_ashrrev_i32_e32 v108, 24, v145
	v_bfe_i32 v140, v145, 8, 8
	v_dot4c_i32_i8_e32 v3, v141, v17
	v_bfe_i32 v137, v145, 16, 8
	v_bfe_i32 v141, v145, 0, 8
	v_mul_lo_u32 v108, v166, v108
	v_mul_lo_u32 v140, v167, v140
	v_mad_u64_u32 v[140:141], s[2:3], v168, v141, v[140:141]
	v_mad_u64_u32 v[144:145], s[2:3], v3, v137, v[108:109]
	v_cvt_f32_i32_e32 v139, v146
	v_cvt_f32_i32_e32 v138, v138
	;; [unrolled: 1-line block ×4, first 2 shown]
	v_mov_b32_e32 v3, v5
	v_pk_fma_f32 v[2:3], v[2:3], v[138:139], v[142:143]
	v_add_u32_e32 v108, 0x2150, v123
	v_pk_mul_f32 v[138:139], v[4:5], v[140:141]
	v_pk_mul_f32 v[2:3], v[104:105], v[2:3] op_sel_hi:[0,1]
	v_add_f32_e32 v104, 0, v138
	v_add_u32_e32 v142, 0x2140, v123
	v_add_u32_e32 v144, 0x2178, v123
	v_add_f32_e32 v104, v104, v139
	v_add_u32_e32 v137, 0x2148, v123
	ds_read2_b32 v[138:139], v108 offset1:1
	ds_read2_b32 v[140:141], v137 offset1:1
	;; [unrolled: 1-line block ×4, first 2 shown]
	v_add_u32_e32 v108, 0x2170, v123
	ds_read2_b32 v[146:147], v108 offset1:1
	v_add_u32_e32 v137, 0x2168, v123
	v_add_u32_e32 v150, 0x2160, v123
	;; [unrolled: 1-line block ×3, first 2 shown]
	ds_read2_b32 v[148:149], v137 offset1:1
	ds_read2_b32 v[150:151], v150 offset1:1
	;; [unrolled: 1-line block ×3, first 2 shown]
	v_mov_b32_e32 v108, 0
	v_mov_b32_e32 v155, 0
	s_waitcnt lgkmcnt(3)
	v_dot4c_i32_i8_e32 v108, v146, v18
	v_mov_b32_e32 v137, 0
	v_dot4c_i32_i8_e32 v155, v142, v6
	v_dot4c_i32_i8_e32 v108, v147, v19
	s_waitcnt lgkmcnt(1)
	v_dot4c_i32_i8_e32 v137, v150, v14
	v_mov_b32_e32 v154, 0
	v_dot4c_i32_i8_e32 v155, v143, v7
	v_dot4c_i32_i8_e32 v108, v144, v20
	;; [unrolled: 1-line block ×5, first 2 shown]
	v_add_u32_e32 v138, 0x41d0, v123
	v_add_u32_e32 v140, 0x41c8, v123
	;; [unrolled: 1-line block ×5, first 2 shown]
	v_dot4c_i32_i8_e32 v108, v145, v21
	v_dot4c_i32_i8_e32 v137, v148, v16
	;; [unrolled: 1-line block ×4, first 2 shown]
	ds_read2_b32 v[138:139], v138 offset1:1
	ds_read2_b32 v[140:141], v140 offset1:1
	;; [unrolled: 1-line block ×5, first 2 shown]
	v_add_u32_e32 v148, 0x41e8, v123
	v_add_u32_e32 v150, 0x41e0, v123
	v_dot4c_i32_i8_e32 v137, v149, v17
	ds_read2_b32 v[148:149], v148 offset1:1
	ds_read2_b32 v[150:151], v150 offset1:1
	v_mov_b32_e32 v156, 0
	s_waitcnt lgkmcnt(2)
	v_dot4c_i32_i8_e32 v156, v146, v18
	v_mov_b32_e32 v18, 0
	v_dot4c_i32_i8_e32 v154, v160, v12
	s_waitcnt lgkmcnt(0)
	v_dot4c_i32_i8_e32 v18, v150, v14
	v_mov_b32_e32 v14, 0
	v_dot4c_i32_i8_e32 v14, v138, v10
	v_mov_b32_e32 v10, 0
	v_dot4c_i32_i8_e32 v14, v139, v11
	v_dot4c_i32_i8_e32 v10, v142, v6
	;; [unrolled: 1-line block ×7, first 2 shown]
	v_bfe_i32 v7, v109, 8, 8
	v_bfe_i32 v6, v107, 8, 8
	v_dot4c_i32_i8_e32 v156, v147, v19
	v_dot4c_i32_i8_e32 v10, v141, v9
	v_mul_lo_u32 v6, v14, v6
	v_mul_lo_u32 v8, v154, v7
	v_bfe_i32 v7, v107, 0, 8
	v_bfe_i32 v9, v109, 0, 8
	v_dot4c_i32_i8_e32 v156, v144, v20
	v_dot4c_i32_i8_e32 v18, v151, v15
	v_mad_u64_u32 v[8:9], s[2:3], v155, v9, v[8:9]
	v_mad_u64_u32 v[6:7], s[2:3], v10, v7, v[6:7]
	v_dot4c_i32_i8_e32 v156, v145, v21
	v_dot4c_i32_i8_e32 v18, v148, v16
	v_cvt_f32_i32_e32 v7, v6
	v_cvt_f32_i32_e32 v6, v8
	v_ashrrev_i32_e32 v10, 24, v109
	v_ashrrev_i32_e32 v8, 24, v107
	v_dot4c_i32_i8_e32 v18, v149, v17
	v_bfe_i32 v9, v107, 16, 8
	v_bfe_i32 v11, v109, 16, 8
	v_mul_lo_u32 v8, v156, v8
	v_mul_lo_u32 v10, v108, v10
	v_mad_u64_u32 v[10:11], s[2:3], v137, v11, v[10:11]
	v_mad_u64_u32 v[8:9], s[2:3], v18, v9, v[8:9]
	v_cvt_f32_i32_e32 v9, v8
	v_cvt_f32_i32_e32 v8, v10
	v_pk_fma_f32 v[6:7], v[4:5], v[6:7], 0 op_sel_hi:[0,1,0]
	v_mov_b32_e32 v4, v5
	v_pk_mul_f32 v[110:111], v[102:103], v[110:111]
	v_pk_fma_f32 v[4:5], v[4:5], v[8:9], v[6:7] op_sel_hi:[0,1,1]
	v_mul_f32_e32 v106, v25, v106
	v_pk_mul_f32 v[4:5], v[102:103], v[4:5]
	v_mov_b32_e32 v107, v110
	v_pk_mov_b32 v[8:9], v[110:111], v[2:3] op_sel:[1,0]
	v_mul_f32_e32 v10, v25, v104
	v_pk_add_f32 v[6:7], v[22:23], v[106:107]
	v_pk_add_f32 v[8:9], v[86:87], v[8:9]
	v_mov_b32_e32 v2, v5
	v_mov_b32_e32 v11, v4
	v_pk_add_f32 v[86:87], v[8:9], v[2:3]
	v_pk_add_f32 v[22:23], v[6:7], v[10:11]
	s_barrier
.LBB195_5:                              ;   in Loop: Header=BB195_6 Depth=1
	s_add_i32 s23, s23, -1
	s_addk_i32 s14, 0x100
	v_add_u32_e32 v125, 8, v125
	v_add_u32_e32 v121, 8, v121
	;; [unrolled: 1-line block ×3, first 2 shown]
	v_lshl_add_u64 v[30:31], v[30:31], 0, s[8:9]
	v_lshl_add_u64 v[32:33], v[32:33], 0, s[8:9]
	;; [unrolled: 1-line block ×34, first 2 shown]
	s_cmp_eq_u32 s23, 0
	v_lshl_add_u64 v[100:101], v[100:101], 0, s[8:9]
	s_cbranch_scc1 .LBB195_17
.LBB195_6:                              ; =>This Inner Loop Header: Depth=1
	v_lshl_add_u64 v[2:3], v[32:33], 0, s[16:17]
	global_load_dword v2, v[2:3], off
	s_add_i32 s2, s14, 0xffffff80
	s_cmp_lt_i32 s2, s15
	s_waitcnt vmcnt(0)
	v_and_b32_e32 v4, 0xf0f0f0f, v2
	v_lshrrev_b32_e32 v2, 4, v2
	v_and_b32_e32 v5, 0xf0f0f0f, v2
	v_lshl_add_u64 v[2:3], v[30:31], 0, s[16:17]
	global_load_dword v2, v[2:3], off
	s_waitcnt vmcnt(0)
	v_ashrrev_i32_e32 v2, v105, v2
	v_lshlrev_b32_e32 v3, 4, v2
	v_and_or_b32 v3, v3, s24, v4
	v_lshlrev_b16_e32 v6, 8, v3
	v_add_u16_e32 v6, 0xe000, v6
	v_lshrrev_b32_e32 v4, 16, v3
	v_lshrrev_b16_e32 v6, 8, v6
	v_bitop3_b16 v3, v3, v6, s26 bitop3:0xec
	v_lshlrev_b16_e32 v6, 8, v4
	v_add_u16_e32 v6, 0xe000, v6
	v_lshrrev_b16_e32 v6, 8, v6
	v_and_or_b32 v2, v2, s24, v5
	v_bitop3_b16 v4, v4, v6, s26 bitop3:0xec
	v_lshlrev_b16_e32 v5, 8, v2
	v_add_u16_e32 v3, 0xe000, v3
	v_add_u16_sdwa v4, v4, s25 dst_sel:WORD_1 dst_unused:UNUSED_PAD src0_sel:DWORD src1_sel:DWORD
	v_add_u16_e32 v5, 0xe000, v5
	v_or_b32_e32 v3, v3, v4
	v_lshrrev_b32_e32 v4, 16, v2
	v_lshrrev_b16_e32 v5, 8, v5
	v_bitop3_b16 v2, v2, v5, s26 bitop3:0xec
	v_lshlrev_b16_e32 v5, 8, v4
	v_add_u16_e32 v5, 0xe000, v5
	v_lshrrev_b16_e32 v5, 8, v5
	v_bitop3_b16 v4, v4, v5, s26 bitop3:0xec
	v_add_u16_e32 v2, 0xe000, v2
	v_add_u16_sdwa v4, v4, s25 dst_sel:WORD_1 dst_unused:UNUSED_PAD src0_sel:DWORD src1_sel:DWORD
	s_nop 0
	v_or_b32_e32 v2, v2, v4
	ds_write2_b32 v112, v3, v2 offset1:16
	v_lshl_add_u64 v[2:3], v[36:37], 0, s[16:17]
	global_load_dword v2, v[2:3], off
	s_waitcnt vmcnt(0)
	v_and_b32_e32 v4, 0xf0f0f0f, v2
	v_lshrrev_b32_e32 v2, 4, v2
	v_and_b32_e32 v5, 0xf0f0f0f, v2
	v_lshl_add_u64 v[2:3], v[34:35], 0, s[16:17]
	global_load_dword v2, v[2:3], off
	s_waitcnt vmcnt(0)
	v_ashrrev_i32_e32 v2, v105, v2
	v_lshlrev_b32_e32 v3, 4, v2
	v_and_or_b32 v3, v3, s24, v4
	v_lshlrev_b16_e32 v6, 8, v3
	v_add_u16_e32 v6, 0xe000, v6
	v_lshrrev_b32_e32 v4, 16, v3
	v_lshrrev_b16_e32 v6, 8, v6
	v_bitop3_b16 v3, v3, v6, s26 bitop3:0xec
	v_lshlrev_b16_e32 v6, 8, v4
	v_add_u16_e32 v6, 0xe000, v6
	v_lshrrev_b16_e32 v6, 8, v6
	v_and_or_b32 v2, v2, s24, v5
	v_bitop3_b16 v4, v4, v6, s26 bitop3:0xec
	v_lshlrev_b16_e32 v5, 8, v2
	v_add_u16_e32 v3, 0xe000, v3
	v_add_u16_sdwa v4, v4, s25 dst_sel:WORD_1 dst_unused:UNUSED_PAD src0_sel:DWORD src1_sel:DWORD
	v_add_u16_e32 v5, 0xe000, v5
	v_or_b32_e32 v3, v3, v4
	v_lshrrev_b32_e32 v4, 16, v2
	v_lshrrev_b16_e32 v5, 8, v5
	v_bitop3_b16 v2, v2, v5, s26 bitop3:0xec
	v_lshlrev_b16_e32 v5, 8, v4
	v_add_u16_e32 v5, 0xe000, v5
	v_lshrrev_b16_e32 v5, 8, v5
	v_bitop3_b16 v4, v4, v5, s26 bitop3:0xec
	v_add_u16_e32 v2, 0xe000, v2
	v_add_u16_sdwa v4, v4, s25 dst_sel:WORD_1 dst_unused:UNUSED_PAD src0_sel:DWORD src1_sel:DWORD
	s_nop 0
	v_or_b32_e32 v2, v2, v4
	v_add_u32_e32 v4, 0x800, v112
	ds_write2_b32 v4, v3, v2 offset0:8 offset1:24
	v_lshl_add_u64 v[2:3], v[40:41], 0, s[16:17]
	global_load_dword v2, v[2:3], off
	s_waitcnt vmcnt(0)
	v_and_b32_e32 v4, 0xf0f0f0f, v2
	v_lshrrev_b32_e32 v2, 4, v2
	v_and_b32_e32 v5, 0xf0f0f0f, v2
	v_lshl_add_u64 v[2:3], v[38:39], 0, s[16:17]
	global_load_dword v2, v[2:3], off
	s_waitcnt vmcnt(0)
	v_ashrrev_i32_e32 v2, v105, v2
	v_lshlrev_b32_e32 v3, 4, v2
	v_and_or_b32 v3, v3, s24, v4
	v_lshlrev_b16_e32 v6, 8, v3
	v_add_u16_e32 v6, 0xe000, v6
	v_lshrrev_b32_e32 v4, 16, v3
	v_lshrrev_b16_e32 v6, 8, v6
	v_bitop3_b16 v3, v3, v6, s26 bitop3:0xec
	v_lshlrev_b16_e32 v6, 8, v4
	v_add_u16_e32 v6, 0xe000, v6
	v_lshrrev_b16_e32 v6, 8, v6
	v_and_or_b32 v2, v2, s24, v5
	v_bitop3_b16 v4, v4, v6, s26 bitop3:0xec
	v_lshlrev_b16_e32 v5, 8, v2
	v_add_u16_e32 v3, 0xe000, v3
	v_add_u16_sdwa v4, v4, s25 dst_sel:WORD_1 dst_unused:UNUSED_PAD src0_sel:DWORD src1_sel:DWORD
	v_add_u16_e32 v5, 0xe000, v5
	v_or_b32_e32 v3, v3, v4
	v_lshrrev_b32_e32 v4, 16, v2
	v_lshrrev_b16_e32 v5, 8, v5
	v_bitop3_b16 v2, v2, v5, s26 bitop3:0xec
	v_lshlrev_b16_e32 v5, 8, v4
	v_add_u16_e32 v5, 0xe000, v5
	v_lshrrev_b16_e32 v5, 8, v5
	v_bitop3_b16 v4, v4, v5, s26 bitop3:0xec
	v_add_u16_e32 v2, 0xe000, v2
	v_add_u16_sdwa v4, v4, s25 dst_sel:WORD_1 dst_unused:UNUSED_PAD src0_sel:DWORD src1_sel:DWORD
	s_nop 0
	v_or_b32_e32 v2, v2, v4
	v_add_u32_e32 v4, 0x1000, v112
	ds_write2_b32 v4, v3, v2 offset0:16 offset1:32
	;; [unrolled: 40-line block ×3, first 2 shown]
	v_lshl_add_u64 v[2:3], v[48:49], 0, s[16:17]
	global_load_dword v2, v[2:3], off
	s_waitcnt vmcnt(0)
	v_and_b32_e32 v4, 0xf0f0f0f, v2
	v_lshrrev_b32_e32 v2, 4, v2
	v_and_b32_e32 v5, 0xf0f0f0f, v2
	v_lshl_add_u64 v[2:3], v[46:47], 0, s[16:17]
	global_load_dword v2, v[2:3], off
	s_waitcnt vmcnt(0)
	v_ashrrev_i32_e32 v2, v105, v2
	v_lshlrev_b32_e32 v3, 4, v2
	v_and_or_b32 v3, v3, s24, v4
	v_lshlrev_b16_e32 v6, 8, v3
	v_add_u16_e32 v6, 0xe000, v6
	v_lshrrev_b32_e32 v4, 16, v3
	v_lshrrev_b16_e32 v6, 8, v6
	v_bitop3_b16 v3, v3, v6, s26 bitop3:0xec
	v_lshlrev_b16_e32 v6, 8, v4
	v_add_u16_e32 v6, 0xe000, v6
	v_lshrrev_b16_e32 v6, 8, v6
	v_and_or_b32 v2, v2, s24, v5
	v_bitop3_b16 v4, v4, v6, s26 bitop3:0xec
	v_lshlrev_b16_e32 v5, 8, v2
	v_add_u16_e32 v3, 0xe000, v3
	v_add_u16_sdwa v4, v4, s25 dst_sel:WORD_1 dst_unused:UNUSED_PAD src0_sel:DWORD src1_sel:DWORD
	v_add_u16_e32 v5, 0xe000, v5
	v_or_b32_e32 v3, v3, v4
	v_lshrrev_b32_e32 v4, 16, v2
	v_lshrrev_b16_e32 v5, 8, v5
	v_bitop3_b16 v2, v2, v5, s26 bitop3:0xec
	v_lshlrev_b16_e32 v5, 8, v4
	v_add_u16_e32 v5, 0xe000, v5
	v_lshrrev_b16_e32 v5, 8, v5
	v_bitop3_b16 v4, v4, v5, s26 bitop3:0xec
	v_add_u16_e32 v2, 0xe000, v2
	v_add_u16_sdwa v4, v4, s25 dst_sel:WORD_1 dst_unused:UNUSED_PAD src0_sel:DWORD src1_sel:DWORD
	s_nop 0
	v_or_b32_e32 v2, v2, v4
	ds_write2_b32 v132, v3, v2 offset0:32 offset1:48
	v_lshl_add_u64 v[2:3], v[52:53], 0, s[16:17]
	global_load_dword v2, v[2:3], off
	s_waitcnt vmcnt(0)
	v_and_b32_e32 v4, 0xf0f0f0f, v2
	v_lshrrev_b32_e32 v2, 4, v2
	v_and_b32_e32 v5, 0xf0f0f0f, v2
	v_lshl_add_u64 v[2:3], v[50:51], 0, s[16:17]
	global_load_dword v2, v[2:3], off
	s_waitcnt vmcnt(0)
	v_ashrrev_i32_e32 v2, v105, v2
	v_lshlrev_b32_e32 v3, 4, v2
	v_and_or_b32 v3, v3, s24, v4
	v_lshlrev_b16_e32 v6, 8, v3
	v_add_u16_e32 v6, 0xe000, v6
	v_lshrrev_b32_e32 v4, 16, v3
	v_lshrrev_b16_e32 v6, 8, v6
	v_bitop3_b16 v3, v3, v6, s26 bitop3:0xec
	v_lshlrev_b16_e32 v6, 8, v4
	v_add_u16_e32 v6, 0xe000, v6
	v_lshrrev_b16_e32 v6, 8, v6
	v_and_or_b32 v2, v2, s24, v5
	v_bitop3_b16 v4, v4, v6, s26 bitop3:0xec
	v_lshlrev_b16_e32 v5, 8, v2
	v_add_u16_e32 v3, 0xe000, v3
	v_add_u16_sdwa v4, v4, s25 dst_sel:WORD_1 dst_unused:UNUSED_PAD src0_sel:DWORD src1_sel:DWORD
	v_add_u16_e32 v5, 0xe000, v5
	v_or_b32_e32 v3, v3, v4
	v_lshrrev_b32_e32 v4, 16, v2
	v_lshrrev_b16_e32 v5, 8, v5
	v_bitop3_b16 v2, v2, v5, s26 bitop3:0xec
	v_lshlrev_b16_e32 v5, 8, v4
	v_add_u16_e32 v5, 0xe000, v5
	v_lshrrev_b16_e32 v5, 8, v5
	v_bitop3_b16 v4, v4, v5, s26 bitop3:0xec
	v_add_u16_e32 v2, 0xe000, v2
	v_add_u16_sdwa v4, v4, s25 dst_sel:WORD_1 dst_unused:UNUSED_PAD src0_sel:DWORD src1_sel:DWORD
	s_nop 0
	v_or_b32_e32 v2, v2, v4
	ds_write2_b32 v133, v3, v2 offset0:40 offset1:56
	v_lshl_add_u64 v[2:3], v[56:57], 0, s[16:17]
	global_load_dword v2, v[2:3], off
	s_waitcnt vmcnt(0)
	v_and_b32_e32 v4, 0xf0f0f0f, v2
	v_lshrrev_b32_e32 v2, 4, v2
	v_and_b32_e32 v5, 0xf0f0f0f, v2
	v_lshl_add_u64 v[2:3], v[54:55], 0, s[16:17]
	global_load_dword v2, v[2:3], off
	s_waitcnt vmcnt(0)
	v_ashrrev_i32_e32 v2, v105, v2
	v_lshlrev_b32_e32 v3, 4, v2
	v_and_or_b32 v3, v3, s24, v4
	v_lshlrev_b16_e32 v6, 8, v3
	v_add_u16_e32 v6, 0xe000, v6
	v_lshrrev_b32_e32 v4, 16, v3
	v_lshrrev_b16_e32 v6, 8, v6
	v_bitop3_b16 v3, v3, v6, s26 bitop3:0xec
	v_lshlrev_b16_e32 v6, 8, v4
	v_add_u16_e32 v6, 0xe000, v6
	v_lshrrev_b16_e32 v6, 8, v6
	v_and_or_b32 v2, v2, s24, v5
	v_bitop3_b16 v4, v4, v6, s26 bitop3:0xec
	v_lshlrev_b16_e32 v5, 8, v2
	v_add_u16_e32 v3, 0xe000, v3
	v_add_u16_sdwa v4, v4, s25 dst_sel:WORD_1 dst_unused:UNUSED_PAD src0_sel:DWORD src1_sel:DWORD
	v_add_u16_e32 v5, 0xe000, v5
	v_or_b32_e32 v3, v3, v4
	v_lshrrev_b32_e32 v4, 16, v2
	v_lshrrev_b16_e32 v5, 8, v5
	v_bitop3_b16 v2, v2, v5, s26 bitop3:0xec
	v_lshlrev_b16_e32 v5, 8, v4
	v_add_u16_e32 v5, 0xe000, v5
	v_lshrrev_b16_e32 v5, 8, v5
	v_bitop3_b16 v4, v4, v5, s26 bitop3:0xec
	v_add_u16_e32 v2, 0xe000, v2
	v_add_u16_sdwa v4, v4, s25 dst_sel:WORD_1 dst_unused:UNUSED_PAD src0_sel:DWORD src1_sel:DWORD
	s_nop 0
	v_or_b32_e32 v2, v2, v4
	ds_write2_b32 v113, v3, v2 offset1:16
	v_lshl_add_u64 v[2:3], v[60:61], 0, s[16:17]
	global_load_dword v2, v[2:3], off
	s_waitcnt vmcnt(0)
	v_and_b32_e32 v4, 0xf0f0f0f, v2
	v_lshrrev_b32_e32 v2, 4, v2
	v_and_b32_e32 v5, 0xf0f0f0f, v2
	v_lshl_add_u64 v[2:3], v[58:59], 0, s[16:17]
	global_load_dword v2, v[2:3], off
	s_waitcnt vmcnt(0)
	v_ashrrev_i32_e32 v2, v105, v2
	v_lshlrev_b32_e32 v3, 4, v2
	v_and_or_b32 v3, v3, s24, v4
	v_lshlrev_b16_e32 v6, 8, v3
	v_add_u16_e32 v6, 0xe000, v6
	v_lshrrev_b32_e32 v4, 16, v3
	v_lshrrev_b16_e32 v6, 8, v6
	v_bitop3_b16 v3, v3, v6, s26 bitop3:0xec
	v_lshlrev_b16_e32 v6, 8, v4
	v_add_u16_e32 v6, 0xe000, v6
	v_lshrrev_b16_e32 v6, 8, v6
	v_and_or_b32 v2, v2, s24, v5
	v_bitop3_b16 v4, v4, v6, s26 bitop3:0xec
	v_lshlrev_b16_e32 v5, 8, v2
	v_add_u16_e32 v3, 0xe000, v3
	v_add_u16_sdwa v4, v4, s25 dst_sel:WORD_1 dst_unused:UNUSED_PAD src0_sel:DWORD src1_sel:DWORD
	v_add_u16_e32 v5, 0xe000, v5
	v_or_b32_e32 v3, v3, v4
	v_lshrrev_b32_e32 v4, 16, v2
	v_lshrrev_b16_e32 v5, 8, v5
	v_bitop3_b16 v2, v2, v5, s26 bitop3:0xec
	v_lshlrev_b16_e32 v5, 8, v4
	v_add_u16_e32 v5, 0xe000, v5
	v_lshrrev_b16_e32 v5, 8, v5
	v_bitop3_b16 v4, v4, v5, s26 bitop3:0xec
	v_add_u16_e32 v2, 0xe000, v2
	v_add_u16_sdwa v4, v4, s25 dst_sel:WORD_1 dst_unused:UNUSED_PAD src0_sel:DWORD src1_sel:DWORD
	s_nop 0
	v_or_b32_e32 v2, v2, v4
	ds_write2_b32 v134, v3, v2 offset0:8 offset1:24
	v_lshl_add_u64 v[2:3], v[64:65], 0, s[16:17]
	global_load_dword v2, v[2:3], off
	s_waitcnt vmcnt(0)
	v_and_b32_e32 v4, 0xf0f0f0f, v2
	v_lshrrev_b32_e32 v2, 4, v2
	v_and_b32_e32 v5, 0xf0f0f0f, v2
	v_lshl_add_u64 v[2:3], v[62:63], 0, s[16:17]
	global_load_dword v2, v[2:3], off
	s_waitcnt vmcnt(0)
	v_ashrrev_i32_e32 v2, v105, v2
	v_lshlrev_b32_e32 v3, 4, v2
	v_and_or_b32 v3, v3, s24, v4
	v_lshlrev_b16_e32 v6, 8, v3
	v_add_u16_e32 v6, 0xe000, v6
	v_lshrrev_b32_e32 v4, 16, v3
	v_lshrrev_b16_e32 v6, 8, v6
	v_bitop3_b16 v3, v3, v6, s26 bitop3:0xec
	v_lshlrev_b16_e32 v6, 8, v4
	v_add_u16_e32 v6, 0xe000, v6
	v_lshrrev_b16_e32 v6, 8, v6
	v_and_or_b32 v2, v2, s24, v5
	v_bitop3_b16 v4, v4, v6, s26 bitop3:0xec
	v_lshlrev_b16_e32 v5, 8, v2
	v_add_u16_e32 v3, 0xe000, v3
	v_add_u16_sdwa v4, v4, s25 dst_sel:WORD_1 dst_unused:UNUSED_PAD src0_sel:DWORD src1_sel:DWORD
	v_add_u16_e32 v5, 0xe000, v5
	v_or_b32_e32 v3, v3, v4
	v_lshrrev_b32_e32 v4, 16, v2
	v_lshrrev_b16_e32 v5, 8, v5
	v_bitop3_b16 v2, v2, v5, s26 bitop3:0xec
	v_lshlrev_b16_e32 v5, 8, v4
	v_add_u16_e32 v5, 0xe000, v5
	v_lshrrev_b16_e32 v5, 8, v5
	v_bitop3_b16 v4, v4, v5, s26 bitop3:0xec
	v_add_u16_e32 v2, 0xe000, v2
	v_add_u16_sdwa v4, v4, s25 dst_sel:WORD_1 dst_unused:UNUSED_PAD src0_sel:DWORD src1_sel:DWORD
	s_nop 0
	v_or_b32_e32 v2, v2, v4
	ds_write2_b32 v135, v3, v2 offset0:16 offset1:32
	;; [unrolled: 39-line block ×3, first 2 shown]
	v_lshl_add_u64 v[2:3], v[72:73], 0, s[16:17]
	global_load_dword v2, v[2:3], off
	s_waitcnt vmcnt(0)
	v_and_b32_e32 v4, 0xf0f0f0f, v2
	v_lshrrev_b32_e32 v2, 4, v2
	v_and_b32_e32 v5, 0xf0f0f0f, v2
	v_lshl_add_u64 v[2:3], v[70:71], 0, s[16:17]
	global_load_dword v2, v[2:3], off
	s_waitcnt vmcnt(0)
	v_ashrrev_i32_e32 v2, v105, v2
	v_lshlrev_b32_e32 v3, 4, v2
	v_and_or_b32 v3, v3, s24, v4
	v_lshlrev_b16_e32 v6, 8, v3
	v_add_u16_e32 v6, 0xe000, v6
	v_lshrrev_b32_e32 v4, 16, v3
	v_lshrrev_b16_e32 v6, 8, v6
	v_bitop3_b16 v3, v3, v6, s26 bitop3:0xec
	v_lshlrev_b16_e32 v6, 8, v4
	v_add_u16_e32 v6, 0xe000, v6
	v_lshrrev_b16_e32 v6, 8, v6
	v_and_or_b32 v2, v2, s24, v5
	v_bitop3_b16 v4, v4, v6, s26 bitop3:0xec
	v_lshlrev_b16_e32 v5, 8, v2
	v_add_u16_e32 v3, 0xe000, v3
	v_add_u16_sdwa v4, v4, s25 dst_sel:WORD_1 dst_unused:UNUSED_PAD src0_sel:DWORD src1_sel:DWORD
	v_add_u16_e32 v5, 0xe000, v5
	v_or_b32_e32 v3, v3, v4
	v_lshrrev_b32_e32 v4, 16, v2
	v_lshrrev_b16_e32 v5, 8, v5
	v_bitop3_b16 v2, v2, v5, s26 bitop3:0xec
	v_lshlrev_b16_e32 v5, 8, v4
	v_add_u16_e32 v5, 0xe000, v5
	v_lshrrev_b16_e32 v5, 8, v5
	v_bitop3_b16 v4, v4, v5, s26 bitop3:0xec
	v_add_u16_e32 v2, 0xe000, v2
	v_add_u16_sdwa v4, v4, s25 dst_sel:WORD_1 dst_unused:UNUSED_PAD src0_sel:DWORD src1_sel:DWORD
	s_nop 0
	v_or_b32_e32 v2, v2, v4
	v_add_u32_e32 v4, 0x5140, v112
	ds_write2_b32 v4, v3, v2 offset1:16
	v_lshl_add_u64 v[2:3], v[76:77], 0, s[16:17]
	global_load_dword v2, v[2:3], off
	s_waitcnt vmcnt(0)
	v_and_b32_e32 v4, 0xf0f0f0f, v2
	v_lshrrev_b32_e32 v2, 4, v2
	v_and_b32_e32 v5, 0xf0f0f0f, v2
	v_lshl_add_u64 v[2:3], v[74:75], 0, s[16:17]
	global_load_dword v2, v[2:3], off
	s_waitcnt vmcnt(0)
	v_ashrrev_i32_e32 v2, v105, v2
	v_lshlrev_b32_e32 v3, 4, v2
	v_and_or_b32 v3, v3, s24, v4
	v_lshlrev_b16_e32 v6, 8, v3
	v_add_u16_e32 v6, 0xe000, v6
	v_lshrrev_b32_e32 v4, 16, v3
	v_lshrrev_b16_e32 v6, 8, v6
	v_bitop3_b16 v3, v3, v6, s26 bitop3:0xec
	v_lshlrev_b16_e32 v6, 8, v4
	v_add_u16_e32 v6, 0xe000, v6
	v_lshrrev_b16_e32 v6, 8, v6
	v_and_or_b32 v2, v2, s24, v5
	v_bitop3_b16 v4, v4, v6, s26 bitop3:0xec
	v_lshlrev_b16_e32 v5, 8, v2
	v_add_u16_e32 v3, 0xe000, v3
	v_add_u16_sdwa v4, v4, s25 dst_sel:WORD_1 dst_unused:UNUSED_PAD src0_sel:DWORD src1_sel:DWORD
	v_add_u16_e32 v5, 0xe000, v5
	v_or_b32_e32 v3, v3, v4
	v_lshrrev_b32_e32 v4, 16, v2
	v_lshrrev_b16_e32 v5, 8, v5
	v_bitop3_b16 v2, v2, v5, s26 bitop3:0xec
	v_lshlrev_b16_e32 v5, 8, v4
	v_add_u16_e32 v5, 0xe000, v5
	v_lshrrev_b16_e32 v5, 8, v5
	v_bitop3_b16 v4, v4, v5, s26 bitop3:0xec
	v_add_u16_e32 v2, 0xe000, v2
	v_add_u16_sdwa v4, v4, s25 dst_sel:WORD_1 dst_unused:UNUSED_PAD src0_sel:DWORD src1_sel:DWORD
	s_nop 0
	v_or_b32_e32 v2, v2, v4
	v_add_u32_e32 v4, 0x5960, v112
	ds_write2_b32 v4, v3, v2 offset1:16
	;; [unrolled: 40-line block ×6, first 2 shown]
	v_lshl_add_u64 v[2:3], v[96:97], 0, s[16:17]
	global_load_ushort v2, v[2:3], off
	s_waitcnt vmcnt(0)
	v_cvt_f32_f16_e32 v2, v2
	ds_write_b32 v114, v2
	v_lshl_add_u64 v[2:3], v[98:99], 0, s[16:17]
	global_load_dword v2, v[2:3], off
	s_waitcnt vmcnt(0)
	ds_write_b32 v115, v2
	v_lshl_add_u64 v[2:3], v[100:101], 0, s[16:17]
	global_load_dword v2, v[2:3], off
	s_waitcnt vmcnt(0)
	ds_write_b32 v116, v2
	s_cbranch_scc0 .LBB195_5
; %bb.7:                                ;   in Loop: Header=BB195_6 Depth=1
	v_cmp_gt_i32_e64 s[2:3], s5, v121
	s_and_b64 s[20:21], s[0:1], s[2:3]
	s_and_saveexec_b64 s[2:3], s[20:21]
	s_cbranch_execz .LBB195_9
; %bb.8:                                ;   in Loop: Header=BB195_6 Depth=1
	v_add_u32_e32 v2, v28, v121
	v_mad_i64_i32 v[2:3], s[20:21], v2, 36, v[26:27]
	global_load_dword v2, v[2:3], off offset:4
	s_waitcnt vmcnt(0)
	ds_write_b32 v119, v2
.LBB195_9:                              ;   in Loop: Header=BB195_6 Depth=1
	s_or_b64 exec, exec, s[2:3]
	v_cmp_gt_i32_e64 s[2:3], s5, v24
	s_and_b64 s[20:21], s[18:19], s[2:3]
	s_and_saveexec_b64 s[2:3], s[20:21]
	s_cbranch_execz .LBB195_11
; %bb.10:                               ;   in Loop: Header=BB195_6 Depth=1
	v_add_u32_e32 v2, v28, v24
	v_mad_i64_i32 v[2:3], s[20:21], v2, 36, s[10:11]
	global_load_dword v2, v[2:3], off
	v_add_u32_e32 v3, v117, v120
	s_waitcnt vmcnt(0)
	v_cvt_f32_f16_e32 v2, v2
	ds_write_b32 v3, v2
.LBB195_11:                             ;   in Loop: Header=BB195_6 Depth=1
	s_or_b64 exec, exec, s[2:3]
	s_waitcnt lgkmcnt(0)
	s_barrier
	ds_read_b128 v[2:5], v118
	ds_read_b128 v[6:9], v118 offset:16
	ds_read_b128 v[10:13], v118 offset:32
	;; [unrolled: 1-line block ×3, first 2 shown]
	ds_read2_b32 v[18:19], v123 offset0:12 offset1:13
	ds_read2_b32 v[20:21], v123 offset0:6 offset1:7
	;; [unrolled: 1-line block ×4, first 2 shown]
	ds_read2_b32 v[108:109], v123 offset1:1
	ds_read2_b32 v[110:111], v123 offset0:14 offset1:15
	ds_read2_b32 v[138:139], v123 offset0:10 offset1:11
	v_mov_b32_e32 v146, 0
	v_mov_b32_e32 v147, 0
	;; [unrolled: 1-line block ×3, first 2 shown]
	s_waitcnt lgkmcnt(4)
	v_dot4c_i32_i8_e32 v146, v102, v6
	s_waitcnt lgkmcnt(2)
	v_dot4c_i32_i8_e32 v147, v108, v2
	v_dot4c_i32_i8_e32 v25, v18, v14
	ds_read2_b32 v[140:141], v123 offset0:8 offset1:9
	v_dot4c_i32_i8_e32 v146, v103, v7
	v_dot4c_i32_i8_e32 v147, v109, v3
	;; [unrolled: 1-line block ×5, first 2 shown]
	v_add_u32_e32 v18, 0x2098, v123
	v_add_u32_e32 v20, 0x2090, v123
	;; [unrolled: 1-line block ×5, first 2 shown]
	s_waitcnt lgkmcnt(2)
	v_dot4c_i32_i8_e32 v25, v110, v16
	v_dot4c_i32_i8_e32 v146, v21, v9
	;; [unrolled: 1-line block ×3, first 2 shown]
	ds_read2_b32 v[18:19], v18 offset1:1
	ds_read2_b32 v[20:21], v20 offset1:1
	ds_read2_b32 v[102:103], v102 offset1:1
	ds_read2_b32 v[106:107], v104 offset1:1
	ds_read2_b32 v[108:109], v108 offset1:1
	v_add_u32_e32 v104, 0x20b0, v123
	v_dot4c_i32_i8_e32 v25, v111, v17
	ds_read2_b32 v[110:111], v104 offset1:1
	v_mov_b32_e32 v137, 0
	s_waitcnt lgkmcnt(6)
	v_dot4c_i32_i8_e32 v137, v140, v10
	v_dot4c_i32_i8_e32 v137, v141, v11
	;; [unrolled: 1-line block ×3, first 2 shown]
	v_mov_b32_e32 v148, 0
	v_add_u32_e32 v104, 0x20a8, v123
	v_add_u32_e32 v140, 0x20a0, v123
	;; [unrolled: 1-line block ×3, first 2 shown]
	v_mov_b32_e32 v150, 0
	v_mov_b32_e32 v151, 0
	v_dot4c_i32_i8_e32 v137, v139, v13
	ds_read2_b32 v[138:139], v104 offset1:1
	ds_read2_b32 v[140:141], v140 offset1:1
	;; [unrolled: 1-line block ×3, first 2 shown]
	s_waitcnt lgkmcnt(3)
	v_dot4c_i32_i8_e32 v148, v110, v14
	v_dot4c_i32_i8_e32 v150, v20, v6
	;; [unrolled: 1-line block ×9, first 2 shown]
	v_add_u32_e32 v18, 0x4110, v123
	v_add_u32_e32 v20, 0x4108, v123
	;; [unrolled: 1-line block ×4, first 2 shown]
	v_dot4c_i32_i8_e32 v148, v109, v17
	v_mov_b32_e32 v149, 0
	ds_read_b32 v104, v131 offset:384
	v_dot4c_i32_i8_e32 v150, v19, v9
	v_dot4c_i32_i8_e32 v151, v103, v5
	ds_read_b32 v103, v129 offset:256
	ds_read2_b32 v[18:19], v18 offset1:1
	ds_read2_b32 v[20:21], v20 offset1:1
	;; [unrolled: 1-line block ×4, first 2 shown]
	v_add_u32_e32 v102, 0x4130, v123
	s_waitcnt lgkmcnt(7)
	v_dot4c_i32_i8_e32 v149, v140, v10
	ds_read2_b32 v[110:111], v102 offset1:1
	v_dot4c_i32_i8_e32 v149, v141, v11
	v_dot4c_i32_i8_e32 v149, v138, v12
	v_add_u32_e32 v102, 0x4128, v123
	v_add_u32_e32 v140, 0x4120, v123
	;; [unrolled: 1-line block ×3, first 2 shown]
	v_dot4c_i32_i8_e32 v149, v139, v13
	ds_read2_b32 v[138:139], v102 offset1:1
	ds_read2_b32 v[140:141], v140 offset1:1
	;; [unrolled: 1-line block ×3, first 2 shown]
	v_mov_b32_e32 v152, 0
	v_mov_b32_e32 v155, 0
	s_waitcnt lgkmcnt(3)
	v_dot4c_i32_i8_e32 v152, v110, v14
	v_dot4c_i32_i8_e32 v155, v106, v2
	;; [unrolled: 1-line block ×3, first 2 shown]
	v_mov_b32_e32 v153, 0
	v_mov_b32_e32 v154, 0
	v_dot4c_i32_i8_e32 v155, v107, v3
	v_dot4c_i32_i8_e32 v152, v108, v16
	s_waitcnt lgkmcnt(1)
	v_dot4c_i32_i8_e32 v153, v140, v10
	v_dot4c_i32_i8_e32 v154, v18, v6
	;; [unrolled: 1-line block ×3, first 2 shown]
	v_add_u32_e32 v18, 0x6190, v123
	v_add_u32_e32 v20, 0x6188, v123
	v_add_u32_e32 v102, 0x6180, v123
	v_add_u32_e32 v108, 0x61b8, v123
	v_dot4c_i32_i8_e32 v152, v109, v17
	v_dot4c_i32_i8_e32 v153, v141, v11
	;; [unrolled: 1-line block ×4, first 2 shown]
	ds_read2_b32 v[18:19], v18 offset1:1
	ds_read2_b32 v[20:21], v20 offset1:1
	ds_read2_b32 v[106:107], v102 offset1:1
	ds_read2_b32 v[108:109], v108 offset1:1
	v_add_u32_e32 v102, 0x61b0, v123
	v_dot4c_i32_i8_e32 v153, v138, v12
	v_dot4c_i32_i8_e32 v154, v142, v8
	ds_read2_b32 v[110:111], v102 offset1:1
	v_add_u32_e32 v102, 0x61a8, v123
	v_add_u32_e32 v140, 0x61a0, v123
	;; [unrolled: 1-line block ×3, first 2 shown]
	v_dot4c_i32_i8_e32 v153, v139, v13
	v_dot4c_i32_i8_e32 v154, v143, v9
	ds_read2_b32 v[138:139], v102 offset1:1
	ds_read2_b32 v[140:141], v140 offset1:1
	;; [unrolled: 1-line block ×3, first 2 shown]
	v_mov_b32_e32 v162, 0
	v_mov_b32_e32 v163, 0
	;; [unrolled: 1-line block ×4, first 2 shown]
	s_waitcnt lgkmcnt(3)
	v_dot4c_i32_i8_e32 v162, v110, v14
	s_waitcnt lgkmcnt(1)
	v_dot4c_i32_i8_e32 v163, v140, v10
	v_dot4c_i32_i8_e32 v164, v18, v6
	;; [unrolled: 1-line block ×15, first 2 shown]
	ds_read_b128 v[10:13], v118 offset:80
	ds_read_b128 v[6:9], v118 offset:64
	;; [unrolled: 1-line block ×4, first 2 shown]
	ds_read2_b32 v[2:3], v123 offset0:30 offset1:31
	ds_read2_b32 v[4:5], v123 offset0:28 offset1:29
	;; [unrolled: 1-line block ×6, first 2 shown]
	v_mov_b32_e32 v166, 0
	s_waitcnt lgkmcnt(4)
	v_dot4c_i32_i8_e32 v166, v4, v18
	v_dot4c_i32_i8_e32 v166, v5, v19
	;; [unrolled: 1-line block ×3, first 2 shown]
	ds_read2_b32 v[140:141], v123 offset0:26 offset1:27
	v_dot4c_i32_i8_e32 v166, v3, v21
	ds_read_b128 v[2:5], v120 offset:36944
	ds_read2_b32 v[144:145], v122 offset1:1
	v_mov_b32_e32 v167, 0
	s_waitcnt lgkmcnt(5)
	v_dot4c_i32_i8_e32 v167, v108, v10
	v_dot4c_i32_i8_e32 v167, v109, v11
	;; [unrolled: 1-line block ×3, first 2 shown]
	s_waitcnt lgkmcnt(0)
	v_ashrrev_i32_e32 v102, 24, v144
	v_bfe_i32 v106, v144, 8, 8
	v_dot4c_i32_i8_e32 v167, v107, v13
	v_mov_b32_e32 v168, 0
	v_bfe_i32 v108, v144, 16, 8
	v_bfe_i32 v107, v144, 0, 8
	v_mul_lo_u32 v102, v25, v102
	v_mul_lo_u32 v106, v146, v106
	v_dot4c_i32_i8_e32 v168, v138, v6
	v_mad_u64_u32 v[106:107], s[2:3], v147, v107, v[106:107]
	v_mad_u64_u32 v[108:109], s[2:3], v137, v108, v[102:103]
	v_dot4c_i32_i8_e32 v168, v139, v7
	v_cvt_f32_i32_e32 v139, v108
	v_cvt_f32_i32_e32 v138, v106
	ds_read_b32 v25, v124
	ds_read_b32 v102, v127 offset:128
	ds_read2_b32 v[106:107], v128 offset1:1
	ds_read2_b32 v[108:109], v126 offset1:1
	v_dot4c_i32_i8_e32 v168, v110, v8
	v_dot4c_i32_i8_e32 v168, v111, v9
	v_pk_mul_f32 v[110:111], v[2:3], v[138:139]
	s_waitcnt lgkmcnt(1)
	v_bfe_i32 v144, v106, 0, 8
	v_add_f32_e32 v137, 0, v110
	v_bfe_i32 v110, v106, 8, 8
	s_waitcnt lgkmcnt(0)
	v_bfe_i32 v138, v108, 8, 8
	v_mul_lo_u32 v110, v154, v110
	v_mul_lo_u32 v138, v150, v138
	v_bfe_i32 v139, v108, 0, 8
	v_mad_u64_u32 v[146:147], s[2:3], v155, v144, v[110:111]
	v_bfe_i32 v110, v106, 16, 8
	v_bfe_i32 v144, v108, 16, 8
	v_ashrrev_i32_e32 v108, 24, v108
	v_ashrrev_i32_e32 v106, 24, v106
	v_mad_u64_u32 v[138:139], s[2:3], v151, v139, v[138:139]
	v_mul_lo_u32 v106, v152, v106
	v_mul_lo_u32 v108, v148, v108
	v_cvt_f32_i32_e32 v139, v146
	v_cvt_f32_i32_e32 v138, v138
	v_mad_u64_u32 v[146:147], s[2:3], v149, v144, v[108:109]
	v_mad_u64_u32 v[148:149], s[2:3], v153, v110, v[106:107]
	v_cvt_f32_i32_e32 v147, v148
	v_cvt_f32_i32_e32 v146, v146
	v_add_f32_e32 v106, v137, v111
	v_pk_fma_f32 v[110:111], v[2:3], v[138:139], 0 op_sel_hi:[0,1,0]
	v_add_u32_e32 v108, 0x61d0, v123
	v_add_u32_e32 v152, 0x61f8, v123
	v_pk_fma_f32 v[110:111], v[2:3], v[146:147], v[110:111] op_sel:[1,0,0]
	ds_read2_b32 v[138:139], v130 offset1:1
	v_add_u32_e32 v137, 0x61c8, v123
	v_add_u32_e32 v144, 0x61c0, v123
	ds_read2_b32 v[146:147], v108 offset1:1
	ds_read2_b32 v[148:149], v137 offset1:1
	;; [unrolled: 1-line block ×4, first 2 shown]
	v_add_u32_e32 v108, 0x61f0, v123
	ds_read2_b32 v[154:155], v108 offset1:1
	v_add_u32_e32 v108, 0x61e8, v123
	v_add_u32_e32 v160, 0x20d8, v123
	;; [unrolled: 1-line block ×3, first 2 shown]
	ds_read2_b32 v[156:157], v108 offset1:1
	ds_read2_b32 v[158:159], v144 offset1:1
	;; [unrolled: 1-line block ×3, first 2 shown]
	v_mov_b32_e32 v108, 0
	s_waitcnt lgkmcnt(7)
	v_dot4c_i32_i8_e32 v108, v146, v10
	v_mov_b32_e32 v146, 0
	v_dot4c_i32_i8_e32 v108, v147, v11
	s_waitcnt lgkmcnt(5)
	v_dot4c_i32_i8_e32 v146, v150, v6
	v_dot4c_i32_i8_e32 v108, v142, v12
	;; [unrolled: 1-line block ×4, first 2 shown]
	v_bfe_i32 v142, v138, 8, 8
	v_bfe_i32 v143, v139, 8, 8
	v_dot4c_i32_i8_e32 v146, v148, v8
	v_mul_lo_u32 v108, v108, v143
	v_mul_lo_u32 v142, v164, v142
	v_dot4c_i32_i8_e32 v146, v149, v9
	v_bfe_i32 v147, v139, 0, 8
	v_bfe_i32 v143, v138, 0, 8
	v_mov_b32_e32 v137, 0
	v_mad_u64_u32 v[142:143], s[2:3], v165, v143, v[142:143]
	v_mad_u64_u32 v[146:147], s[2:3], v146, v147, v[108:109]
	s_waitcnt lgkmcnt(3)
	v_dot4c_i32_i8_e32 v137, v154, v18
	v_mov_b32_e32 v144, 0
	v_cvt_f32_i32_e32 v143, v146
	v_cvt_f32_i32_e32 v142, v142
	v_dot4c_i32_i8_e32 v137, v155, v19
	s_waitcnt lgkmcnt(1)
	v_dot4c_i32_i8_e32 v144, v158, v14
	ds_read2_b32 v[148:149], v123 offset0:24 offset1:25
	v_dot4c_i32_i8_e32 v137, v152, v20
	v_dot4c_i32_i8_e32 v144, v159, v15
	;; [unrolled: 1-line block ×4, first 2 shown]
	v_mov_b32_e32 v146, v2
	v_mov_b32_e32 v147, v4
	v_ashrrev_i32_e32 v108, 24, v138
	v_ashrrev_i32_e32 v2, 24, v139
	v_dot4c_i32_i8_e32 v144, v157, v17
	v_pk_fma_f32 v[142:143], v[146:147], v[142:143], 0 op_sel_hi:[1,1,0]
	v_bfe_i32 v146, v139, 16, 8
	v_bfe_i32 v147, v138, 16, 8
	v_mul_lo_u32 v2, v137, v2
	v_mul_lo_u32 v108, v162, v108
	v_mad_u64_u32 v[138:139], s[2:3], v163, v147, v[108:109]
	v_mad_u64_u32 v[146:147], s[2:3], v144, v146, v[2:3]
	v_mov_b32_e32 v2, v3
	v_mov_b32_e32 v3, 0
	s_waitcnt lgkmcnt(0)
	v_dot4c_i32_i8_e32 v3, v148, v14
	v_dot4c_i32_i8_e32 v3, v149, v15
	;; [unrolled: 1-line block ×3, first 2 shown]
	v_ashrrev_i32_e32 v108, 24, v145
	v_bfe_i32 v140, v145, 8, 8
	v_dot4c_i32_i8_e32 v3, v141, v17
	v_bfe_i32 v137, v145, 16, 8
	v_bfe_i32 v141, v145, 0, 8
	v_mul_lo_u32 v108, v166, v108
	v_mul_lo_u32 v140, v167, v140
	v_mad_u64_u32 v[140:141], s[2:3], v168, v141, v[140:141]
	v_mad_u64_u32 v[144:145], s[2:3], v3, v137, v[108:109]
	v_cvt_f32_i32_e32 v139, v146
	v_cvt_f32_i32_e32 v138, v138
	v_cvt_f32_i32_e32 v141, v144
	v_cvt_f32_i32_e32 v140, v140
	v_mov_b32_e32 v3, v5
	v_pk_fma_f32 v[2:3], v[2:3], v[138:139], v[142:143]
	v_add_u32_e32 v108, 0x20d0, v123
	v_pk_mul_f32 v[138:139], v[4:5], v[140:141]
	v_pk_mul_f32 v[2:3], v[104:105], v[2:3] op_sel_hi:[0,1]
	v_add_f32_e32 v104, 0, v138
	v_add_u32_e32 v142, 0x20c0, v123
	v_add_u32_e32 v144, 0x20f8, v123
	v_add_f32_e32 v104, v104, v139
	v_add_u32_e32 v137, 0x20c8, v123
	ds_read2_b32 v[138:139], v108 offset1:1
	ds_read2_b32 v[140:141], v137 offset1:1
	ds_read2_b32 v[142:143], v142 offset1:1
	ds_read2_b32 v[144:145], v144 offset1:1
	v_add_u32_e32 v108, 0x20f0, v123
	ds_read2_b32 v[146:147], v108 offset1:1
	v_add_u32_e32 v137, 0x20e8, v123
	v_add_u32_e32 v150, 0x20e0, v123
	;; [unrolled: 1-line block ×3, first 2 shown]
	ds_read2_b32 v[148:149], v137 offset1:1
	ds_read2_b32 v[150:151], v150 offset1:1
	;; [unrolled: 1-line block ×3, first 2 shown]
	v_mov_b32_e32 v108, 0
	v_mov_b32_e32 v155, 0
	s_waitcnt lgkmcnt(3)
	v_dot4c_i32_i8_e32 v108, v146, v18
	v_mov_b32_e32 v137, 0
	v_dot4c_i32_i8_e32 v155, v142, v6
	v_dot4c_i32_i8_e32 v108, v147, v19
	s_waitcnt lgkmcnt(1)
	v_dot4c_i32_i8_e32 v137, v150, v14
	v_mov_b32_e32 v154, 0
	v_dot4c_i32_i8_e32 v155, v143, v7
	v_dot4c_i32_i8_e32 v108, v144, v20
	;; [unrolled: 1-line block ×5, first 2 shown]
	v_add_u32_e32 v138, 0x4150, v123
	v_add_u32_e32 v140, 0x4148, v123
	v_add_u32_e32 v142, 0x4140, v123
	v_add_u32_e32 v144, 0x4178, v123
	v_add_u32_e32 v146, 0x4170, v123
	v_dot4c_i32_i8_e32 v108, v145, v21
	v_dot4c_i32_i8_e32 v137, v148, v16
	;; [unrolled: 1-line block ×4, first 2 shown]
	ds_read2_b32 v[138:139], v138 offset1:1
	ds_read2_b32 v[140:141], v140 offset1:1
	;; [unrolled: 1-line block ×5, first 2 shown]
	v_add_u32_e32 v148, 0x4168, v123
	v_add_u32_e32 v150, 0x4160, v123
	v_dot4c_i32_i8_e32 v137, v149, v17
	ds_read2_b32 v[148:149], v148 offset1:1
	ds_read2_b32 v[150:151], v150 offset1:1
	v_mov_b32_e32 v156, 0
	s_waitcnt lgkmcnt(2)
	v_dot4c_i32_i8_e32 v156, v146, v18
	v_mov_b32_e32 v18, 0
	v_dot4c_i32_i8_e32 v154, v160, v12
	s_waitcnt lgkmcnt(0)
	v_dot4c_i32_i8_e32 v18, v150, v14
	v_mov_b32_e32 v14, 0
	v_dot4c_i32_i8_e32 v14, v138, v10
	v_mov_b32_e32 v10, 0
	v_dot4c_i32_i8_e32 v14, v139, v11
	v_dot4c_i32_i8_e32 v10, v142, v6
	;; [unrolled: 1-line block ×7, first 2 shown]
	v_bfe_i32 v7, v109, 8, 8
	v_bfe_i32 v6, v107, 8, 8
	v_dot4c_i32_i8_e32 v156, v147, v19
	v_dot4c_i32_i8_e32 v10, v141, v9
	v_mul_lo_u32 v6, v14, v6
	v_mul_lo_u32 v8, v154, v7
	v_bfe_i32 v7, v107, 0, 8
	v_bfe_i32 v9, v109, 0, 8
	v_dot4c_i32_i8_e32 v156, v144, v20
	v_dot4c_i32_i8_e32 v18, v151, v15
	v_mad_u64_u32 v[8:9], s[2:3], v155, v9, v[8:9]
	v_mad_u64_u32 v[6:7], s[2:3], v10, v7, v[6:7]
	v_dot4c_i32_i8_e32 v156, v145, v21
	v_dot4c_i32_i8_e32 v18, v148, v16
	v_cvt_f32_i32_e32 v7, v6
	v_cvt_f32_i32_e32 v6, v8
	v_ashrrev_i32_e32 v10, 24, v109
	v_ashrrev_i32_e32 v8, 24, v107
	v_dot4c_i32_i8_e32 v18, v149, v17
	v_bfe_i32 v9, v107, 16, 8
	v_bfe_i32 v11, v109, 16, 8
	v_mul_lo_u32 v8, v156, v8
	v_mul_lo_u32 v10, v108, v10
	v_mad_u64_u32 v[10:11], s[2:3], v137, v11, v[10:11]
	v_mad_u64_u32 v[8:9], s[2:3], v18, v9, v[8:9]
	v_cvt_f32_i32_e32 v9, v8
	v_cvt_f32_i32_e32 v8, v10
	v_pk_fma_f32 v[6:7], v[4:5], v[6:7], 0 op_sel_hi:[0,1,0]
	v_mov_b32_e32 v4, v5
	v_pk_mul_f32 v[110:111], v[102:103], v[110:111]
	v_pk_fma_f32 v[4:5], v[4:5], v[8:9], v[6:7] op_sel_hi:[0,1,1]
	v_mul_f32_e32 v106, v25, v106
	v_pk_mul_f32 v[4:5], v[102:103], v[4:5]
	v_mov_b32_e32 v107, v110
	v_pk_mov_b32 v[8:9], v[110:111], v[2:3] op_sel:[1,0]
	v_mul_f32_e32 v10, v25, v104
	v_pk_add_f32 v[6:7], v[22:23], v[106:107]
	v_pk_add_f32 v[8:9], v[86:87], v[8:9]
	v_mov_b32_e32 v2, v5
	v_mov_b32_e32 v11, v4
	v_pk_add_f32 v[86:87], v[8:9], v[2:3]
	v_pk_add_f32 v[22:23], v[6:7], v[10:11]
	s_cmp_ge_i32 s14, s15
	s_barrier
	s_cbranch_scc1 .LBB195_5
; %bb.12:                               ;   in Loop: Header=BB195_6 Depth=1
	v_cmp_gt_i32_e64 s[2:3], s5, v125
	s_and_b64 s[20:21], s[0:1], s[2:3]
	s_and_saveexec_b64 s[2:3], s[20:21]
	s_cbranch_execz .LBB195_14
; %bb.13:                               ;   in Loop: Header=BB195_6 Depth=1
	v_add_u32_e32 v2, v28, v125
	v_mad_i64_i32 v[2:3], s[20:21], v2, 36, v[26:27]
	global_load_dword v2, v[2:3], off offset:4
	s_waitcnt vmcnt(0)
	ds_write_b32 v119, v2
.LBB195_14:                             ;   in Loop: Header=BB195_6 Depth=1
	s_or_b64 exec, exec, s[2:3]
	s_and_saveexec_b64 s[20:21], vcc
	s_cbranch_execz .LBB195_4
; %bb.15:                               ;   in Loop: Header=BB195_6 Depth=1
	v_add_u32_e32 v2, 4, v24
	v_cmp_gt_i32_e64 s[2:3], s5, v2
	s_and_b64 s[2:3], s[0:1], s[2:3]
	s_and_b64 exec, exec, s[2:3]
	s_cbranch_execz .LBB195_4
; %bb.16:                               ;   in Loop: Header=BB195_6 Depth=1
	v_ashrrev_i32_e32 v25, 31, v24
	v_lshl_add_u64 v[2:3], v[28:29], 0, v[24:25]
	v_mad_u64_u32 v[4:5], s[2:3], v2, 36, s[10:11]
	v_mad_i32_i24 v5, v3, 36, v5
	global_load_dword v2, v[4:5], off offset:144
	v_add_u32_e32 v3, v117, v120
	s_waitcnt vmcnt(0)
	v_cvt_f32_f16_e32 v2, v2
	ds_write_b32 v3, v2
	s_branch .LBB195_4
.LBB195_17:
	s_mul_i32 s0, s7, s4
	s_waitcnt vmcnt(0)
	v_cmp_gt_i32_e32 vcc, s0, v1
	s_and_saveexec_b64 s[0:1], vcc
	s_cbranch_execz .LBB195_26
; %bb.18:
	v_and_b32_e32 v0, 0x3ff, v0
	v_add_u32_e32 v2, s22, v0
	v_mul_lo_u32 v0, v1, s6
	v_cmp_gt_u32_e32 vcc, s6, v2
	s_and_saveexec_b64 s[0:1], vcc
	s_cbranch_execz .LBB195_20
; %bb.19:
	v_add_u32_e32 v4, v0, v2
	v_mov_b32_e32 v5, 0
	v_lshl_add_u64 v[4:5], v[4:5], 2, s[12:13]
	global_store_dword v[4:5], v22, off
.LBB195_20:
	s_or_b64 exec, exec, s[0:1]
	v_add_u32_e32 v1, 32, v2
	v_cmp_gt_u32_e32 vcc, s6, v1
	s_and_saveexec_b64 s[0:1], vcc
	s_cbranch_execz .LBB195_22
; %bb.21:
	v_add_u32_e32 v4, v0, v1
	v_mov_b32_e32 v5, 0
	v_lshl_add_u64 v[4:5], v[4:5], 2, s[12:13]
	global_store_dword v[4:5], v23, off
.LBB195_22:
	s_or_b64 exec, exec, s[0:1]
	v_add_u32_e32 v1, 64, v2
	;; [unrolled: 11-line block ×3, first 2 shown]
	v_cmp_gt_u32_e32 vcc, s6, v1
	s_and_b64 exec, exec, vcc
	s_cbranch_execz .LBB195_26
; %bb.25:
	v_add_u32_e32 v0, v0, v1
	v_mov_b32_e32 v1, 0
	v_lshl_add_u64 v[0:1], v[0:1], 2, s[12:13]
	global_store_dword v[0:1], v87, off
.LBB195_26:
	s_endpgm
	.section	.rodata,"a",@progbits
	.p2align	6, 0x0
	.amdhsa_kernel _ZL8moe_q6_KIfLb0EEvPKvS1_PT_PKiS5_S5_iiiiiii
		.amdhsa_group_segment_fixed_size 37072
		.amdhsa_private_segment_fixed_size 0
		.amdhsa_kernarg_size 76
		.amdhsa_user_sgpr_count 2
		.amdhsa_user_sgpr_dispatch_ptr 0
		.amdhsa_user_sgpr_queue_ptr 0
		.amdhsa_user_sgpr_kernarg_segment_ptr 1
		.amdhsa_user_sgpr_dispatch_id 0
		.amdhsa_user_sgpr_kernarg_preload_length 0
		.amdhsa_user_sgpr_kernarg_preload_offset 0
		.amdhsa_user_sgpr_private_segment_size 0
		.amdhsa_uses_dynamic_stack 0
		.amdhsa_enable_private_segment 0
		.amdhsa_system_sgpr_workgroup_id_x 1
		.amdhsa_system_sgpr_workgroup_id_y 1
		.amdhsa_system_sgpr_workgroup_id_z 0
		.amdhsa_system_sgpr_workgroup_info 0
		.amdhsa_system_vgpr_workitem_id 1
		.amdhsa_next_free_vgpr 169
		.amdhsa_next_free_sgpr 96
		.amdhsa_accum_offset 172
		.amdhsa_reserve_vcc 1
		.amdhsa_float_round_mode_32 0
		.amdhsa_float_round_mode_16_64 0
		.amdhsa_float_denorm_mode_32 3
		.amdhsa_float_denorm_mode_16_64 3
		.amdhsa_dx10_clamp 1
		.amdhsa_ieee_mode 1
		.amdhsa_fp16_overflow 0
		.amdhsa_tg_split 0
		.amdhsa_exception_fp_ieee_invalid_op 0
		.amdhsa_exception_fp_denorm_src 0
		.amdhsa_exception_fp_ieee_div_zero 0
		.amdhsa_exception_fp_ieee_overflow 0
		.amdhsa_exception_fp_ieee_underflow 0
		.amdhsa_exception_fp_ieee_inexact 0
		.amdhsa_exception_int_div_zero 0
	.end_amdhsa_kernel
	.section	.text._ZL8moe_q6_KIfLb0EEvPKvS1_PT_PKiS5_S5_iiiiiii,"axG",@progbits,_ZL8moe_q6_KIfLb0EEvPKvS1_PT_PKiS5_S5_iiiiiii,comdat
.Lfunc_end195:
	.size	_ZL8moe_q6_KIfLb0EEvPKvS1_PT_PKiS5_S5_iiiiiii, .Lfunc_end195-_ZL8moe_q6_KIfLb0EEvPKvS1_PT_PKiS5_S5_iiiiiii
                                        ; -- End function
	.set _ZL8moe_q6_KIfLb0EEvPKvS1_PT_PKiS5_S5_iiiiiii.num_vgpr, 169
	.set _ZL8moe_q6_KIfLb0EEvPKvS1_PT_PKiS5_S5_iiiiiii.num_agpr, 0
	.set _ZL8moe_q6_KIfLb0EEvPKvS1_PT_PKiS5_S5_iiiiiii.numbered_sgpr, 27
	.set _ZL8moe_q6_KIfLb0EEvPKvS1_PT_PKiS5_S5_iiiiiii.num_named_barrier, 0
	.set _ZL8moe_q6_KIfLb0EEvPKvS1_PT_PKiS5_S5_iiiiiii.private_seg_size, 0
	.set _ZL8moe_q6_KIfLb0EEvPKvS1_PT_PKiS5_S5_iiiiiii.uses_vcc, 1
	.set _ZL8moe_q6_KIfLb0EEvPKvS1_PT_PKiS5_S5_iiiiiii.uses_flat_scratch, 0
	.set _ZL8moe_q6_KIfLb0EEvPKvS1_PT_PKiS5_S5_iiiiiii.has_dyn_sized_stack, 0
	.set _ZL8moe_q6_KIfLb0EEvPKvS1_PT_PKiS5_S5_iiiiiii.has_recursion, 0
	.set _ZL8moe_q6_KIfLb0EEvPKvS1_PT_PKiS5_S5_iiiiiii.has_indirect_call, 0
	.section	.AMDGPU.csdata,"",@progbits
; Kernel info:
; codeLenInByte = 11888
; TotalNumSgprs: 33
; NumVgprs: 169
; NumAgprs: 0
; TotalNumVgprs: 169
; ScratchSize: 0
; MemoryBound: 0
; FloatMode: 240
; IeeeMode: 1
; LDSByteSize: 37072 bytes/workgroup (compile time only)
; SGPRBlocks: 12
; VGPRBlocks: 21
; NumSGPRsForWavesPerEU: 102
; NumVGPRsForWavesPerEU: 169
; AccumOffset: 172
; Occupancy: 2
; WaveLimiterHint : 1
; COMPUTE_PGM_RSRC2:SCRATCH_EN: 0
; COMPUTE_PGM_RSRC2:USER_SGPR: 2
; COMPUTE_PGM_RSRC2:TRAP_HANDLER: 0
; COMPUTE_PGM_RSRC2:TGID_X_EN: 1
; COMPUTE_PGM_RSRC2:TGID_Y_EN: 1
; COMPUTE_PGM_RSRC2:TGID_Z_EN: 0
; COMPUTE_PGM_RSRC2:TIDIG_COMP_CNT: 1
; COMPUTE_PGM_RSRC3_GFX90A:ACCUM_OFFSET: 42
; COMPUTE_PGM_RSRC3_GFX90A:TG_SPLIT: 0
	.section	.text._ZL8moe_q6_KIfLb1EEvPKvS1_PT_PKiS5_S5_iiiiiii,"axG",@progbits,_ZL8moe_q6_KIfLb1EEvPKvS1_PT_PKiS5_S5_iiiiiii,comdat
	.globl	_ZL8moe_q6_KIfLb1EEvPKvS1_PT_PKiS5_S5_iiiiiii ; -- Begin function _ZL8moe_q6_KIfLb1EEvPKvS1_PT_PKiS5_S5_iiiiiii
	.p2align	8
	.type	_ZL8moe_q6_KIfLb1EEvPKvS1_PT_PKiS5_S5_iiiiiii,@function
_ZL8moe_q6_KIfLb1EEvPKvS1_PT_PKiS5_S5_iiiiiii: ; @_ZL8moe_q6_KIfLb1EEvPKvS1_PT_PKiS5_S5_iiiiiii
; %bb.0:
	s_load_dwordx4 s[4:7], s[0:1], 0x18
	s_mov_b32 s8, s3
	s_mov_b32 s9, 0
	s_lshl_b64 s[10:11], s[8:9], 2
	s_waitcnt lgkmcnt(0)
	s_add_u32 s6, s6, s10
	s_addc_u32 s7, s7, s11
	s_load_dword s3, s[6:7], 0x0
	s_waitcnt lgkmcnt(0)
	s_cmpk_gt_u32 s3, 0xff
	s_cbranch_scc1 .LBB196_26
; %bb.1:
	s_load_dwordx2 s[6:7], s[0:1], 0x28
	s_waitcnt lgkmcnt(0)
	s_load_dword s7, s[6:7], 0x0
	s_lshl_b32 s6, s8, 3
	s_waitcnt lgkmcnt(0)
	s_cmp_gt_u32 s6, s7
	s_cbranch_scc1 .LBB196_26
; %bb.2:
	v_bfe_u32 v2, v0, 10, 10
	v_mov_b32_e32 v4, s4
	v_mov_b32_e32 v5, s5
	v_add_u32_e32 v102, s6, v2
	v_mov_b32_e32 v103, 0
	v_lshl_add_u64 v[4:5], v[102:103], 2, v[4:5]
	global_load_dword v1, v[4:5], off
	s_load_dwordx8 s[4:11], s[0:1], 0x30
	s_load_dwordx2 s[16:17], s[0:1], 0x10
	s_waitcnt lgkmcnt(0)
	s_lshl_b32 s11, s2, 7
	v_mov_b32_e32 v102, v103
	v_mov_b32_e32 v23, v103
	s_cmpk_lt_i32 s5, 0x100
	v_mov_b32_e32 v22, v103
	s_cbranch_scc1 .LBB196_17
; %bb.3:
	s_load_dwordx4 s[12:15], s[0:1], 0x0
	s_ashr_i32 s0, s5, 31
	s_lshr_b32 s0, s0, 24
	v_and_b32_e32 v3, 31, v0
	s_add_i32 s0, s5, s0
	v_lshlrev_b32_e32 v4, 1, v3
	v_add_u16_e32 v5, -16, v3
	v_cmp_gt_u32_e32 vcc, 16, v3
	s_ashr_i32 s24, s0, 8
	s_ashr_i32 s0, s8, 31
	v_lshlrev_b32_e32 v22, 2, v3
	v_cndmask_b32_e32 v25, v5, v3, vcc
	v_add_u32_e32 v3, 0xe0, v4
	s_lshr_b32 s0, s0, 27
	v_cndmask_b32_e32 v3, v3, v4, vcc
	s_add_i32 s0, s8, s0
	v_and_b32_e32 v3, 0xfe, v3
	s_ashr_i32 s8, s0, 5
	s_not_b32 s0, s11
	v_sub_u32_e32 v3, v4, v3
	v_and_b32_e32 v4, 15, v0
	s_add_i32 s2, s6, s0
	v_add_lshl_u32 v4, v3, v4, 2
	v_add_u32_e32 v3, 8, v2
	s_mul_i32 s18, s3, s4
	v_min_i32_e32 v5, s2, v2
	s_movk_i32 s3, 0x104
	v_min_i32_e32 v3, s2, v3
	v_mul_lo_u32 v12, v3, s24
	v_mad_u64_u32 v[28:29], s[0:1], v3, s3, v[4:5]
	v_add_u32_e32 v3, 16, v2
	v_min_i32_e32 v3, s2, v3
	v_mul_lo_u32 v13, v3, s24
	v_mad_u64_u32 v[30:31], s[0:1], v3, s3, v[4:5]
	v_add_u32_e32 v3, 24, v2
	;; [unrolled: 4-line block ×14, first 2 shown]
	v_and_b32_e32 v24, 0x3ff, v0
	v_min_i32_e32 v3, s2, v3
	v_mul_lo_u32 v55, v3, s24
	v_mad_u64_u32 v[56:57], s[0:1], v3, s3, v[4:5]
	v_lshl_add_u32 v3, v2, 5, v24
	v_and_b32_e32 v3, 0x7f, v3
	v_min_i32_e32 v3, s2, v3
	v_mad_u64_u32 v[26:27], s[0:1], v5, s3, v[4:5]
	v_ashrrev_i32_e32 v4, 31, v3
	v_lshrrev_b32_e32 v4, 27, v4
	v_add_u32_e32 v4, v3, v4
	v_ashrrev_i32_e32 v4, 5, v4
	v_mul_lo_u32 v57, v3, s24
	v_lshlrev_b32_e32 v4, 2, v4
	v_lshlrev_b32_e32 v3, 2, v3
	s_mov_b32 s0, 0x8e40
	v_add3_u32 v27, v4, v3, s0
	v_bfe_u32 v3, v0, 2, 8
	v_lshl_add_u32 v3, v2, 3, v3
	v_and_b32_e32 v6, 0x7f, v3
	v_min_i32_e32 v6, s2, v6
	v_ashrrev_i32_e32 v7, 31, v6
	v_lshrrev_b32_e32 v7, 29, v7
	v_mul_lo_u32 v106, v6, s24
	v_add_u32_e32 v7, v6, v7
	v_lshlrev_b32_e32 v113, 4, v6
	v_mov_b32_e32 v6, 0x7f
	v_bitop3_b32 v3, v3, 64, v6 bitop3:0x6c
	v_min_i32_e32 v3, s2, v3
	v_ashrrev_i32_e32 v6, 31, v3
	v_mov_b32_e32 v11, 0x8a40
	v_bfe_u32 v35, v0, 3, 7
	v_bfe_u32 v8, v0, 5, 5
	s_mov_b32 s1, 0x8200
	v_lshrrev_b32_e32 v6, 29, v6
	v_lshl_add_u32 v31, v2, 7, v11
	v_lshlrev_b32_e32 v33, 4, v2
	v_lshlrev_b32_e32 v2, 2, v35
	;; [unrolled: 1-line block ×3, first 2 shown]
	v_mul_lo_u32 v107, v3, s24
	v_add_u32_e32 v6, v3, v6
	v_lshlrev_b32_e32 v115, 4, v3
	v_lshlrev_b32_e32 v3, 2, v24
	v_add3_u32 v37, v11, v2, s1
	v_lshlrev_b32_e32 v2, 2, v8
	v_add3_u32 v39, v2, v3, s0
	v_add_u32_e32 v2, 32, v24
	v_lshrrev_b32_e32 v41, 3, v2
	v_lshlrev_b32_e32 v11, 2, v41
	v_lshlrev_b32_e32 v2, 4, v2
	v_add3_u32 v43, v11, v2, s1
	v_and_b32_e32 v2, 60, v41
	v_add3_u32 v45, v3, v2, s0
	v_add_u32_e32 v2, 64, v24
	v_lshrrev_b32_e32 v11, 3, v2
	v_lshlrev_b32_e32 v47, 2, v11
	v_lshlrev_b32_e32 v2, 4, v2
	s_abs_i32 s2, s10
	v_add3_u32 v47, v47, v2, s1
	v_and_b32_e32 v2, 60, v11
	v_cvt_f32_u32_e32 v53, s2
	v_add3_u32 v49, v3, v2, s0
	v_add_u32_e32 v2, 0x60, v24
	v_lshrrev_b32_e32 v11, 3, v2
	v_lshlrev_b32_e32 v51, 2, v11
	v_lshlrev_b32_e32 v2, 4, v2
	v_add3_u32 v51, v51, v2, s1
	v_and_b32_e32 v2, 60, v11
	v_rcp_iflag_f32_e32 v11, v53
	v_lshlrev_b32_e32 v4, 2, v0
	v_ashrrev_i32_e32 v6, 3, v6
	v_and_b32_e32 v4, 12, v4
	v_lshlrev_b32_e32 v6, 2, v6
	v_add3_u32 v114, v6, v4, s1
	v_add_u32_e32 v29, 0x9050, v3
	v_and_b32_e32 v6, 28, v3
	v_add3_u32 v53, v3, v2, s0
	v_mul_f32_e32 v3, 0x4f7ffffe, v11
	v_cvt_u32_f32_e32 v3, v3
	s_sub_i32 s0, 0, s2
	s_waitcnt vmcnt(0)
	v_sub_u32_e32 v11, 0, v1
	v_max_i32_e32 v11, v1, v11
	v_mul_lo_u32 v58, s0, v3
	v_mul_hi_u32 v58, v3, v58
	v_add_u32_e32 v3, v3, v58
	v_mul_hi_u32 v3, v11, v3
	v_ashrrev_i32_e32 v7, 3, v7
	v_mul_lo_u32 v58, v3, s2
	v_lshlrev_b32_e32 v7, 2, v7
	v_sub_u32_e32 v11, v11, v58
	v_add3_u32 v112, v7, v4, s1
	v_add_u32_e32 v58, 1, v3
	v_cmp_le_u32_e64 s[0:1], s2, v11
	v_xor_b32_e32 v2, s10, v1
	v_ashrrev_i32_e32 v2, 31, v2
	v_cndmask_b32_e64 v3, v3, v58, s[0:1]
	v_subrev_u32_e32 v58, s2, v11
	v_cndmask_b32_e64 v11, v11, v58, s[0:1]
	v_add_u32_e32 v58, 1, v3
	v_cmp_le_u32_e64 s[0:1], s2, v11
	s_mul_i32 s4, s24, s11
	s_mul_hi_i32 s23, s4, 0xd2
	v_cndmask_b32_e64 v3, v3, v58, s[0:1]
	v_xor_b32_e32 v3, v3, v2
	v_sub_u32_e32 v2, v3, v2
	s_mul_i32 s22, s4, 0xd2
	v_mov_b32_e32 v23, 0
	v_and_b32_e32 v9, 7, v0
	v_cmp_gt_i32_e64 s[0:1], s7, v2
	v_mul_lo_u32 v60, v2, s8
	s_movk_i32 s6, 0xd2
	v_mov_b64_e32 v[2:3], s[22:23]
	v_mul_lo_u32 v10, v5, s24
	v_mov_b32_e32 v7, v23
	v_mad_u64_u32 v[2:3], s[2:3], v8, s6, v[2:3]
	v_lshlrev_b32_e32 v8, 1, v24
	v_lshlrev_b32_e32 v9, 2, v9
	s_waitcnt lgkmcnt(0)
	v_lshl_add_u64 v[58:59], s[14:15], 0, v[6:7]
	v_mad_i64_i32 v[6:7], s[2:3], v10, s6, v[2:3]
	v_and_or_b32 v8, v8, 32, v9
	v_mov_b32_e32 v9, v23
	v_lshl_add_u64 v[10:11], v[6:7], 0, v[8:9]
	v_lshl_add_u64 v[6:7], v[6:7], 0, v[22:23]
	;; [unrolled: 1-line block ×3, first 2 shown]
	s_mov_b64 s[2:3], 0x80
	v_lshl_add_u64 v[64:65], s[12:13], 0, v[6:7]
	v_mad_i64_i32 v[6:7], s[26:27], v12, s6, v[2:3]
	v_lshl_add_u64 v[62:63], v[10:11], 0, s[2:3]
	v_lshl_add_u64 v[10:11], v[6:7], 0, v[8:9]
	v_lshl_add_u64 v[6:7], v[6:7], 0, v[22:23]
	v_lshl_add_u64 v[10:11], s[12:13], 0, v[10:11]
	v_lshl_add_u64 v[68:69], s[12:13], 0, v[6:7]
	v_mad_i64_i32 v[6:7], s[26:27], v13, s6, v[2:3]
	v_lshl_add_u64 v[66:67], v[10:11], 0, s[2:3]
	v_lshl_add_u64 v[10:11], v[6:7], 0, v[8:9]
	v_lshl_add_u64 v[6:7], v[6:7], 0, v[22:23]
	v_lshl_add_u64 v[10:11], s[12:13], 0, v[10:11]
	;; [unrolled: 6-line block ×7, first 2 shown]
	v_lshl_add_u64 v[92:93], s[12:13], 0, v[6:7]
	v_mad_i64_i32 v[6:7], s[26:27], v19, s6, v[2:3]
	v_cmp_gt_u32_e32 vcc, 4, v24
	v_lshl_add_u64 v[90:91], v[10:11], 0, s[2:3]
	v_lshl_add_u64 v[10:11], v[6:7], 0, v[8:9]
	;; [unrolled: 1-line block ×3, first 2 shown]
	s_ashr_i32 s19, s18, 31
	s_and_b64 s[20:21], vcc, s[0:1]
	v_lshl_add_u64 v[10:11], s[12:13], 0, v[10:11]
	v_lshl_add_u64 v[96:97], s[12:13], 0, v[6:7]
	v_mad_i64_i32 v[6:7], s[26:27], v20, s6, v[2:3]
	v_lshl_add_u64 v[94:95], v[10:11], 0, s[2:3]
	v_lshl_add_u64 v[10:11], v[6:7], 0, v[8:9]
	s_add_u32 s22, s12, s22
	v_lshl_add_u64 v[10:11], s[12:13], 0, v[10:11]
	v_lshl_add_u64 v[6:7], v[6:7], 0, v[22:23]
	s_addc_u32 s23, s13, s23
	v_lshl_add_u64 v[98:99], v[10:11], 0, s[2:3]
	v_lshl_add_u64 v[100:101], s[12:13], 0, v[6:7]
	v_mad_i64_i32 v[6:7], s[26:27], v21, s6, v[2:3]
	v_mad_i64_i32 v[10:11], s[26:27], v102, s6, v[2:3]
	;; [unrolled: 1-line block ×6, first 2 shown]
	v_mov_b64_e32 v[18:19], s[22:23]
	v_mad_i64_i32 v[20:21], s[22:23], v106, s6, 0
	v_mov_b32_e32 v55, 0xd2
	v_mov_b32_e32 v5, v23
	v_mad_i64_i32 v[20:21], s[22:23], s4, v55, v[20:21]
	v_lshl_add_u64 v[104:105], v[6:7], 0, v[8:9]
	v_lshl_add_u64 v[6:7], v[6:7], 0, v[22:23]
	v_mad_i64_i32 v[102:103], s[22:23], v107, s6, 0
	v_lshl_add_u64 v[106:107], s[12:13], 0, v[6:7]
	v_lshl_add_u64 v[6:7], v[20:21], 0, v[4:5]
	;; [unrolled: 1-line block ×7, first 2 shown]
	v_mad_i64_i32 v[102:103], s[22:23], s4, v55, v[102:103]
	v_add_u32_e32 v55, v112, v113
	v_lshl_add_u64 v[112:113], v[10:11], 0, s[2:3]
	v_lshl_add_u64 v[10:11], v[12:13], 0, v[22:23]
	v_mad_i64_i32 v[18:19], s[22:23], v57, s6, v[18:19]
	v_add_u32_e32 v57, v114, v115
	v_lshl_add_u64 v[114:115], s[12:13], 0, v[10:11]
	v_lshl_add_u64 v[10:11], v[14:15], 0, v[8:9]
	;; [unrolled: 1-line block ×17, first 2 shown]
	s_mov_b64 s[2:3], 0xd0
	v_lshl_add_u64 v[4:5], v[102:103], 0, v[4:5]
	v_lshl_add_u64 v[126:127], s[12:13], 0, v[2:3]
	;; [unrolled: 1-line block ×4, first 2 shown]
	s_mov_b64 s[2:3], 0xc0
	v_lshl_add_u64 v[130:131], v[2:3], 0, s[2:3]
	v_lshl_add_u64 v[2:3], s[12:13], 0, v[4:5]
	;; [unrolled: 1-line block ×4, first 2 shown]
	v_cmp_lt_u16_e64 s[2:3], 7, v25
	v_ashrrev_i32_e32 v61, 31, v60
	v_lshl_add_u64 v[122:123], s[12:13], 0, v[10:11]
	s_movk_i32 s4, 0x80
	s_mov_b32 s6, 0x30303030
	s_movk_i32 s25, 0xe000
	s_movk_i32 s26, 0x3f00
	s_mov_b64 s[12:13], 0xd2
	v_add_u32_e32 v137, v31, v22
	v_mov_b32_e32 v22, v23
	v_mov_b32_e32 v102, v23
	;; [unrolled: 1-line block ×3, first 2 shown]
	v_cndmask_b32_e64 v144, 0, 2, s[2:3]
	v_mul_u32_u24_e32 v145, 0x104, v24
	s_branch .LBB196_6
.LBB196_4:                              ;   in Loop: Header=BB196_6 Depth=1
	s_or_b64 exec, exec, s[22:23]
	s_waitcnt lgkmcnt(0)
	s_barrier
	ds_read_b128 v[2:5], v31
	ds_read_b128 v[6:9], v31 offset:16
	ds_read_b128 v[10:13], v31 offset:32
	;; [unrolled: 1-line block ×3, first 2 shown]
	ds_read2_b32 v[18:19], v145 offset0:44 offset1:45
	ds_read2_b32 v[20:21], v145 offset0:38 offset1:39
	;; [unrolled: 1-line block ×7, first 2 shown]
	v_mov_b32_e32 v155, 0
	v_mov_b32_e32 v156, 0
	;; [unrolled: 1-line block ×3, first 2 shown]
	s_waitcnt lgkmcnt(4)
	v_dot4c_i32_i8_e32 v155, v134, v6
	s_waitcnt lgkmcnt(2)
	v_dot4c_i32_i8_e32 v156, v140, v2
	v_dot4c_i32_i8_e32 v25, v18, v14
	ds_read2_b32 v[148:149], v145 offset0:40 offset1:41
	v_dot4c_i32_i8_e32 v155, v135, v7
	v_dot4c_i32_i8_e32 v156, v141, v3
	;; [unrolled: 1-line block ×5, first 2 shown]
	v_add_u32_e32 v18, 0x2118, v145
	v_add_u32_e32 v20, 0x2110, v145
	;; [unrolled: 1-line block ×5, first 2 shown]
	s_waitcnt lgkmcnt(2)
	v_dot4c_i32_i8_e32 v25, v142, v16
	v_dot4c_i32_i8_e32 v155, v21, v9
	;; [unrolled: 1-line block ×3, first 2 shown]
	ds_read2_b32 v[18:19], v18 offset1:1
	ds_read2_b32 v[20:21], v20 offset1:1
	;; [unrolled: 1-line block ×5, first 2 shown]
	v_add_u32_e32 v136, 0x2130, v145
	v_dot4c_i32_i8_e32 v25, v143, v17
	ds_read2_b32 v[142:143], v136 offset1:1
	v_mov_b32_e32 v154, 0
	s_waitcnt lgkmcnt(6)
	v_dot4c_i32_i8_e32 v154, v148, v10
	v_dot4c_i32_i8_e32 v154, v149, v11
	;; [unrolled: 1-line block ×3, first 2 shown]
	v_mov_b32_e32 v157, 0
	v_add_u32_e32 v136, 0x2128, v145
	v_add_u32_e32 v148, 0x2120, v145
	v_add_u32_e32 v150, 0x4198, v145
	v_mov_b32_e32 v159, 0
	v_mov_b32_e32 v160, 0
	v_dot4c_i32_i8_e32 v154, v147, v13
	ds_read2_b32 v[146:147], v136 offset1:1
	ds_read2_b32 v[148:149], v148 offset1:1
	;; [unrolled: 1-line block ×3, first 2 shown]
	s_waitcnt lgkmcnt(3)
	v_dot4c_i32_i8_e32 v157, v142, v14
	v_dot4c_i32_i8_e32 v159, v20, v6
	;; [unrolled: 1-line block ×9, first 2 shown]
	v_add_u32_e32 v18, 0x4190, v145
	v_add_u32_e32 v20, 0x4188, v145
	;; [unrolled: 1-line block ×4, first 2 shown]
	v_dot4c_i32_i8_e32 v157, v141, v17
	v_mov_b32_e32 v158, 0
	ds_read_b32 v136, v53 offset:384
	v_dot4c_i32_i8_e32 v159, v19, v9
	v_dot4c_i32_i8_e32 v160, v135, v5
	ds_read_b32 v135, v49 offset:256
	ds_read2_b32 v[18:19], v18 offset1:1
	ds_read2_b32 v[20:21], v20 offset1:1
	;; [unrolled: 1-line block ×4, first 2 shown]
	v_add_u32_e32 v134, 0x41b0, v145
	s_waitcnt lgkmcnt(7)
	v_dot4c_i32_i8_e32 v158, v148, v10
	ds_read2_b32 v[142:143], v134 offset1:1
	v_dot4c_i32_i8_e32 v158, v149, v11
	v_dot4c_i32_i8_e32 v158, v146, v12
	v_add_u32_e32 v134, 0x41a8, v145
	v_add_u32_e32 v148, 0x41a0, v145
	;; [unrolled: 1-line block ×3, first 2 shown]
	v_dot4c_i32_i8_e32 v158, v147, v13
	ds_read2_b32 v[146:147], v134 offset1:1
	ds_read2_b32 v[148:149], v148 offset1:1
	;; [unrolled: 1-line block ×3, first 2 shown]
	v_mov_b32_e32 v161, 0
	v_mov_b32_e32 v164, 0
	s_waitcnt lgkmcnt(3)
	v_dot4c_i32_i8_e32 v161, v142, v14
	v_dot4c_i32_i8_e32 v164, v138, v2
	;; [unrolled: 1-line block ×3, first 2 shown]
	v_mov_b32_e32 v162, 0
	v_mov_b32_e32 v163, 0
	v_dot4c_i32_i8_e32 v164, v139, v3
	v_dot4c_i32_i8_e32 v161, v140, v16
	s_waitcnt lgkmcnt(1)
	v_dot4c_i32_i8_e32 v162, v148, v10
	v_dot4c_i32_i8_e32 v163, v18, v6
	;; [unrolled: 1-line block ×3, first 2 shown]
	v_add_u32_e32 v18, 0x6210, v145
	v_add_u32_e32 v20, 0x6208, v145
	;; [unrolled: 1-line block ×4, first 2 shown]
	v_dot4c_i32_i8_e32 v161, v141, v17
	v_dot4c_i32_i8_e32 v162, v149, v11
	;; [unrolled: 1-line block ×4, first 2 shown]
	ds_read2_b32 v[18:19], v18 offset1:1
	ds_read2_b32 v[20:21], v20 offset1:1
	;; [unrolled: 1-line block ×4, first 2 shown]
	v_add_u32_e32 v134, 0x6230, v145
	v_dot4c_i32_i8_e32 v162, v146, v12
	v_dot4c_i32_i8_e32 v163, v150, v8
	ds_read2_b32 v[142:143], v134 offset1:1
	v_add_u32_e32 v134, 0x6228, v145
	v_add_u32_e32 v148, 0x6220, v145
	;; [unrolled: 1-line block ×3, first 2 shown]
	v_dot4c_i32_i8_e32 v162, v147, v13
	v_dot4c_i32_i8_e32 v163, v151, v9
	ds_read2_b32 v[146:147], v134 offset1:1
	ds_read2_b32 v[148:149], v148 offset1:1
	;; [unrolled: 1-line block ×3, first 2 shown]
	v_mov_b32_e32 v170, 0
	v_mov_b32_e32 v171, 0
	;; [unrolled: 1-line block ×4, first 2 shown]
	s_waitcnt lgkmcnt(3)
	v_dot4c_i32_i8_e32 v170, v142, v14
	s_waitcnt lgkmcnt(1)
	v_dot4c_i32_i8_e32 v171, v148, v10
	v_dot4c_i32_i8_e32 v172, v18, v6
	;; [unrolled: 1-line block ×15, first 2 shown]
	ds_read_b128 v[10:13], v31 offset:80
	ds_read_b128 v[6:9], v31 offset:64
	;; [unrolled: 1-line block ×4, first 2 shown]
	ds_read2_b32 v[2:3], v145 offset0:62 offset1:63
	ds_read2_b32 v[4:5], v145 offset0:60 offset1:61
	;; [unrolled: 1-line block ×6, first 2 shown]
	v_mov_b32_e32 v174, 0
	s_waitcnt lgkmcnt(4)
	v_dot4c_i32_i8_e32 v174, v4, v18
	v_dot4c_i32_i8_e32 v174, v5, v19
	v_dot4c_i32_i8_e32 v174, v2, v20
	ds_read2_b32 v[148:149], v145 offset0:58 offset1:59
	v_dot4c_i32_i8_e32 v174, v3, v21
	ds_read_b128 v[2:5], v33 offset:36944
	ds_read2_b32 v[152:153], v37 offset0:2 offset1:3
	v_mov_b32_e32 v175, 0
	s_waitcnt lgkmcnt(5)
	v_dot4c_i32_i8_e32 v175, v140, v10
	v_dot4c_i32_i8_e32 v175, v141, v11
	;; [unrolled: 1-line block ×3, first 2 shown]
	s_waitcnt lgkmcnt(0)
	v_ashrrev_i32_e32 v134, 24, v152
	v_bfe_i32 v138, v152, 8, 8
	v_dot4c_i32_i8_e32 v175, v139, v13
	v_mov_b32_e32 v176, 0
	v_bfe_i32 v140, v152, 16, 8
	v_bfe_i32 v139, v152, 0, 8
	v_mul_lo_u32 v134, v25, v134
	v_mul_lo_u32 v138, v155, v138
	v_dot4c_i32_i8_e32 v176, v146, v6
	v_mad_u64_u32 v[138:139], s[2:3], v156, v139, v[138:139]
	v_mad_u64_u32 v[140:141], s[2:3], v154, v140, v[134:135]
	v_dot4c_i32_i8_e32 v176, v147, v7
	v_cvt_f32_i32_e32 v147, v140
	v_cvt_f32_i32_e32 v146, v138
	ds_read_b32 v25, v39
	ds_read_b32 v134, v45 offset:128
	ds_read2_b32 v[138:139], v47 offset0:2 offset1:3
	ds_read2_b32 v[140:141], v43 offset0:2 offset1:3
	v_dot4c_i32_i8_e32 v176, v142, v8
	v_dot4c_i32_i8_e32 v176, v143, v9
	v_pk_mul_f32 v[142:143], v[2:3], v[146:147]
	s_waitcnt lgkmcnt(1)
	v_bfe_i32 v154, v138, 0, 8
	v_add_f32_e32 v152, 0, v142
	s_waitcnt lgkmcnt(0)
	v_bfe_i32 v146, v140, 8, 8
	v_bfe_i32 v142, v138, 8, 8
	v_mul_lo_u32 v142, v163, v142
	v_mul_lo_u32 v146, v159, v146
	v_bfe_i32 v147, v140, 0, 8
	v_mad_u64_u32 v[146:147], s[2:3], v160, v147, v[146:147]
	v_mad_u64_u32 v[154:155], s[2:3], v164, v154, v[142:143]
	v_cvt_f32_i32_e32 v147, v154
	v_bfe_i32 v142, v138, 16, 8
	v_bfe_i32 v154, v140, 16, 8
	v_ashrrev_i32_e32 v140, 24, v140
	v_ashrrev_i32_e32 v138, 24, v138
	v_mul_lo_u32 v138, v161, v138
	v_mul_lo_u32 v140, v157, v140
	v_cvt_f32_i32_e32 v146, v146
	v_mad_u64_u32 v[154:155], s[2:3], v158, v154, v[140:141]
	v_mad_u64_u32 v[156:157], s[2:3], v162, v142, v[138:139]
	v_cvt_f32_i32_e32 v155, v156
	v_cvt_f32_i32_e32 v154, v154
	v_add_f32_e32 v138, v152, v143
	v_pk_fma_f32 v[142:143], v[2:3], v[146:147], 0 op_sel_hi:[0,1,0]
	v_add_u32_e32 v140, 0x6250, v145
	v_add_u32_e32 v158, 0x6240, v145
	;; [unrolled: 1-line block ×3, first 2 shown]
	v_pk_fma_f32 v[142:143], v[2:3], v[154:155], v[142:143] op_sel:[1,0,0]
	ds_read2_b32 v[146:147], v51 offset0:2 offset1:3
	v_add_u32_e32 v152, 0x6248, v145
	ds_read2_b32 v[154:155], v140 offset1:1
	ds_read2_b32 v[156:157], v152 offset1:1
	;; [unrolled: 1-line block ×4, first 2 shown]
	v_add_u32_e32 v140, 0x6270, v145
	ds_read2_b32 v[162:163], v140 offset1:1
	v_add_u32_e32 v140, 0x6268, v145
	v_add_u32_e32 v166, 0x6260, v145
	;; [unrolled: 1-line block ×3, first 2 shown]
	ds_read2_b32 v[164:165], v140 offset1:1
	ds_read2_b32 v[166:167], v166 offset1:1
	;; [unrolled: 1-line block ×3, first 2 shown]
	v_mov_b32_e32 v140, 0
	s_waitcnt lgkmcnt(7)
	v_dot4c_i32_i8_e32 v140, v154, v10
	v_mov_b32_e32 v154, 0
	v_dot4c_i32_i8_e32 v140, v155, v11
	s_waitcnt lgkmcnt(5)
	v_dot4c_i32_i8_e32 v154, v158, v6
	v_dot4c_i32_i8_e32 v140, v150, v12
	;; [unrolled: 1-line block ×3, first 2 shown]
	v_mov_b32_e32 v152, 0
	v_dot4c_i32_i8_e32 v140, v151, v13
	v_bfe_i32 v150, v146, 8, 8
	v_bfe_i32 v151, v147, 8, 8
	v_dot4c_i32_i8_e32 v154, v156, v8
	s_waitcnt lgkmcnt(3)
	v_dot4c_i32_i8_e32 v152, v162, v18
	v_mul_lo_u32 v140, v140, v151
	v_mul_lo_u32 v150, v172, v150
	v_dot4c_i32_i8_e32 v154, v157, v9
	v_bfe_i32 v155, v147, 0, 8
	v_bfe_i32 v151, v146, 0, 8
	v_dot4c_i32_i8_e32 v152, v163, v19
	v_mad_u64_u32 v[150:151], s[2:3], v173, v151, v[150:151]
	v_mad_u64_u32 v[154:155], s[2:3], v154, v155, v[140:141]
	v_dot4c_i32_i8_e32 v152, v160, v20
	v_mov_b32_e32 v160, 0
	v_cvt_f32_i32_e32 v151, v154
	v_cvt_f32_i32_e32 v150, v150
	s_waitcnt lgkmcnt(1)
	v_dot4c_i32_i8_e32 v160, v166, v14
	ds_read2_b32 v[156:157], v145 offset0:56 offset1:57
	v_dot4c_i32_i8_e32 v160, v167, v15
	v_dot4c_i32_i8_e32 v152, v161, v21
	;; [unrolled: 1-line block ×3, first 2 shown]
	v_mov_b32_e32 v154, v2
	v_mov_b32_e32 v155, v4
	v_ashrrev_i32_e32 v140, 24, v146
	v_ashrrev_i32_e32 v2, 24, v147
	v_dot4c_i32_i8_e32 v160, v165, v17
	v_pk_fma_f32 v[150:151], v[154:155], v[150:151], 0 op_sel_hi:[1,1,0]
	v_bfe_i32 v154, v147, 16, 8
	v_bfe_i32 v155, v146, 16, 8
	v_mul_lo_u32 v2, v152, v2
	v_mul_lo_u32 v140, v170, v140
	v_mad_u64_u32 v[146:147], s[2:3], v171, v155, v[140:141]
	v_mad_u64_u32 v[154:155], s[2:3], v160, v154, v[2:3]
	v_mov_b32_e32 v2, v3
	v_mov_b32_e32 v3, 0
	s_waitcnt lgkmcnt(0)
	v_dot4c_i32_i8_e32 v3, v156, v14
	v_dot4c_i32_i8_e32 v3, v157, v15
	;; [unrolled: 1-line block ×3, first 2 shown]
	v_ashrrev_i32_e32 v140, 24, v153
	v_bfe_i32 v148, v153, 8, 8
	v_dot4c_i32_i8_e32 v3, v149, v17
	v_bfe_i32 v152, v153, 16, 8
	v_bfe_i32 v149, v153, 0, 8
	v_mul_lo_u32 v140, v174, v140
	v_mul_lo_u32 v148, v175, v148
	v_mad_u64_u32 v[148:149], s[2:3], v176, v149, v[148:149]
	v_mad_u64_u32 v[152:153], s[2:3], v3, v152, v[140:141]
	v_cvt_f32_i32_e32 v147, v154
	v_cvt_f32_i32_e32 v146, v146
	;; [unrolled: 1-line block ×4, first 2 shown]
	v_mov_b32_e32 v3, v5
	v_pk_fma_f32 v[2:3], v[2:3], v[146:147], v[150:151]
	v_add_u32_e32 v140, 0x2150, v145
	v_pk_mul_f32 v[146:147], v[4:5], v[148:149]
	v_pk_mul_f32 v[2:3], v[136:137], v[2:3] op_sel_hi:[0,1]
	v_add_f32_e32 v136, 0, v146
	v_add_u32_e32 v148, 0x2148, v145
	v_add_u32_e32 v150, 0x2140, v145
	;; [unrolled: 1-line block ×3, first 2 shown]
	v_add_f32_e32 v136, v136, v147
	ds_read2_b32 v[146:147], v140 offset1:1
	ds_read2_b32 v[148:149], v148 offset1:1
	ds_read2_b32 v[150:151], v150 offset1:1
	ds_read2_b32 v[152:153], v152 offset1:1
	v_add_u32_e32 v140, 0x2170, v145
	ds_read2_b32 v[154:155], v140 offset1:1
	v_add_u32_e32 v156, 0x2168, v145
	v_add_u32_e32 v158, 0x2160, v145
	v_add_u32_e32 v160, 0x41d8, v145
	ds_read2_b32 v[156:157], v156 offset1:1
	ds_read2_b32 v[158:159], v158 offset1:1
	;; [unrolled: 1-line block ×3, first 2 shown]
	v_mov_b32_e32 v140, 0
	v_mov_b32_e32 v164, 0
	s_waitcnt lgkmcnt(3)
	v_dot4c_i32_i8_e32 v140, v154, v18
	v_mov_b32_e32 v162, 0
	v_dot4c_i32_i8_e32 v164, v150, v6
	v_dot4c_i32_i8_e32 v140, v155, v19
	s_waitcnt lgkmcnt(1)
	v_dot4c_i32_i8_e32 v162, v158, v14
	v_mov_b32_e32 v163, 0
	v_dot4c_i32_i8_e32 v164, v151, v7
	v_dot4c_i32_i8_e32 v140, v152, v20
	;; [unrolled: 1-line block ×5, first 2 shown]
	v_add_u32_e32 v146, 0x41d0, v145
	v_add_u32_e32 v148, 0x41c8, v145
	;; [unrolled: 1-line block ×5, first 2 shown]
	v_dot4c_i32_i8_e32 v140, v153, v21
	v_dot4c_i32_i8_e32 v162, v156, v16
	;; [unrolled: 1-line block ×4, first 2 shown]
	ds_read2_b32 v[146:147], v146 offset1:1
	ds_read2_b32 v[148:149], v148 offset1:1
	;; [unrolled: 1-line block ×5, first 2 shown]
	v_add_u32_e32 v156, 0x41e8, v145
	v_add_u32_e32 v158, 0x41e0, v145
	v_dot4c_i32_i8_e32 v162, v157, v17
	ds_read2_b32 v[156:157], v156 offset1:1
	ds_read2_b32 v[158:159], v158 offset1:1
	v_mov_b32_e32 v165, 0
	s_waitcnt lgkmcnt(2)
	v_dot4c_i32_i8_e32 v165, v154, v18
	v_mov_b32_e32 v18, 0
	v_dot4c_i32_i8_e32 v163, v168, v12
	s_waitcnt lgkmcnt(0)
	v_dot4c_i32_i8_e32 v18, v158, v14
	v_mov_b32_e32 v14, 0
	v_dot4c_i32_i8_e32 v14, v146, v10
	v_mov_b32_e32 v10, 0
	v_dot4c_i32_i8_e32 v14, v147, v11
	v_dot4c_i32_i8_e32 v10, v150, v6
	;; [unrolled: 1-line block ×7, first 2 shown]
	v_bfe_i32 v7, v141, 8, 8
	v_bfe_i32 v6, v139, 8, 8
	v_dot4c_i32_i8_e32 v165, v155, v19
	v_dot4c_i32_i8_e32 v10, v149, v9
	v_mul_lo_u32 v6, v14, v6
	v_mul_lo_u32 v8, v163, v7
	v_bfe_i32 v7, v139, 0, 8
	v_bfe_i32 v9, v141, 0, 8
	v_dot4c_i32_i8_e32 v165, v152, v20
	v_dot4c_i32_i8_e32 v18, v159, v15
	v_mad_u64_u32 v[8:9], s[2:3], v164, v9, v[8:9]
	v_mad_u64_u32 v[6:7], s[2:3], v10, v7, v[6:7]
	v_dot4c_i32_i8_e32 v165, v153, v21
	v_dot4c_i32_i8_e32 v18, v156, v16
	v_cvt_f32_i32_e32 v7, v6
	v_cvt_f32_i32_e32 v6, v8
	v_ashrrev_i32_e32 v10, 24, v141
	v_ashrrev_i32_e32 v8, 24, v139
	v_dot4c_i32_i8_e32 v18, v157, v17
	v_bfe_i32 v9, v139, 16, 8
	v_bfe_i32 v11, v141, 16, 8
	v_mul_lo_u32 v8, v165, v8
	v_mul_lo_u32 v10, v140, v10
	v_mad_u64_u32 v[10:11], s[2:3], v162, v11, v[10:11]
	v_mad_u64_u32 v[8:9], s[2:3], v18, v9, v[8:9]
	v_cvt_f32_i32_e32 v9, v8
	v_cvt_f32_i32_e32 v8, v10
	v_pk_fma_f32 v[6:7], v[4:5], v[6:7], 0 op_sel_hi:[0,1,0]
	v_mov_b32_e32 v4, v5
	v_pk_mul_f32 v[142:143], v[134:135], v[142:143]
	v_pk_fma_f32 v[4:5], v[4:5], v[8:9], v[6:7] op_sel_hi:[0,1,1]
	v_mul_f32_e32 v138, v25, v138
	v_pk_mul_f32 v[4:5], v[134:135], v[4:5]
	v_mov_b32_e32 v139, v142
	v_pk_mov_b32 v[8:9], v[142:143], v[2:3] op_sel:[1,0]
	v_mul_f32_e32 v10, v25, v136
	v_pk_add_f32 v[6:7], v[22:23], v[138:139]
	v_pk_add_f32 v[8:9], v[102:103], v[8:9]
	v_mov_b32_e32 v2, v5
	v_mov_b32_e32 v11, v4
	v_pk_add_f32 v[102:103], v[8:9], v[2:3]
	v_pk_add_f32 v[22:23], v[6:7], v[10:11]
	s_barrier
.LBB196_5:                              ;   in Loop: Header=BB196_6 Depth=1
	s_add_i32 s24, s24, -1
	s_addk_i32 s4, 0x100
	v_add_u32_e32 v41, 8, v41
	v_add_u32_e32 v35, 8, v35
	;; [unrolled: 1-line block ×3, first 2 shown]
	v_lshl_add_u64 v[62:63], v[62:63], 0, s[12:13]
	v_lshl_add_u64 v[64:65], v[64:65], 0, s[12:13]
	;; [unrolled: 1-line block ×34, first 2 shown]
	s_cmp_eq_u32 s24, 0
	v_lshl_add_u64 v[132:133], v[132:133], 0, s[12:13]
	s_cbranch_scc1 .LBB196_17
.LBB196_6:                              ; =>This Inner Loop Header: Depth=1
	v_lshl_add_u64 v[2:3], v[64:65], 0, s[18:19]
	global_load_dword v10, v[2:3], off
	v_lshl_add_u64 v[2:3], v[62:63], 0, s[18:19]
	global_load_dword v11, v[2:3], off
	;; [unrolled: 2-line block ×6, first 2 shown]
	v_lshl_add_u64 v[2:3], v[76:77], 0, s[18:19]
	v_lshl_add_u64 v[4:5], v[74:75], 0, s[18:19]
	;; [unrolled: 1-line block ×4, first 2 shown]
	global_load_dword v16, v[2:3], off
	s_nop 0
	global_load_dword v4, v[4:5], off
	s_nop 0
	;; [unrolled: 2-line block ×3, first 2 shown]
	global_load_dword v6, v[8:9], off
	s_add_i32 s2, s4, 0xffffff80
	s_cmp_lt_i32 s2, s5
	s_waitcnt vmcnt(9)
	v_lshrrev_b32_e32 v3, 4, v10
	v_and_b32_e32 v2, 0xf0f0f0f, v10
	s_waitcnt vmcnt(8)
	v_ashrrev_i32_e32 v7, v144, v11
	v_and_b32_e32 v3, 0xf0f0f0f, v3
	s_waitcnt vmcnt(7)
	v_and_b32_e32 v8, 0xf0f0f0f, v12
	v_lshrrev_b32_e32 v9, 4, v12
	s_waitcnt vmcnt(6)
	v_ashrrev_i32_e32 v10, v144, v13
	v_and_b32_e32 v9, 0xf0f0f0f, v9
	s_waitcnt vmcnt(5)
	v_and_b32_e32 v11, 0xf0f0f0f, v14
	v_lshrrev_b32_e32 v12, 4, v14
	s_waitcnt vmcnt(4)
	v_ashrrev_i32_e32 v13, v144, v15
	v_lshlrev_b32_e32 v14, 4, v7
	v_lshlrev_b32_e32 v15, 4, v10
	;; [unrolled: 1-line block ×3, first 2 shown]
	v_and_or_b32 v2, v14, s6, v2
	v_and_or_b32 v3, v7, s6, v3
	;; [unrolled: 1-line block ×5, first 2 shown]
	v_lshrrev_b32_e32 v10, 16, v2
	v_lshlrev_b16_e32 v11, 8, v2
	v_lshrrev_b32_e32 v14, 16, v3
	v_lshlrev_b16_e32 v15, 8, v3
	;; [unrolled: 2-line block ×4, first 2 shown]
	v_add_u16_e32 v11, 0xe000, v11
	v_lshlrev_b16_e32 v134, 8, v10
	v_add_u16_e32 v15, 0xe000, v15
	v_lshlrev_b16_e32 v135, 8, v14
	v_add_u16_e32 v18, 0xe000, v18
	v_lshlrev_b16_e32 v136, 8, v17
	v_add_u16_e32 v20, 0xe000, v20
	v_lshlrev_b16_e32 v138, 8, v19
	v_lshrrev_b16_e32 v11, 8, v11
	v_add_u16_e32 v134, 0xe000, v134
	v_lshrrev_b16_e32 v15, 8, v15
	v_add_u16_e32 v135, 0xe000, v135
	;; [unrolled: 2-line block ×4, first 2 shown]
	v_bitop3_b16 v2, v2, v11, s26 bitop3:0xec
	v_lshrrev_b16_e32 v11, 8, v134
	v_bitop3_b16 v3, v3, v15, s26 bitop3:0xec
	v_lshrrev_b16_e32 v15, 8, v135
	;; [unrolled: 2-line block ×4, first 2 shown]
	v_bitop3_b16 v10, v10, v11, s26 bitop3:0xec
	v_bitop3_b16 v11, v14, v15, s26 bitop3:0xec
	v_add_u16_e32 v2, 0xe000, v2
	v_add_u16_e32 v3, 0xe000, v3
	v_bitop3_b16 v14, v17, v18, s26 bitop3:0xec
	v_bitop3_b16 v15, v19, v20, s26 bitop3:0xec
	v_add_u16_sdwa v10, v10, s25 dst_sel:WORD_1 dst_unused:UNUSED_PAD src0_sel:DWORD src1_sel:DWORD
	v_add_u16_sdwa v11, v11, s25 dst_sel:WORD_1 dst_unused:UNUSED_PAD src0_sel:DWORD src1_sel:DWORD
	v_lshrrev_b32_e32 v21, 16, v9
	v_add_u16_e32 v7, 0xe000, v7
	v_add_u16_e32 v8, 0xe000, v8
	v_add_u16_sdwa v14, v14, s25 dst_sel:WORD_1 dst_unused:UNUSED_PAD src0_sel:DWORD src1_sel:DWORD
	v_add_u16_sdwa v15, v15, s25 dst_sel:WORD_1 dst_unused:UNUSED_PAD src0_sel:DWORD src1_sel:DWORD
	v_or_b32_e32 v2, v2, v10
	v_or_b32_e32 v3, v3, v11
	v_lshlrev_b16_e32 v25, 8, v9
	v_or_b32_e32 v7, v7, v14
	v_or_b32_e32 v8, v8, v15
	ds_write2_b32 v26, v2, v3 offset1:16
	ds_write2_b32 v28, v7, v8 offset1:16
	v_lshlrev_b16_e32 v3, 8, v21
	v_add_u16_e32 v2, 0xe000, v25
	v_add_u16_e32 v3, 0xe000, v3
	v_lshrrev_b16_e32 v2, 8, v2
	v_lshrrev_b16_e32 v3, 8, v3
	v_bitop3_b16 v2, v9, v2, s26 bitop3:0xec
	v_bitop3_b16 v3, v21, v3, s26 bitop3:0xec
	v_and_b32_e32 v12, 0xf0f0f0f, v12
	v_add_u16_e32 v2, 0xe000, v2
	v_add_u16_sdwa v3, v3, s25 dst_sel:WORD_1 dst_unused:UNUSED_PAD src0_sel:DWORD src1_sel:DWORD
	s_waitcnt vmcnt(2)
	v_ashrrev_i32_e32 v4, v144, v4
	v_or_b32_e32 v7, v2, v3
	v_and_or_b32 v2, v13, s6, v12
	v_lshlrev_b16_e32 v3, 8, v2
	v_add_u16_e32 v3, 0xe000, v3
	v_lshrrev_b16_e32 v3, 8, v3
	v_lshrrev_b32_e32 v8, 16, v2
	v_bitop3_b16 v2, v2, v3, s26 bitop3:0xec
	v_add_u16_e32 v9, 0xe000, v2
	v_lshlrev_b16_e32 v2, 8, v8
	v_add_u16_e32 v10, 0xe000, v2
	v_lshl_add_u64 v[2:3], v[84:85], 0, s[18:19]
	global_load_dword v11, v[2:3], off
	v_lshl_add_u64 v[2:3], v[82:83], 0, s[18:19]
	v_lshrrev_b16_e32 v10, 8, v10
	global_load_dword v12, v[2:3], off
	v_bitop3_b16 v2, v8, v10, s26 bitop3:0xec
	v_add_u16_sdwa v2, v2, s25 dst_sel:WORD_1 dst_unused:UNUSED_PAD src0_sel:DWORD src1_sel:DWORD
	v_lshrrev_b32_e32 v3, 4, v16
	v_or_b32_e32 v2, v9, v2
	ds_write2_b32 v30, v7, v2 offset1:16
	v_and_b32_e32 v2, 0xf0f0f0f, v16
	v_lshlrev_b32_e32 v7, 4, v4
	v_and_or_b32 v2, v7, s6, v2
	v_lshlrev_b16_e32 v8, 8, v2
	v_add_u16_e32 v8, 0xe000, v8
	v_lshrrev_b32_e32 v7, 16, v2
	v_lshrrev_b16_e32 v8, 8, v8
	v_bitop3_b16 v2, v2, v8, s26 bitop3:0xec
	v_lshlrev_b16_e32 v8, 8, v7
	v_add_u16_e32 v8, 0xe000, v8
	v_lshrrev_b16_e32 v8, 8, v8
	v_bitop3_b16 v7, v7, v8, s26 bitop3:0xec
	v_and_b32_e32 v3, 0xf0f0f0f, v3
	v_add_u16_e32 v2, 0xe000, v2
	v_add_u16_sdwa v7, v7, s25 dst_sel:WORD_1 dst_unused:UNUSED_PAD src0_sel:DWORD src1_sel:DWORD
	s_nop 0
	v_or_b32_e32 v7, v2, v7
	v_and_or_b32 v2, v4, s6, v3
	v_lshlrev_b16_e32 v3, 8, v2
	v_add_u16_e32 v3, 0xe000, v3
	v_lshrrev_b16_e32 v3, 8, v3
	v_lshrrev_b32_e32 v4, 16, v2
	v_bitop3_b16 v2, v2, v3, s26 bitop3:0xec
	v_add_u16_e32 v8, 0xe000, v2
	v_lshlrev_b16_e32 v2, 8, v4
	v_add_u16_e32 v9, 0xe000, v2
	v_lshl_add_u64 v[2:3], v[88:89], 0, s[18:19]
	global_load_dword v10, v[2:3], off
	v_lshl_add_u64 v[2:3], v[86:87], 0, s[18:19]
	global_load_dword v13, v[2:3], off
	v_lshrrev_b16_e32 v9, 8, v9
	v_bitop3_b16 v2, v4, v9, s26 bitop3:0xec
	v_add_u16_sdwa v2, v2, s25 dst_sel:WORD_1 dst_unused:UNUSED_PAD src0_sel:DWORD src1_sel:DWORD
	s_waitcnt vmcnt(4)
	v_ashrrev_i32_e32 v4, v144, v6
	v_or_b32_e32 v2, v8, v2
	ds_write2_b32 v32, v7, v2 offset1:16
	v_and_b32_e32 v2, 0xf0f0f0f, v5
	v_lshrrev_b32_e32 v3, 4, v5
	v_lshlrev_b32_e32 v5, 4, v4
	v_and_or_b32 v2, v5, s6, v2
	v_lshlrev_b16_e32 v6, 8, v2
	v_add_u16_e32 v6, 0xe000, v6
	v_lshrrev_b32_e32 v5, 16, v2
	v_lshrrev_b16_e32 v6, 8, v6
	v_bitop3_b16 v2, v2, v6, s26 bitop3:0xec
	v_lshlrev_b16_e32 v6, 8, v5
	v_add_u16_e32 v6, 0xe000, v6
	v_lshrrev_b16_e32 v6, 8, v6
	v_bitop3_b16 v5, v5, v6, s26 bitop3:0xec
	v_and_b32_e32 v3, 0xf0f0f0f, v3
	v_add_u16_e32 v2, 0xe000, v2
	v_add_u16_sdwa v5, v5, s25 dst_sel:WORD_1 dst_unused:UNUSED_PAD src0_sel:DWORD src1_sel:DWORD
	s_nop 0
	v_or_b32_e32 v5, v2, v5
	v_and_or_b32 v2, v4, s6, v3
	v_lshlrev_b16_e32 v3, 8, v2
	v_add_u16_e32 v3, 0xe000, v3
	v_lshrrev_b16_e32 v3, 8, v3
	v_lshrrev_b32_e32 v4, 16, v2
	v_bitop3_b16 v2, v2, v3, s26 bitop3:0xec
	v_add_u16_e32 v6, 0xe000, v2
	v_lshlrev_b16_e32 v2, 8, v4
	v_add_u16_e32 v7, 0xe000, v2
	v_lshl_add_u64 v[2:3], v[92:93], 0, s[18:19]
	global_load_dword v8, v[2:3], off
	v_lshl_add_u64 v[2:3], v[90:91], 0, s[18:19]
	global_load_dword v9, v[2:3], off
	v_lshrrev_b16_e32 v7, 8, v7
	v_bitop3_b16 v2, v4, v7, s26 bitop3:0xec
	v_add_u16_sdwa v2, v2, s25 dst_sel:WORD_1 dst_unused:UNUSED_PAD src0_sel:DWORD src1_sel:DWORD
	s_waitcnt vmcnt(5)
	v_lshrrev_b32_e32 v3, 4, v11
	v_or_b32_e32 v2, v6, v2
	ds_write2_b32 v34, v5, v2 offset1:16
	s_waitcnt vmcnt(4)
	v_ashrrev_i32_e32 v4, v144, v12
	v_and_b32_e32 v2, 0xf0f0f0f, v11
	v_lshlrev_b32_e32 v5, 4, v4
	v_and_or_b32 v2, v5, s6, v2
	v_lshlrev_b16_e32 v6, 8, v2
	v_add_u16_e32 v6, 0xe000, v6
	v_lshrrev_b32_e32 v5, 16, v2
	v_lshrrev_b16_e32 v6, 8, v6
	v_bitop3_b16 v2, v2, v6, s26 bitop3:0xec
	v_lshlrev_b16_e32 v6, 8, v5
	v_add_u16_e32 v6, 0xe000, v6
	v_lshrrev_b16_e32 v6, 8, v6
	v_bitop3_b16 v5, v5, v6, s26 bitop3:0xec
	v_and_b32_e32 v3, 0xf0f0f0f, v3
	v_add_u16_e32 v2, 0xe000, v2
	v_add_u16_sdwa v5, v5, s25 dst_sel:WORD_1 dst_unused:UNUSED_PAD src0_sel:DWORD src1_sel:DWORD
	s_nop 0
	v_or_b32_e32 v5, v2, v5
	v_and_or_b32 v2, v4, s6, v3
	v_lshlrev_b16_e32 v3, 8, v2
	v_add_u16_e32 v3, 0xe000, v3
	v_lshrrev_b16_e32 v3, 8, v3
	v_lshrrev_b32_e32 v4, 16, v2
	v_bitop3_b16 v2, v2, v3, s26 bitop3:0xec
	v_add_u16_e32 v6, 0xe000, v2
	v_lshlrev_b16_e32 v2, 8, v4
	v_add_u16_e32 v7, 0xe000, v2
	v_lshl_add_u64 v[2:3], v[96:97], 0, s[18:19]
	global_load_dword v11, v[2:3], off
	v_lshl_add_u64 v[2:3], v[94:95], 0, s[18:19]
	v_lshrrev_b16_e32 v7, 8, v7
	global_load_dword v12, v[2:3], off
	v_bitop3_b16 v2, v4, v7, s26 bitop3:0xec
	v_add_u16_sdwa v2, v2, s25 dst_sel:WORD_1 dst_unused:UNUSED_PAD src0_sel:DWORD src1_sel:DWORD
	s_waitcnt vmcnt(5)
	v_lshrrev_b32_e32 v3, 4, v10
	v_or_b32_e32 v2, v6, v2
	s_waitcnt vmcnt(4)
	v_ashrrev_i32_e32 v4, v144, v13
	ds_write2_b32 v36, v5, v2 offset1:16
	v_and_b32_e32 v2, 0xf0f0f0f, v10
	v_lshlrev_b32_e32 v5, 4, v4
	v_and_or_b32 v2, v5, s6, v2
	v_lshlrev_b16_e32 v6, 8, v2
	v_add_u16_e32 v6, 0xe000, v6
	v_lshrrev_b32_e32 v5, 16, v2
	v_lshrrev_b16_e32 v6, 8, v6
	v_bitop3_b16 v2, v2, v6, s26 bitop3:0xec
	v_lshlrev_b16_e32 v6, 8, v5
	v_add_u16_e32 v6, 0xe000, v6
	v_lshrrev_b16_e32 v6, 8, v6
	v_bitop3_b16 v5, v5, v6, s26 bitop3:0xec
	v_and_b32_e32 v3, 0xf0f0f0f, v3
	v_add_u16_e32 v2, 0xe000, v2
	v_add_u16_sdwa v5, v5, s25 dst_sel:WORD_1 dst_unused:UNUSED_PAD src0_sel:DWORD src1_sel:DWORD
	s_nop 0
	v_or_b32_e32 v5, v2, v5
	v_and_or_b32 v2, v4, s6, v3
	v_lshlrev_b16_e32 v3, 8, v2
	v_add_u16_e32 v3, 0xe000, v3
	v_lshrrev_b16_e32 v3, 8, v3
	v_lshrrev_b32_e32 v4, 16, v2
	v_bitop3_b16 v2, v2, v3, s26 bitop3:0xec
	v_add_u16_e32 v6, 0xe000, v2
	v_lshlrev_b16_e32 v2, 8, v4
	v_add_u16_e32 v7, 0xe000, v2
	v_lshl_add_u64 v[2:3], v[100:101], 0, s[18:19]
	global_load_dword v10, v[2:3], off
	v_lshl_add_u64 v[2:3], v[98:99], 0, s[18:19]
	global_load_dword v13, v[2:3], off
	v_lshrrev_b16_e32 v7, 8, v7
	v_bitop3_b16 v2, v4, v7, s26 bitop3:0xec
	v_add_u16_sdwa v2, v2, s25 dst_sel:WORD_1 dst_unused:UNUSED_PAD src0_sel:DWORD src1_sel:DWORD
	s_waitcnt vmcnt(5)
	v_lshrrev_b32_e32 v3, 4, v8
	v_or_b32_e32 v2, v6, v2
	s_waitcnt vmcnt(4)
	v_ashrrev_i32_e32 v4, v144, v9
	ds_write2_b32 v38, v5, v2 offset1:16
	v_and_b32_e32 v2, 0xf0f0f0f, v8
	v_lshlrev_b32_e32 v5, 4, v4
	v_and_or_b32 v2, v5, s6, v2
	v_lshlrev_b16_e32 v6, 8, v2
	v_add_u16_e32 v6, 0xe000, v6
	v_lshrrev_b32_e32 v5, 16, v2
	v_lshrrev_b16_e32 v6, 8, v6
	v_bitop3_b16 v2, v2, v6, s26 bitop3:0xec
	v_lshlrev_b16_e32 v6, 8, v5
	v_add_u16_e32 v6, 0xe000, v6
	v_lshrrev_b16_e32 v6, 8, v6
	v_bitop3_b16 v5, v5, v6, s26 bitop3:0xec
	v_and_b32_e32 v3, 0xf0f0f0f, v3
	v_add_u16_e32 v2, 0xe000, v2
	v_add_u16_sdwa v5, v5, s25 dst_sel:WORD_1 dst_unused:UNUSED_PAD src0_sel:DWORD src1_sel:DWORD
	s_nop 0
	v_or_b32_e32 v5, v2, v5
	v_and_or_b32 v2, v4, s6, v3
	v_lshlrev_b16_e32 v3, 8, v2
	v_add_u16_e32 v3, 0xe000, v3
	v_lshrrev_b16_e32 v3, 8, v3
	v_lshrrev_b32_e32 v4, 16, v2
	v_bitop3_b16 v2, v2, v3, s26 bitop3:0xec
	v_add_u16_e32 v6, 0xe000, v2
	v_lshlrev_b16_e32 v2, 8, v4
	v_add_u16_e32 v7, 0xe000, v2
	v_lshl_add_u64 v[2:3], v[106:107], 0, s[18:19]
	global_load_dword v8, v[2:3], off
	v_lshl_add_u64 v[2:3], v[104:105], 0, s[18:19]
	global_load_dword v9, v[2:3], off
	v_lshrrev_b16_e32 v7, 8, v7
	v_bitop3_b16 v2, v4, v7, s26 bitop3:0xec
	v_add_u16_sdwa v2, v2, s25 dst_sel:WORD_1 dst_unused:UNUSED_PAD src0_sel:DWORD src1_sel:DWORD
	s_waitcnt vmcnt(5)
	v_lshrrev_b32_e32 v3, 4, v11
	v_or_b32_e32 v2, v6, v2
	ds_write2_b32 v40, v5, v2 offset1:16
	s_waitcnt vmcnt(4)
	v_ashrrev_i32_e32 v4, v144, v12
	v_and_b32_e32 v2, 0xf0f0f0f, v11
	v_lshlrev_b32_e32 v5, 4, v4
	v_and_or_b32 v2, v5, s6, v2
	v_lshlrev_b16_e32 v6, 8, v2
	v_add_u16_e32 v6, 0xe000, v6
	v_lshrrev_b32_e32 v5, 16, v2
	v_lshrrev_b16_e32 v6, 8, v6
	v_bitop3_b16 v2, v2, v6, s26 bitop3:0xec
	v_lshlrev_b16_e32 v6, 8, v5
	v_add_u16_e32 v6, 0xe000, v6
	v_lshrrev_b16_e32 v6, 8, v6
	v_bitop3_b16 v5, v5, v6, s26 bitop3:0xec
	v_and_b32_e32 v3, 0xf0f0f0f, v3
	v_add_u16_e32 v2, 0xe000, v2
	v_add_u16_sdwa v5, v5, s25 dst_sel:WORD_1 dst_unused:UNUSED_PAD src0_sel:DWORD src1_sel:DWORD
	s_nop 0
	v_or_b32_e32 v5, v2, v5
	v_and_or_b32 v2, v4, s6, v3
	v_lshlrev_b16_e32 v3, 8, v2
	v_add_u16_e32 v3, 0xe000, v3
	v_lshrrev_b16_e32 v3, 8, v3
	v_lshrrev_b32_e32 v4, 16, v2
	v_bitop3_b16 v2, v2, v3, s26 bitop3:0xec
	v_add_u16_e32 v6, 0xe000, v2
	v_lshlrev_b16_e32 v2, 8, v4
	v_add_u16_e32 v7, 0xe000, v2
	v_lshl_add_u64 v[2:3], v[110:111], 0, s[18:19]
	global_load_dword v11, v[2:3], off
	v_lshl_add_u64 v[2:3], v[108:109], 0, s[18:19]
	v_lshrrev_b16_e32 v7, 8, v7
	global_load_dword v12, v[2:3], off
	v_bitop3_b16 v2, v4, v7, s26 bitop3:0xec
	v_add_u16_sdwa v2, v2, s25 dst_sel:WORD_1 dst_unused:UNUSED_PAD src0_sel:DWORD src1_sel:DWORD
	s_waitcnt vmcnt(5)
	v_lshrrev_b32_e32 v3, 4, v10
	v_or_b32_e32 v2, v6, v2
	s_waitcnt vmcnt(4)
	v_ashrrev_i32_e32 v4, v144, v13
	ds_write2_b32 v42, v5, v2 offset1:16
	v_and_b32_e32 v2, 0xf0f0f0f, v10
	v_lshlrev_b32_e32 v5, 4, v4
	v_and_or_b32 v2, v5, s6, v2
	v_lshlrev_b16_e32 v6, 8, v2
	v_add_u16_e32 v6, 0xe000, v6
	v_lshrrev_b32_e32 v5, 16, v2
	v_lshrrev_b16_e32 v6, 8, v6
	v_bitop3_b16 v2, v2, v6, s26 bitop3:0xec
	v_lshlrev_b16_e32 v6, 8, v5
	v_add_u16_e32 v6, 0xe000, v6
	v_lshrrev_b16_e32 v6, 8, v6
	v_bitop3_b16 v5, v5, v6, s26 bitop3:0xec
	v_and_b32_e32 v3, 0xf0f0f0f, v3
	v_add_u16_e32 v2, 0xe000, v2
	v_add_u16_sdwa v5, v5, s25 dst_sel:WORD_1 dst_unused:UNUSED_PAD src0_sel:DWORD src1_sel:DWORD
	s_nop 0
	v_or_b32_e32 v5, v2, v5
	v_and_or_b32 v2, v4, s6, v3
	v_lshlrev_b16_e32 v3, 8, v2
	v_add_u16_e32 v3, 0xe000, v3
	v_lshrrev_b16_e32 v3, 8, v3
	v_lshrrev_b32_e32 v4, 16, v2
	v_bitop3_b16 v2, v2, v3, s26 bitop3:0xec
	v_add_u16_e32 v6, 0xe000, v2
	v_lshlrev_b16_e32 v2, 8, v4
	v_add_u16_e32 v7, 0xe000, v2
	v_lshl_add_u64 v[2:3], v[114:115], 0, s[18:19]
	global_load_dword v10, v[2:3], off
	v_lshl_add_u64 v[2:3], v[112:113], 0, s[18:19]
	global_load_dword v13, v[2:3], off
	v_lshrrev_b16_e32 v7, 8, v7
	v_bitop3_b16 v2, v4, v7, s26 bitop3:0xec
	v_add_u16_sdwa v2, v2, s25 dst_sel:WORD_1 dst_unused:UNUSED_PAD src0_sel:DWORD src1_sel:DWORD
	s_waitcnt vmcnt(5)
	v_lshrrev_b32_e32 v3, 4, v8
	v_or_b32_e32 v2, v6, v2
	s_waitcnt vmcnt(4)
	v_ashrrev_i32_e32 v4, v144, v9
	ds_write2_b32 v44, v5, v2 offset1:16
	v_and_b32_e32 v2, 0xf0f0f0f, v8
	v_lshlrev_b32_e32 v5, 4, v4
	v_and_or_b32 v2, v5, s6, v2
	v_lshlrev_b16_e32 v6, 8, v2
	v_add_u16_e32 v6, 0xe000, v6
	v_lshrrev_b32_e32 v5, 16, v2
	v_lshrrev_b16_e32 v6, 8, v6
	v_bitop3_b16 v2, v2, v6, s26 bitop3:0xec
	v_lshlrev_b16_e32 v6, 8, v5
	v_add_u16_e32 v6, 0xe000, v6
	v_lshrrev_b16_e32 v6, 8, v6
	v_bitop3_b16 v5, v5, v6, s26 bitop3:0xec
	v_and_b32_e32 v3, 0xf0f0f0f, v3
	v_add_u16_e32 v2, 0xe000, v2
	v_add_u16_sdwa v5, v5, s25 dst_sel:WORD_1 dst_unused:UNUSED_PAD src0_sel:DWORD src1_sel:DWORD
	s_nop 0
	v_or_b32_e32 v5, v2, v5
	v_and_or_b32 v2, v4, s6, v3
	v_lshlrev_b16_e32 v3, 8, v2
	v_add_u16_e32 v3, 0xe000, v3
	v_lshrrev_b16_e32 v3, 8, v3
	v_lshrrev_b32_e32 v4, 16, v2
	v_bitop3_b16 v2, v2, v3, s26 bitop3:0xec
	v_add_u16_e32 v6, 0xe000, v2
	v_lshlrev_b16_e32 v2, 8, v4
	v_add_u16_e32 v7, 0xe000, v2
	v_lshl_add_u64 v[2:3], v[118:119], 0, s[18:19]
	global_load_dword v8, v[2:3], off
	v_lshl_add_u64 v[2:3], v[116:117], 0, s[18:19]
	global_load_dword v9, v[2:3], off
	v_lshrrev_b16_e32 v7, 8, v7
	v_bitop3_b16 v2, v4, v7, s26 bitop3:0xec
	v_add_u16_sdwa v2, v2, s25 dst_sel:WORD_1 dst_unused:UNUSED_PAD src0_sel:DWORD src1_sel:DWORD
	s_waitcnt vmcnt(5)
	v_lshrrev_b32_e32 v3, 4, v11
	v_or_b32_e32 v2, v6, v2
	ds_write2_b32 v46, v5, v2 offset1:16
	s_waitcnt vmcnt(4)
	v_ashrrev_i32_e32 v4, v144, v12
	v_and_b32_e32 v2, 0xf0f0f0f, v11
	v_lshlrev_b32_e32 v5, 4, v4
	v_and_or_b32 v2, v5, s6, v2
	v_lshlrev_b16_e32 v6, 8, v2
	v_add_u16_e32 v6, 0xe000, v6
	v_lshrrev_b32_e32 v5, 16, v2
	v_lshrrev_b16_e32 v6, 8, v6
	v_bitop3_b16 v2, v2, v6, s26 bitop3:0xec
	v_lshlrev_b16_e32 v6, 8, v5
	v_add_u16_e32 v6, 0xe000, v6
	v_lshrrev_b16_e32 v6, 8, v6
	v_bitop3_b16 v5, v5, v6, s26 bitop3:0xec
	v_and_b32_e32 v3, 0xf0f0f0f, v3
	v_add_u16_e32 v2, 0xe000, v2
	v_add_u16_sdwa v5, v5, s25 dst_sel:WORD_1 dst_unused:UNUSED_PAD src0_sel:DWORD src1_sel:DWORD
	s_nop 0
	v_or_b32_e32 v5, v2, v5
	v_and_or_b32 v2, v4, s6, v3
	v_lshlrev_b16_e32 v4, 8, v2
	v_add_u16_e32 v4, 0xe000, v4
	v_lshrrev_b16_e32 v4, 8, v4
	v_lshrrev_b32_e32 v3, 16, v2
	v_bitop3_b16 v2, v2, v4, s26 bitop3:0xec
	v_add_u16_e32 v4, 0xe000, v2
	v_lshlrev_b16_e32 v2, 8, v3
	v_add_u16_e32 v2, 0xe000, v2
	v_lshrrev_b16_e32 v2, 8, v2
	v_bitop3_b16 v6, v3, v2, s26 bitop3:0xec
	v_lshl_add_u64 v[2:3], v[122:123], 0, s[18:19]
	global_load_dword v7, v[2:3], off
	v_lshl_add_u64 v[2:3], v[120:121], 0, s[18:19]
	v_add_u16_sdwa v6, v6, s25 dst_sel:WORD_1 dst_unused:UNUSED_PAD src0_sel:DWORD src1_sel:DWORD
	global_load_dword v11, v[2:3], off
	v_or_b32_e32 v2, v4, v6
	ds_write2_b32 v48, v5, v2 offset1:16
	s_waitcnt vmcnt(4)
	v_ashrrev_i32_e32 v4, v144, v13
	v_and_b32_e32 v2, 0xf0f0f0f, v10
	v_lshlrev_b32_e32 v5, 4, v4
	v_and_or_b32 v2, v5, s6, v2
	v_lshlrev_b16_e32 v6, 8, v2
	v_add_u16_e32 v6, 0xe000, v6
	v_lshrrev_b32_e32 v5, 16, v2
	v_lshrrev_b16_e32 v6, 8, v6
	v_bitop3_b16 v2, v2, v6, s26 bitop3:0xec
	v_lshlrev_b16_e32 v6, 8, v5
	v_add_u16_e32 v6, 0xe000, v6
	v_lshrrev_b16_e32 v6, 8, v6
	v_lshrrev_b32_e32 v3, 4, v10
	v_bitop3_b16 v5, v5, v6, s26 bitop3:0xec
	v_and_b32_e32 v3, 0xf0f0f0f, v3
	v_add_u16_e32 v2, 0xe000, v2
	v_add_u16_sdwa v5, v5, s25 dst_sel:WORD_1 dst_unused:UNUSED_PAD src0_sel:DWORD src1_sel:DWORD
	s_nop 0
	v_or_b32_e32 v5, v2, v5
	v_and_or_b32 v2, v4, s6, v3
	v_lshlrev_b16_e32 v3, 8, v2
	v_add_u16_e32 v3, 0xe000, v3
	v_lshrrev_b16_e32 v3, 8, v3
	v_lshrrev_b32_e32 v4, 16, v2
	v_bitop3_b16 v2, v2, v3, s26 bitop3:0xec
	v_add_u16_e32 v6, 0xe000, v2
	v_lshl_add_u64 v[2:3], v[126:127], 0, s[18:19]
	global_load_dword v10, v[2:3], off
	v_lshlrev_b16_e32 v12, 8, v4
	v_lshl_add_u64 v[2:3], v[124:125], 0, s[18:19]
	global_load_dword v13, v[2:3], off
	v_add_u16_e32 v2, 0xe000, v12
	v_lshrrev_b16_e32 v2, 8, v2
	v_bitop3_b16 v2, v4, v2, s26 bitop3:0xec
	v_add_u16_sdwa v2, v2, s25 dst_sel:WORD_1 dst_unused:UNUSED_PAD src0_sel:DWORD src1_sel:DWORD
	s_waitcnt vmcnt(5)
	v_lshrrev_b32_e32 v3, 4, v8
	v_or_b32_e32 v2, v6, v2
	ds_write2_b32 v50, v5, v2 offset1:16
	s_waitcnt vmcnt(4)
	v_ashrrev_i32_e32 v5, v144, v9
	v_and_b32_e32 v2, 0xf0f0f0f, v8
	v_and_b32_e32 v4, 0xf0f0f0f, v3
	v_lshlrev_b32_e32 v3, 4, v5
	v_and_or_b32 v2, v3, s6, v2
	v_lshlrev_b16_e32 v6, 8, v2
	v_add_u16_e32 v6, 0xe000, v6
	v_lshrrev_b32_e32 v3, 16, v2
	v_lshrrev_b16_e32 v6, 8, v6
	v_bitop3_b16 v2, v2, v6, s26 bitop3:0xec
	v_lshlrev_b16_e32 v6, 8, v3
	v_add_u16_e32 v6, 0xe000, v6
	v_lshrrev_b16_e32 v6, 8, v6
	v_bitop3_b16 v3, v3, v6, s26 bitop3:0xec
	v_add_u16_e32 v2, 0xe000, v2
	v_add_u16_sdwa v3, v3, s25 dst_sel:WORD_1 dst_unused:UNUSED_PAD src0_sel:DWORD src1_sel:DWORD
	v_and_or_b32 v4, v5, s6, v4
	v_or_b32_e32 v6, v2, v3
	v_lshl_add_u64 v[2:3], v[128:129], 0, s[18:19]
	global_load_ushort v8, v[2:3], off
	v_lshl_add_u64 v[2:3], v[130:131], 0, s[18:19]
	global_load_dword v12, v[2:3], off
	v_lshl_add_u64 v[2:3], v[132:133], 0, s[18:19]
	global_load_dword v2, v[2:3], off
	v_lshlrev_b16_e32 v9, 8, v4
	v_add_u16_e32 v9, 0xe000, v9
	v_lshrrev_b32_e32 v5, 16, v4
	v_lshrrev_b16_e32 v3, 8, v9
	v_bitop3_b16 v3, v4, v3, s26 bitop3:0xec
	v_lshlrev_b16_e32 v4, 8, v5
	v_add_u16_e32 v4, 0xe000, v4
	v_lshrrev_b16_e32 v4, 8, v4
	v_bitop3_b16 v4, v5, v4, s26 bitop3:0xec
	v_add_u16_e32 v3, 0xe000, v3
	v_add_u16_sdwa v4, v4, s25 dst_sel:WORD_1 dst_unused:UNUSED_PAD src0_sel:DWORD src1_sel:DWORD
	s_waitcnt vmcnt(5)
	v_ashrrev_i32_e32 v5, v144, v11
	v_or_b32_e32 v3, v3, v4
	ds_write2_b32 v52, v6, v3 offset1:16
	v_and_b32_e32 v3, 0xf0f0f0f, v7
	v_lshlrev_b32_e32 v6, 4, v5
	v_and_or_b32 v3, v6, s6, v3
	v_lshrrev_b32_e32 v4, 4, v7
	v_lshlrev_b16_e32 v7, 8, v3
	v_add_u16_e32 v7, 0xe000, v7
	v_lshrrev_b32_e32 v6, 16, v3
	v_lshrrev_b16_e32 v7, 8, v7
	v_bitop3_b16 v3, v3, v7, s26 bitop3:0xec
	v_lshlrev_b16_e32 v7, 8, v6
	v_add_u16_e32 v7, 0xe000, v7
	v_lshrrev_b16_e32 v7, 8, v7
	v_and_b32_e32 v4, 0xf0f0f0f, v4
	v_bitop3_b16 v6, v6, v7, s26 bitop3:0xec
	v_add_u16_e32 v3, 0xe000, v3
	v_add_u16_sdwa v6, v6, s25 dst_sel:WORD_1 dst_unused:UNUSED_PAD src0_sel:DWORD src1_sel:DWORD
	v_and_or_b32 v4, v5, s6, v4
	v_or_b32_e32 v3, v3, v6
	v_lshlrev_b16_e32 v6, 8, v4
	v_add_u16_e32 v6, 0xe000, v6
	v_lshrrev_b32_e32 v5, 16, v4
	v_lshrrev_b16_e32 v6, 8, v6
	v_bitop3_b16 v4, v4, v6, s26 bitop3:0xec
	v_lshlrev_b16_e32 v6, 8, v5
	v_add_u16_e32 v6, 0xe000, v6
	v_lshrrev_b16_e32 v6, 8, v6
	v_bitop3_b16 v5, v5, v6, s26 bitop3:0xec
	v_add_u16_e32 v4, 0xe000, v4
	v_add_u16_sdwa v5, v5, s25 dst_sel:WORD_1 dst_unused:UNUSED_PAD src0_sel:DWORD src1_sel:DWORD
	s_nop 0
	v_or_b32_e32 v4, v4, v5
	s_waitcnt vmcnt(3)
	v_ashrrev_i32_e32 v5, v144, v13
	ds_write2_b32 v54, v3, v4 offset1:16
	v_and_b32_e32 v3, 0xf0f0f0f, v10
	v_lshlrev_b32_e32 v6, 4, v5
	v_and_or_b32 v3, v6, s6, v3
	v_lshlrev_b16_e32 v7, 8, v3
	v_add_u16_e32 v7, 0xe000, v7
	v_lshrrev_b32_e32 v6, 16, v3
	v_lshrrev_b16_e32 v7, 8, v7
	v_bitop3_b16 v3, v3, v7, s26 bitop3:0xec
	v_lshlrev_b16_e32 v7, 8, v6
	v_add_u16_e32 v7, 0xe000, v7
	v_lshrrev_b32_e32 v4, 4, v10
	v_lshrrev_b16_e32 v7, 8, v7
	v_and_b32_e32 v4, 0xf0f0f0f, v4
	v_bitop3_b16 v6, v6, v7, s26 bitop3:0xec
	v_add_u16_e32 v3, 0xe000, v3
	v_add_u16_sdwa v6, v6, s25 dst_sel:WORD_1 dst_unused:UNUSED_PAD src0_sel:DWORD src1_sel:DWORD
	v_and_or_b32 v4, v5, s6, v4
	v_or_b32_e32 v3, v3, v6
	v_lshlrev_b16_e32 v6, 8, v4
	v_add_u16_e32 v6, 0xe000, v6
	v_lshrrev_b32_e32 v5, 16, v4
	v_lshrrev_b16_e32 v6, 8, v6
	v_bitop3_b16 v4, v4, v6, s26 bitop3:0xec
	v_lshlrev_b16_e32 v6, 8, v5
	v_add_u16_e32 v6, 0xe000, v6
	v_lshrrev_b16_e32 v6, 8, v6
	v_bitop3_b16 v5, v5, v6, s26 bitop3:0xec
	s_waitcnt vmcnt(2)
	v_cvt_f32_f16_e32 v6, v8
	v_add_u16_e32 v4, 0xe000, v4
	v_add_u16_sdwa v5, v5, s25 dst_sel:WORD_1 dst_unused:UNUSED_PAD src0_sel:DWORD src1_sel:DWORD
	s_nop 0
	v_or_b32_e32 v4, v4, v5
	ds_write2_b32 v56, v3, v4 offset1:16
	ds_write_b32 v27, v6
	s_waitcnt vmcnt(1)
	ds_write_b32 v55, v12
	s_waitcnt vmcnt(0)
	ds_write_b32 v57, v2
	s_cbranch_scc0 .LBB196_5
; %bb.7:                                ;   in Loop: Header=BB196_6 Depth=1
	v_cmp_gt_i32_e64 s[2:3], s8, v35
	s_and_b64 s[22:23], s[0:1], s[2:3]
	s_and_saveexec_b64 s[2:3], s[22:23]
	s_cbranch_execz .LBB196_9
; %bb.8:                                ;   in Loop: Header=BB196_6 Depth=1
	v_add_u32_e32 v2, v60, v35
	v_mad_i64_i32 v[2:3], s[22:23], v2, 36, v[58:59]
	global_load_dword v2, v[2:3], off offset:4
	s_waitcnt vmcnt(0)
	ds_write_b32 v137, v2
.LBB196_9:                              ;   in Loop: Header=BB196_6 Depth=1
	s_or_b64 exec, exec, s[2:3]
	v_cmp_gt_i32_e64 s[2:3], s8, v24
	s_and_b64 s[22:23], s[20:21], s[2:3]
	s_and_saveexec_b64 s[2:3], s[22:23]
	s_cbranch_execz .LBB196_11
; %bb.10:                               ;   in Loop: Header=BB196_6 Depth=1
	v_add_u32_e32 v2, v60, v24
	v_mad_i64_i32 v[2:3], s[22:23], v2, 36, s[14:15]
	global_load_dword v2, v[2:3], off
	v_add_u32_e32 v3, v29, v33
	s_waitcnt vmcnt(0)
	v_cvt_f32_f16_e32 v2, v2
	ds_write_b32 v3, v2
.LBB196_11:                             ;   in Loop: Header=BB196_6 Depth=1
	s_or_b64 exec, exec, s[2:3]
	s_waitcnt lgkmcnt(0)
	s_barrier
	ds_read_b128 v[2:5], v31
	ds_read_b128 v[6:9], v31 offset:16
	ds_read_b128 v[10:13], v31 offset:32
	ds_read_b128 v[14:17], v31 offset:48
	ds_read2_b32 v[18:19], v145 offset0:12 offset1:13
	ds_read2_b32 v[20:21], v145 offset0:6 offset1:7
	;; [unrolled: 1-line block ×4, first 2 shown]
	ds_read2_b32 v[140:141], v145 offset1:1
	ds_read2_b32 v[142:143], v145 offset0:14 offset1:15
	ds_read2_b32 v[146:147], v145 offset0:10 offset1:11
	v_mov_b32_e32 v155, 0
	v_mov_b32_e32 v156, 0
	;; [unrolled: 1-line block ×3, first 2 shown]
	s_waitcnt lgkmcnt(4)
	v_dot4c_i32_i8_e32 v155, v134, v6
	s_waitcnt lgkmcnt(2)
	v_dot4c_i32_i8_e32 v156, v140, v2
	v_dot4c_i32_i8_e32 v25, v18, v14
	ds_read2_b32 v[148:149], v145 offset0:8 offset1:9
	v_dot4c_i32_i8_e32 v155, v135, v7
	v_dot4c_i32_i8_e32 v156, v141, v3
	;; [unrolled: 1-line block ×5, first 2 shown]
	v_add_u32_e32 v18, 0x2098, v145
	v_add_u32_e32 v20, 0x2090, v145
	;; [unrolled: 1-line block ×5, first 2 shown]
	s_waitcnt lgkmcnt(2)
	v_dot4c_i32_i8_e32 v25, v142, v16
	v_dot4c_i32_i8_e32 v155, v21, v9
	;; [unrolled: 1-line block ×3, first 2 shown]
	ds_read2_b32 v[18:19], v18 offset1:1
	ds_read2_b32 v[20:21], v20 offset1:1
	;; [unrolled: 1-line block ×5, first 2 shown]
	v_add_u32_e32 v136, 0x20b0, v145
	v_dot4c_i32_i8_e32 v25, v143, v17
	ds_read2_b32 v[142:143], v136 offset1:1
	v_mov_b32_e32 v154, 0
	s_waitcnt lgkmcnt(6)
	v_dot4c_i32_i8_e32 v154, v148, v10
	v_dot4c_i32_i8_e32 v154, v149, v11
	;; [unrolled: 1-line block ×3, first 2 shown]
	v_mov_b32_e32 v157, 0
	v_add_u32_e32 v136, 0x20a8, v145
	v_add_u32_e32 v148, 0x20a0, v145
	;; [unrolled: 1-line block ×3, first 2 shown]
	v_mov_b32_e32 v159, 0
	v_mov_b32_e32 v160, 0
	v_dot4c_i32_i8_e32 v154, v147, v13
	ds_read2_b32 v[146:147], v136 offset1:1
	ds_read2_b32 v[148:149], v148 offset1:1
	;; [unrolled: 1-line block ×3, first 2 shown]
	s_waitcnt lgkmcnt(3)
	v_dot4c_i32_i8_e32 v157, v142, v14
	v_dot4c_i32_i8_e32 v159, v20, v6
	;; [unrolled: 1-line block ×9, first 2 shown]
	v_add_u32_e32 v18, 0x4110, v145
	v_add_u32_e32 v20, 0x4108, v145
	;; [unrolled: 1-line block ×4, first 2 shown]
	v_dot4c_i32_i8_e32 v157, v141, v17
	v_mov_b32_e32 v158, 0
	ds_read_b32 v136, v53 offset:384
	v_dot4c_i32_i8_e32 v159, v19, v9
	v_dot4c_i32_i8_e32 v160, v135, v5
	ds_read_b32 v135, v49 offset:256
	ds_read2_b32 v[18:19], v18 offset1:1
	ds_read2_b32 v[20:21], v20 offset1:1
	ds_read2_b32 v[138:139], v134 offset1:1
	ds_read2_b32 v[140:141], v140 offset1:1
	v_add_u32_e32 v134, 0x4130, v145
	s_waitcnt lgkmcnt(7)
	v_dot4c_i32_i8_e32 v158, v148, v10
	ds_read2_b32 v[142:143], v134 offset1:1
	v_dot4c_i32_i8_e32 v158, v149, v11
	v_dot4c_i32_i8_e32 v158, v146, v12
	v_add_u32_e32 v134, 0x4128, v145
	v_add_u32_e32 v148, 0x4120, v145
	;; [unrolled: 1-line block ×3, first 2 shown]
	v_dot4c_i32_i8_e32 v158, v147, v13
	ds_read2_b32 v[146:147], v134 offset1:1
	ds_read2_b32 v[148:149], v148 offset1:1
	;; [unrolled: 1-line block ×3, first 2 shown]
	v_mov_b32_e32 v161, 0
	v_mov_b32_e32 v164, 0
	s_waitcnt lgkmcnt(3)
	v_dot4c_i32_i8_e32 v161, v142, v14
	v_dot4c_i32_i8_e32 v164, v138, v2
	;; [unrolled: 1-line block ×3, first 2 shown]
	v_mov_b32_e32 v162, 0
	v_mov_b32_e32 v163, 0
	v_dot4c_i32_i8_e32 v164, v139, v3
	v_dot4c_i32_i8_e32 v161, v140, v16
	s_waitcnt lgkmcnt(1)
	v_dot4c_i32_i8_e32 v162, v148, v10
	v_dot4c_i32_i8_e32 v163, v18, v6
	;; [unrolled: 1-line block ×3, first 2 shown]
	v_add_u32_e32 v18, 0x6190, v145
	v_add_u32_e32 v20, 0x6188, v145
	;; [unrolled: 1-line block ×4, first 2 shown]
	v_dot4c_i32_i8_e32 v161, v141, v17
	v_dot4c_i32_i8_e32 v162, v149, v11
	;; [unrolled: 1-line block ×4, first 2 shown]
	ds_read2_b32 v[18:19], v18 offset1:1
	ds_read2_b32 v[20:21], v20 offset1:1
	;; [unrolled: 1-line block ×4, first 2 shown]
	v_add_u32_e32 v134, 0x61b0, v145
	v_dot4c_i32_i8_e32 v162, v146, v12
	v_dot4c_i32_i8_e32 v163, v150, v8
	ds_read2_b32 v[142:143], v134 offset1:1
	v_add_u32_e32 v134, 0x61a8, v145
	v_add_u32_e32 v148, 0x61a0, v145
	;; [unrolled: 1-line block ×3, first 2 shown]
	v_dot4c_i32_i8_e32 v162, v147, v13
	v_dot4c_i32_i8_e32 v163, v151, v9
	ds_read2_b32 v[146:147], v134 offset1:1
	ds_read2_b32 v[148:149], v148 offset1:1
	ds_read2_b32 v[150:151], v150 offset1:1
	v_mov_b32_e32 v170, 0
	v_mov_b32_e32 v171, 0
	v_mov_b32_e32 v172, 0
	v_mov_b32_e32 v173, 0
	s_waitcnt lgkmcnt(3)
	v_dot4c_i32_i8_e32 v170, v142, v14
	s_waitcnt lgkmcnt(1)
	v_dot4c_i32_i8_e32 v171, v148, v10
	v_dot4c_i32_i8_e32 v172, v18, v6
	;; [unrolled: 1-line block ×15, first 2 shown]
	ds_read_b128 v[10:13], v31 offset:80
	ds_read_b128 v[6:9], v31 offset:64
	;; [unrolled: 1-line block ×4, first 2 shown]
	ds_read2_b32 v[2:3], v145 offset0:30 offset1:31
	ds_read2_b32 v[4:5], v145 offset0:28 offset1:29
	;; [unrolled: 1-line block ×6, first 2 shown]
	v_mov_b32_e32 v174, 0
	s_waitcnt lgkmcnt(4)
	v_dot4c_i32_i8_e32 v174, v4, v18
	v_dot4c_i32_i8_e32 v174, v5, v19
	v_dot4c_i32_i8_e32 v174, v2, v20
	ds_read2_b32 v[148:149], v145 offset0:26 offset1:27
	v_dot4c_i32_i8_e32 v174, v3, v21
	ds_read_b128 v[2:5], v33 offset:36944
	ds_read2_b32 v[152:153], v37 offset1:1
	v_mov_b32_e32 v175, 0
	s_waitcnt lgkmcnt(5)
	v_dot4c_i32_i8_e32 v175, v140, v10
	v_dot4c_i32_i8_e32 v175, v141, v11
	v_dot4c_i32_i8_e32 v175, v138, v12
	s_waitcnt lgkmcnt(0)
	v_ashrrev_i32_e32 v134, 24, v152
	v_bfe_i32 v138, v152, 8, 8
	v_dot4c_i32_i8_e32 v175, v139, v13
	v_mov_b32_e32 v176, 0
	v_bfe_i32 v140, v152, 16, 8
	v_bfe_i32 v139, v152, 0, 8
	v_mul_lo_u32 v134, v25, v134
	v_mul_lo_u32 v138, v155, v138
	v_dot4c_i32_i8_e32 v176, v146, v6
	v_mad_u64_u32 v[138:139], s[2:3], v156, v139, v[138:139]
	v_mad_u64_u32 v[140:141], s[2:3], v154, v140, v[134:135]
	v_dot4c_i32_i8_e32 v176, v147, v7
	v_cvt_f32_i32_e32 v147, v140
	v_cvt_f32_i32_e32 v146, v138
	ds_read_b32 v25, v39
	ds_read_b32 v134, v45 offset:128
	ds_read2_b32 v[138:139], v47 offset1:1
	ds_read2_b32 v[140:141], v43 offset1:1
	v_dot4c_i32_i8_e32 v176, v142, v8
	v_dot4c_i32_i8_e32 v176, v143, v9
	v_pk_mul_f32 v[142:143], v[2:3], v[146:147]
	s_waitcnt lgkmcnt(1)
	v_bfe_i32 v154, v138, 0, 8
	v_add_f32_e32 v152, 0, v142
	s_waitcnt lgkmcnt(0)
	v_bfe_i32 v146, v140, 8, 8
	v_bfe_i32 v142, v138, 8, 8
	v_mul_lo_u32 v142, v163, v142
	v_mul_lo_u32 v146, v159, v146
	v_bfe_i32 v147, v140, 0, 8
	v_mad_u64_u32 v[146:147], s[2:3], v160, v147, v[146:147]
	v_mad_u64_u32 v[154:155], s[2:3], v164, v154, v[142:143]
	v_cvt_f32_i32_e32 v147, v154
	v_bfe_i32 v142, v138, 16, 8
	v_bfe_i32 v154, v140, 16, 8
	v_ashrrev_i32_e32 v140, 24, v140
	v_ashrrev_i32_e32 v138, 24, v138
	v_mul_lo_u32 v138, v161, v138
	v_mul_lo_u32 v140, v157, v140
	v_cvt_f32_i32_e32 v146, v146
	v_mad_u64_u32 v[154:155], s[2:3], v158, v154, v[140:141]
	v_mad_u64_u32 v[156:157], s[2:3], v162, v142, v[138:139]
	v_cvt_f32_i32_e32 v155, v156
	v_cvt_f32_i32_e32 v154, v154
	v_add_f32_e32 v138, v152, v143
	v_pk_fma_f32 v[142:143], v[2:3], v[146:147], 0 op_sel_hi:[0,1,0]
	v_add_u32_e32 v140, 0x61d0, v145
	v_add_u32_e32 v158, 0x61c0, v145
	;; [unrolled: 1-line block ×3, first 2 shown]
	v_pk_fma_f32 v[142:143], v[2:3], v[154:155], v[142:143] op_sel:[1,0,0]
	ds_read2_b32 v[146:147], v51 offset1:1
	v_add_u32_e32 v152, 0x61c8, v145
	ds_read2_b32 v[154:155], v140 offset1:1
	ds_read2_b32 v[156:157], v152 offset1:1
	;; [unrolled: 1-line block ×4, first 2 shown]
	v_add_u32_e32 v140, 0x61f0, v145
	ds_read2_b32 v[162:163], v140 offset1:1
	v_add_u32_e32 v140, 0x61e8, v145
	v_add_u32_e32 v166, 0x61e0, v145
	;; [unrolled: 1-line block ×3, first 2 shown]
	ds_read2_b32 v[164:165], v140 offset1:1
	ds_read2_b32 v[166:167], v166 offset1:1
	;; [unrolled: 1-line block ×3, first 2 shown]
	v_mov_b32_e32 v140, 0
	s_waitcnt lgkmcnt(7)
	v_dot4c_i32_i8_e32 v140, v154, v10
	v_mov_b32_e32 v154, 0
	v_dot4c_i32_i8_e32 v140, v155, v11
	s_waitcnt lgkmcnt(5)
	v_dot4c_i32_i8_e32 v154, v158, v6
	v_dot4c_i32_i8_e32 v140, v150, v12
	;; [unrolled: 1-line block ×3, first 2 shown]
	v_mov_b32_e32 v152, 0
	v_dot4c_i32_i8_e32 v140, v151, v13
	v_bfe_i32 v150, v146, 8, 8
	v_bfe_i32 v151, v147, 8, 8
	v_dot4c_i32_i8_e32 v154, v156, v8
	s_waitcnt lgkmcnt(3)
	v_dot4c_i32_i8_e32 v152, v162, v18
	v_mul_lo_u32 v140, v140, v151
	v_mul_lo_u32 v150, v172, v150
	v_dot4c_i32_i8_e32 v154, v157, v9
	v_bfe_i32 v155, v147, 0, 8
	v_bfe_i32 v151, v146, 0, 8
	v_dot4c_i32_i8_e32 v152, v163, v19
	v_mad_u64_u32 v[150:151], s[2:3], v173, v151, v[150:151]
	v_mad_u64_u32 v[154:155], s[2:3], v154, v155, v[140:141]
	v_dot4c_i32_i8_e32 v152, v160, v20
	v_mov_b32_e32 v160, 0
	v_cvt_f32_i32_e32 v151, v154
	v_cvt_f32_i32_e32 v150, v150
	s_waitcnt lgkmcnt(1)
	v_dot4c_i32_i8_e32 v160, v166, v14
	ds_read2_b32 v[156:157], v145 offset0:24 offset1:25
	v_dot4c_i32_i8_e32 v160, v167, v15
	v_dot4c_i32_i8_e32 v152, v161, v21
	;; [unrolled: 1-line block ×3, first 2 shown]
	v_mov_b32_e32 v154, v2
	v_mov_b32_e32 v155, v4
	v_ashrrev_i32_e32 v140, 24, v146
	v_ashrrev_i32_e32 v2, 24, v147
	v_dot4c_i32_i8_e32 v160, v165, v17
	v_pk_fma_f32 v[150:151], v[154:155], v[150:151], 0 op_sel_hi:[1,1,0]
	v_bfe_i32 v154, v147, 16, 8
	v_bfe_i32 v155, v146, 16, 8
	v_mul_lo_u32 v2, v152, v2
	v_mul_lo_u32 v140, v170, v140
	v_mad_u64_u32 v[146:147], s[2:3], v171, v155, v[140:141]
	v_mad_u64_u32 v[154:155], s[2:3], v160, v154, v[2:3]
	v_mov_b32_e32 v2, v3
	v_mov_b32_e32 v3, 0
	s_waitcnt lgkmcnt(0)
	v_dot4c_i32_i8_e32 v3, v156, v14
	v_dot4c_i32_i8_e32 v3, v157, v15
	;; [unrolled: 1-line block ×3, first 2 shown]
	v_ashrrev_i32_e32 v140, 24, v153
	v_bfe_i32 v148, v153, 8, 8
	v_dot4c_i32_i8_e32 v3, v149, v17
	v_bfe_i32 v152, v153, 16, 8
	v_bfe_i32 v149, v153, 0, 8
	v_mul_lo_u32 v140, v174, v140
	v_mul_lo_u32 v148, v175, v148
	v_mad_u64_u32 v[148:149], s[2:3], v176, v149, v[148:149]
	v_mad_u64_u32 v[152:153], s[2:3], v3, v152, v[140:141]
	v_cvt_f32_i32_e32 v147, v154
	v_cvt_f32_i32_e32 v146, v146
	;; [unrolled: 1-line block ×4, first 2 shown]
	v_mov_b32_e32 v3, v5
	v_pk_fma_f32 v[2:3], v[2:3], v[146:147], v[150:151]
	v_add_u32_e32 v140, 0x20d0, v145
	v_pk_mul_f32 v[146:147], v[4:5], v[148:149]
	v_pk_mul_f32 v[2:3], v[136:137], v[2:3] op_sel_hi:[0,1]
	v_add_f32_e32 v136, 0, v146
	v_add_u32_e32 v148, 0x20c8, v145
	v_add_u32_e32 v150, 0x20c0, v145
	v_add_u32_e32 v152, 0x20f8, v145
	v_add_f32_e32 v136, v136, v147
	ds_read2_b32 v[146:147], v140 offset1:1
	ds_read2_b32 v[148:149], v148 offset1:1
	;; [unrolled: 1-line block ×4, first 2 shown]
	v_add_u32_e32 v140, 0x20f0, v145
	ds_read2_b32 v[154:155], v140 offset1:1
	v_add_u32_e32 v156, 0x20e8, v145
	v_add_u32_e32 v158, 0x20e0, v145
	;; [unrolled: 1-line block ×3, first 2 shown]
	ds_read2_b32 v[156:157], v156 offset1:1
	ds_read2_b32 v[158:159], v158 offset1:1
	;; [unrolled: 1-line block ×3, first 2 shown]
	v_mov_b32_e32 v140, 0
	v_mov_b32_e32 v164, 0
	s_waitcnt lgkmcnt(3)
	v_dot4c_i32_i8_e32 v140, v154, v18
	v_mov_b32_e32 v162, 0
	v_dot4c_i32_i8_e32 v164, v150, v6
	v_dot4c_i32_i8_e32 v140, v155, v19
	s_waitcnt lgkmcnt(1)
	v_dot4c_i32_i8_e32 v162, v158, v14
	v_mov_b32_e32 v163, 0
	v_dot4c_i32_i8_e32 v164, v151, v7
	v_dot4c_i32_i8_e32 v140, v152, v20
	;; [unrolled: 1-line block ×5, first 2 shown]
	v_add_u32_e32 v146, 0x4150, v145
	v_add_u32_e32 v148, 0x4148, v145
	;; [unrolled: 1-line block ×5, first 2 shown]
	v_dot4c_i32_i8_e32 v140, v153, v21
	v_dot4c_i32_i8_e32 v162, v156, v16
	;; [unrolled: 1-line block ×4, first 2 shown]
	ds_read2_b32 v[146:147], v146 offset1:1
	ds_read2_b32 v[148:149], v148 offset1:1
	;; [unrolled: 1-line block ×5, first 2 shown]
	v_add_u32_e32 v156, 0x4168, v145
	v_add_u32_e32 v158, 0x4160, v145
	v_dot4c_i32_i8_e32 v162, v157, v17
	ds_read2_b32 v[156:157], v156 offset1:1
	ds_read2_b32 v[158:159], v158 offset1:1
	v_mov_b32_e32 v165, 0
	s_waitcnt lgkmcnt(2)
	v_dot4c_i32_i8_e32 v165, v154, v18
	v_mov_b32_e32 v18, 0
	v_dot4c_i32_i8_e32 v163, v168, v12
	s_waitcnt lgkmcnt(0)
	v_dot4c_i32_i8_e32 v18, v158, v14
	v_mov_b32_e32 v14, 0
	v_dot4c_i32_i8_e32 v14, v146, v10
	v_mov_b32_e32 v10, 0
	v_dot4c_i32_i8_e32 v14, v147, v11
	v_dot4c_i32_i8_e32 v10, v150, v6
	;; [unrolled: 1-line block ×7, first 2 shown]
	v_bfe_i32 v7, v141, 8, 8
	v_bfe_i32 v6, v139, 8, 8
	v_dot4c_i32_i8_e32 v165, v155, v19
	v_dot4c_i32_i8_e32 v10, v149, v9
	v_mul_lo_u32 v6, v14, v6
	v_mul_lo_u32 v8, v163, v7
	v_bfe_i32 v7, v139, 0, 8
	v_bfe_i32 v9, v141, 0, 8
	v_dot4c_i32_i8_e32 v165, v152, v20
	v_dot4c_i32_i8_e32 v18, v159, v15
	v_mad_u64_u32 v[8:9], s[2:3], v164, v9, v[8:9]
	v_mad_u64_u32 v[6:7], s[2:3], v10, v7, v[6:7]
	v_dot4c_i32_i8_e32 v165, v153, v21
	v_dot4c_i32_i8_e32 v18, v156, v16
	v_cvt_f32_i32_e32 v7, v6
	v_cvt_f32_i32_e32 v6, v8
	v_ashrrev_i32_e32 v10, 24, v141
	v_ashrrev_i32_e32 v8, 24, v139
	v_dot4c_i32_i8_e32 v18, v157, v17
	v_bfe_i32 v9, v139, 16, 8
	v_bfe_i32 v11, v141, 16, 8
	v_mul_lo_u32 v8, v165, v8
	v_mul_lo_u32 v10, v140, v10
	v_mad_u64_u32 v[10:11], s[2:3], v162, v11, v[10:11]
	v_mad_u64_u32 v[8:9], s[2:3], v18, v9, v[8:9]
	v_cvt_f32_i32_e32 v9, v8
	v_cvt_f32_i32_e32 v8, v10
	v_pk_fma_f32 v[6:7], v[4:5], v[6:7], 0 op_sel_hi:[0,1,0]
	v_mov_b32_e32 v4, v5
	v_pk_mul_f32 v[142:143], v[134:135], v[142:143]
	v_pk_fma_f32 v[4:5], v[4:5], v[8:9], v[6:7] op_sel_hi:[0,1,1]
	v_mul_f32_e32 v138, v25, v138
	v_pk_mul_f32 v[4:5], v[134:135], v[4:5]
	v_mov_b32_e32 v139, v142
	v_pk_mov_b32 v[8:9], v[142:143], v[2:3] op_sel:[1,0]
	v_mul_f32_e32 v10, v25, v136
	v_pk_add_f32 v[6:7], v[22:23], v[138:139]
	v_pk_add_f32 v[8:9], v[102:103], v[8:9]
	v_mov_b32_e32 v2, v5
	v_mov_b32_e32 v11, v4
	v_pk_add_f32 v[102:103], v[8:9], v[2:3]
	v_pk_add_f32 v[22:23], v[6:7], v[10:11]
	s_cmp_ge_i32 s4, s5
	s_barrier
	s_cbranch_scc1 .LBB196_5
; %bb.12:                               ;   in Loop: Header=BB196_6 Depth=1
	v_cmp_gt_i32_e64 s[2:3], s8, v41
	s_and_b64 s[22:23], s[0:1], s[2:3]
	s_and_saveexec_b64 s[2:3], s[22:23]
	s_cbranch_execz .LBB196_14
; %bb.13:                               ;   in Loop: Header=BB196_6 Depth=1
	v_add_u32_e32 v2, v60, v41
	v_mad_i64_i32 v[2:3], s[22:23], v2, 36, v[58:59]
	global_load_dword v2, v[2:3], off offset:4
	s_waitcnt vmcnt(0)
	ds_write_b32 v137, v2
.LBB196_14:                             ;   in Loop: Header=BB196_6 Depth=1
	s_or_b64 exec, exec, s[2:3]
	s_and_saveexec_b64 s[22:23], vcc
	s_cbranch_execz .LBB196_4
; %bb.15:                               ;   in Loop: Header=BB196_6 Depth=1
	v_add_u32_e32 v2, 4, v24
	v_cmp_gt_i32_e64 s[2:3], s8, v2
	s_and_b64 s[2:3], s[0:1], s[2:3]
	s_and_b64 exec, exec, s[2:3]
	s_cbranch_execz .LBB196_4
; %bb.16:                               ;   in Loop: Header=BB196_6 Depth=1
	v_ashrrev_i32_e32 v25, 31, v24
	v_lshl_add_u64 v[2:3], v[60:61], 0, v[24:25]
	v_mad_u64_u32 v[4:5], s[2:3], v2, 36, s[14:15]
	v_mad_i32_i24 v5, v3, 36, v5
	global_load_dword v2, v[4:5], off offset:144
	v_add_u32_e32 v3, v29, v33
	s_waitcnt vmcnt(0)
	v_cvt_f32_f16_e32 v2, v2
	ds_write_b32 v3, v2
	s_branch .LBB196_4
.LBB196_17:
	s_mul_i32 s0, s10, s7
	s_waitcnt vmcnt(0)
	v_cmp_gt_i32_e32 vcc, s0, v1
	s_and_saveexec_b64 s[0:1], vcc
	s_cbranch_execz .LBB196_26
; %bb.18:
	v_and_b32_e32 v0, 0x3ff, v0
	v_add_u32_e32 v2, s11, v0
	v_mul_lo_u32 v0, v1, s9
	v_cmp_gt_u32_e32 vcc, s9, v2
	s_and_saveexec_b64 s[0:1], vcc
	s_cbranch_execz .LBB196_20
; %bb.19:
	v_add_u32_e32 v4, v0, v2
	v_mov_b32_e32 v5, 0
	v_lshl_add_u64 v[4:5], v[4:5], 2, s[16:17]
	global_store_dword v[4:5], v22, off
.LBB196_20:
	s_or_b64 exec, exec, s[0:1]
	v_add_u32_e32 v1, 32, v2
	v_cmp_gt_u32_e32 vcc, s9, v1
	s_and_saveexec_b64 s[0:1], vcc
	s_cbranch_execz .LBB196_22
; %bb.21:
	v_add_u32_e32 v4, v0, v1
	v_mov_b32_e32 v5, 0
	v_lshl_add_u64 v[4:5], v[4:5], 2, s[16:17]
	global_store_dword v[4:5], v23, off
.LBB196_22:
	s_or_b64 exec, exec, s[0:1]
	v_add_u32_e32 v1, 64, v2
	;; [unrolled: 11-line block ×3, first 2 shown]
	v_cmp_gt_u32_e32 vcc, s9, v1
	s_and_b64 exec, exec, vcc
	s_cbranch_execz .LBB196_26
; %bb.25:
	v_add_u32_e32 v0, v0, v1
	v_mov_b32_e32 v1, 0
	v_lshl_add_u64 v[0:1], v[0:1], 2, s[16:17]
	global_store_dword v[0:1], v103, off
.LBB196_26:
	s_endpgm
	.section	.rodata,"a",@progbits
	.p2align	6, 0x0
	.amdhsa_kernel _ZL8moe_q6_KIfLb1EEvPKvS1_PT_PKiS5_S5_iiiiiii
		.amdhsa_group_segment_fixed_size 37072
		.amdhsa_private_segment_fixed_size 0
		.amdhsa_kernarg_size 76
		.amdhsa_user_sgpr_count 2
		.amdhsa_user_sgpr_dispatch_ptr 0
		.amdhsa_user_sgpr_queue_ptr 0
		.amdhsa_user_sgpr_kernarg_segment_ptr 1
		.amdhsa_user_sgpr_dispatch_id 0
		.amdhsa_user_sgpr_kernarg_preload_length 0
		.amdhsa_user_sgpr_kernarg_preload_offset 0
		.amdhsa_user_sgpr_private_segment_size 0
		.amdhsa_uses_dynamic_stack 0
		.amdhsa_enable_private_segment 0
		.amdhsa_system_sgpr_workgroup_id_x 1
		.amdhsa_system_sgpr_workgroup_id_y 1
		.amdhsa_system_sgpr_workgroup_id_z 0
		.amdhsa_system_sgpr_workgroup_info 0
		.amdhsa_system_vgpr_workitem_id 1
		.amdhsa_next_free_vgpr 177
		.amdhsa_next_free_sgpr 96
		.amdhsa_accum_offset 180
		.amdhsa_reserve_vcc 1
		.amdhsa_float_round_mode_32 0
		.amdhsa_float_round_mode_16_64 0
		.amdhsa_float_denorm_mode_32 3
		.amdhsa_float_denorm_mode_16_64 3
		.amdhsa_dx10_clamp 1
		.amdhsa_ieee_mode 1
		.amdhsa_fp16_overflow 0
		.amdhsa_tg_split 0
		.amdhsa_exception_fp_ieee_invalid_op 0
		.amdhsa_exception_fp_denorm_src 0
		.amdhsa_exception_fp_ieee_div_zero 0
		.amdhsa_exception_fp_ieee_overflow 0
		.amdhsa_exception_fp_ieee_underflow 0
		.amdhsa_exception_fp_ieee_inexact 0
		.amdhsa_exception_int_div_zero 0
	.end_amdhsa_kernel
	.section	.text._ZL8moe_q6_KIfLb1EEvPKvS1_PT_PKiS5_S5_iiiiiii,"axG",@progbits,_ZL8moe_q6_KIfLb1EEvPKvS1_PT_PKiS5_S5_iiiiiii,comdat
.Lfunc_end196:
	.size	_ZL8moe_q6_KIfLb1EEvPKvS1_PT_PKiS5_S5_iiiiiii, .Lfunc_end196-_ZL8moe_q6_KIfLb1EEvPKvS1_PT_PKiS5_S5_iiiiiii
                                        ; -- End function
	.set _ZL8moe_q6_KIfLb1EEvPKvS1_PT_PKiS5_S5_iiiiiii.num_vgpr, 177
	.set _ZL8moe_q6_KIfLb1EEvPKvS1_PT_PKiS5_S5_iiiiiii.num_agpr, 0
	.set _ZL8moe_q6_KIfLb1EEvPKvS1_PT_PKiS5_S5_iiiiiii.numbered_sgpr, 28
	.set _ZL8moe_q6_KIfLb1EEvPKvS1_PT_PKiS5_S5_iiiiiii.num_named_barrier, 0
	.set _ZL8moe_q6_KIfLb1EEvPKvS1_PT_PKiS5_S5_iiiiiii.private_seg_size, 0
	.set _ZL8moe_q6_KIfLb1EEvPKvS1_PT_PKiS5_S5_iiiiiii.uses_vcc, 1
	.set _ZL8moe_q6_KIfLb1EEvPKvS1_PT_PKiS5_S5_iiiiiii.uses_flat_scratch, 0
	.set _ZL8moe_q6_KIfLb1EEvPKvS1_PT_PKiS5_S5_iiiiiii.has_dyn_sized_stack, 0
	.set _ZL8moe_q6_KIfLb1EEvPKvS1_PT_PKiS5_S5_iiiiiii.has_recursion, 0
	.set _ZL8moe_q6_KIfLb1EEvPKvS1_PT_PKiS5_S5_iiiiiii.has_indirect_call, 0
	.section	.AMDGPU.csdata,"",@progbits
; Kernel info:
; codeLenInByte = 12100
; TotalNumSgprs: 34
; NumVgprs: 177
; NumAgprs: 0
; TotalNumVgprs: 177
; ScratchSize: 0
; MemoryBound: 0
; FloatMode: 240
; IeeeMode: 1
; LDSByteSize: 37072 bytes/workgroup (compile time only)
; SGPRBlocks: 12
; VGPRBlocks: 22
; NumSGPRsForWavesPerEU: 102
; NumVGPRsForWavesPerEU: 177
; AccumOffset: 180
; Occupancy: 2
; WaveLimiterHint : 1
; COMPUTE_PGM_RSRC2:SCRATCH_EN: 0
; COMPUTE_PGM_RSRC2:USER_SGPR: 2
; COMPUTE_PGM_RSRC2:TRAP_HANDLER: 0
; COMPUTE_PGM_RSRC2:TGID_X_EN: 1
; COMPUTE_PGM_RSRC2:TGID_Y_EN: 1
; COMPUTE_PGM_RSRC2:TGID_Z_EN: 0
; COMPUTE_PGM_RSRC2:TIDIG_COMP_CNT: 1
; COMPUTE_PGM_RSRC3_GFX90A:ACCUM_OFFSET: 44
; COMPUTE_PGM_RSRC3_GFX90A:TG_SPLIT: 0
	.section	.text._ZL8moe_q4_0IN3c104HalfELb0EEvPKvS3_PT_PKiS7_S7_iiiiiii,"axG",@progbits,_ZL8moe_q4_0IN3c104HalfELb0EEvPKvS3_PT_PKiS7_S7_iiiiiii,comdat
	.globl	_ZL8moe_q4_0IN3c104HalfELb0EEvPKvS3_PT_PKiS7_S7_iiiiiii ; -- Begin function _ZL8moe_q4_0IN3c104HalfELb0EEvPKvS3_PT_PKiS7_S7_iiiiiii
	.p2align	8
	.type	_ZL8moe_q4_0IN3c104HalfELb0EEvPKvS3_PT_PKiS7_S7_iiiiiii,@function
_ZL8moe_q4_0IN3c104HalfELb0EEvPKvS3_PT_PKiS7_S7_iiiiiii: ; @_ZL8moe_q4_0IN3c104HalfELb0EEvPKvS3_PT_PKiS7_S7_iiiiiii
; %bb.0:
	s_load_dwordx4 s[4:7], s[0:1], 0x18
	s_mov_b32 s8, s3
	s_mov_b32 s9, 0
	s_lshl_b64 s[10:11], s[8:9], 2
	s_waitcnt lgkmcnt(0)
	s_add_u32 s6, s6, s10
	s_addc_u32 s7, s7, s11
	s_load_dword s3, s[6:7], 0x0
	s_waitcnt lgkmcnt(0)
	s_cmpk_gt_u32 s3, 0xff
	s_cbranch_scc1 .LBB197_31
; %bb.1:
	s_load_dwordx2 s[6:7], s[0:1], 0x28
	s_waitcnt lgkmcnt(0)
	s_load_dword s7, s[6:7], 0x0
	s_lshl_b32 s6, s8, 3
	s_waitcnt lgkmcnt(0)
	s_cmp_gt_u32 s6, s7
	s_cbranch_scc1 .LBB197_31
; %bb.2:
	v_bfe_u32 v4, v0, 10, 10
	v_mov_b32_e32 v6, s4
	v_mov_b32_e32 v7, s5
	v_add_u32_e32 v2, s6, v4
	v_mov_b32_e32 v3, 0
	v_lshl_add_u64 v[6:7], v[2:3], 2, v[6:7]
	global_load_dword v1, v[6:7], off
	s_load_dwordx2 s[14:15], s[0:1], 0x30
	s_load_dwordx2 s[12:13], s[0:1], 0x10
	s_load_dwordx4 s[4:7], s[0:1], 0x3c
	s_lshl_b32 s18, s2, 7
	s_mov_b32 s19, 0
	s_waitcnt lgkmcnt(0)
	s_cmp_lt_i32 s15, 32
	s_cbranch_scc1 .LBB197_21
; %bb.3:
	s_load_dwordx4 s[8:11], s[0:1], 0x0
	s_ashr_i32 s0, s15, 31
	s_ashr_i32 s1, s5, 31
	s_lshr_b32 s0, s0, 27
	s_lshr_b32 s1, s1, 27
	s_add_i32 s0, s15, s0
	s_add_i32 s1, s5, s1
	s_mul_i32 s3, s3, s14
	s_ashr_i32 s20, s0, 5
	s_ashr_i32 s5, s1, 5
	;; [unrolled: 1-line block ×3, first 2 shown]
	s_waitcnt lgkmcnt(0)
	s_add_u32 s2, s8, s3
	s_mul_i32 s3, s20, s18
	s_addc_u32 s1, s9, s1
	s_mul_hi_i32 s8, s3, 18
	s_mul_i32 s3, s3, 18
	v_bfe_u32 v49, v0, 3, 7
	s_add_u32 s14, s2, s3
	v_and_b32_e32 v28, 7, v0
	v_lshl_add_u32 v6, v4, 2, v49
	v_mov_b32_e32 v33, 0x5280
	s_addc_u32 s21, s1, s8
	v_and_b32_e32 v7, 0x1ffc, v6
	v_lshlrev_b32_e32 v8, 2, v28
	s_movk_i32 s1, 0x4200
	v_and_b32_e32 v32, 31, v0
	v_lshl_add_u32 v51, v4, 7, v33
	v_and_b32_e32 v17, 0x3ff, v0
	v_add3_u32 v9, v7, v8, s1
	v_add_u32_e32 v7, 32, v6
	v_lshl_or_b32 v53, v32, 2, v51
	v_mov_b32_e32 v32, 0x5680
	v_lshlrev_b32_e32 v5, 2, v17
	s_movk_i32 s2, 0x84
	v_mul_lo_u32 v30, s20, v6
	v_lshlrev_b32_e32 v10, 5, v6
	v_and_b32_e32 v11, 0x3ffc, v7
	v_lshlrev_b32_e32 v12, 5, v7
	v_add_u32_e32 v7, 64, v6
	v_add_u32_e32 v6, 0x60, v6
	v_lshl_add_u32 v55, v4, 4, v32
	s_abs_i32 s8, s7
	v_and_b32_e32 v2, 12, v5
	v_mad_u32_u24 v19, v4, s2, v5
	v_and_b32_e32 v13, 0x3ffc, v7
	v_lshlrev_b32_e32 v14, 5, v7
	v_and_b32_e32 v7, 0x3ffc, v6
	v_lshlrev_b32_e32 v15, 5, v6
	v_and_b32_e32 v6, 28, v5
	v_add_u32_e32 v57, v55, v5
	v_cvt_f32_u32_e32 v5, s8
	s_and_b32 s16, s0, 0xffffffe0
	s_sub_i32 s0, 0, s8
	s_waitcnt vmcnt(0)
	v_sub_u32_e32 v33, 0, v1
	v_rcp_iflag_f32_e32 v5, v5
	v_max_i32_e32 v33, v1, v33
	v_add3_u32 v11, v11, v8, s1
	v_add3_u32 v13, v13, v8, s1
	v_mul_f32_e32 v5, 0x4f7ffffe, v5
	v_cvt_u32_f32_e32 v5, v5
	v_add3_u32 v8, v7, v8, s1
	v_mul_lo_u32 v16, s20, v4
	s_lshl_b32 s3, s20, 3
	v_mul_lo_u32 v34, s0, v5
	v_mul_hi_u32 v34, v5, v34
	v_add_u32_e32 v5, v5, v34
	v_mul_hi_u32 v5, v33, v5
	v_mul_lo_u32 v34, v5, s8
	v_sub_u32_e32 v33, v33, v34
	v_add_u32_e32 v34, 1, v5
	v_cmp_le_u32_e64 s[0:1], s8, v33
	v_add_u32_e32 v18, s3, v16
	v_xor_b32_e32 v32, s7, v1
	v_cndmask_b32_e64 v5, v5, v34, s[0:1]
	v_subrev_u32_e32 v34, s8, v33
	v_cndmask_b32_e64 v33, v33, v34, s[0:1]
	v_add_u32_e32 v34, 1, v5
	v_cmp_le_u32_e64 s[0:1], s8, v33
	v_add_u32_e32 v20, s3, v18
	v_ashrrev_i32_e32 v32, 31, v32
	v_cndmask_b32_e64 v5, v5, v34, s[0:1]
	v_add_u32_e32 v22, s3, v20
	v_xor_b32_e32 v5, v5, v32
	v_add_u32_e32 v24, s3, v22
	v_mov_b32_e32 v7, v3
	v_add_u32_e32 v4, 32, v17
	v_add_u32_e32 v36, 64, v17
	;; [unrolled: 1-line block ×3, first 2 shown]
	v_sub_u32_e32 v5, v5, v32
	v_add_u32_e32 v26, s3, v24
	v_lshrrev_b32_e32 v61, 3, v4
	v_cmp_gt_i32_e64 s[0:1], s4, v5
	v_mul_lo_u32 v32, v5, s5
	v_lshl_add_u64 v[34:35], s[10:11], 0, v[6:7]
	v_lshlrev_b32_e32 v5, 5, v17
	v_and_b32_e32 v6, 0x1fc, v38
	v_and_b32_e32 v7, 0x1fc, v36
	;; [unrolled: 1-line block ×4, first 2 shown]
	v_add_u32_e32 v6, v5, v6
	v_add_u32_e32 v7, v5, v7
	;; [unrolled: 1-line block ×13, first 2 shown]
	v_cmp_gt_u32_e32 vcc, 4, v17
	v_add_u32_e32 v52, s3, v50
	v_add_u32_e32 v58, s16, v56
	;; [unrolled: 1-line block ×14, first 2 shown]
	v_mul_u32_u24_e32 v59, 0x84, v17
	s_and_b64 s[8:9], vcc, s[0:1]
	v_ashrrev_i32_e32 v33, 31, v32
	v_add_u32_e32 v68, 0x4e00, v6
	v_add_u32_e32 v69, 0x4a00, v7
	;; [unrolled: 1-line block ×12, first 2 shown]
	v_mov_b32_e32 v4, v3
	v_mov_b32_e32 v5, v3
	;; [unrolled: 1-line block ×4, first 2 shown]
	v_mad_u32_u24 v80, v17, s2, 64
	v_add_u32_e32 v54, s3, v52
	v_add_u32_e32 v60, s16, v58
	v_mov_b32_e32 v63, 0x41000000
	s_branch .LBB197_5
.LBB197_4:                              ;   in Loop: Header=BB197_5 Depth=1
	s_add_i32 s19, s19, 8
	s_cmp_ge_i32 s19, s20
	s_cbranch_scc1 .LBB197_22
.LBB197_5:                              ; =>This Loop Header: Depth=1
                                        ;     Child Loop BB197_11 Depth 2
                                        ;     Child Loop BB197_19 Depth 2
	s_mul_i32 s2, s19, 18
	s_mul_hi_u32 s3, s19, 18
	s_add_u32 s2, s14, s2
	s_addc_u32 s3, s21, s3
	v_bfe_u32 v8, v0, 2, 8
	v_mad_u64_u32 v[8:9], s[16:17], v8, 18, s[2:3]
	v_mad_u64_u32 v[10:11], s[16:17], v16, 18, v[8:9]
	v_mad_u64_u32 v[12:13], s[16:17], v18, 18, v[8:9]
	v_mad_u64_u32 v[14:15], s[16:17], v20, 18, v[8:9]
	v_mad_u64_u32 v[64:65], s[16:17], v22, 18, v[8:9]
	v_mad_u64_u32 v[66:67], s[16:17], v24, 18, v[8:9]
	v_mad_u64_u32 v[82:83], s[16:17], v26, 18, v[8:9]
	v_mad_u64_u32 v[84:85], s[16:17], v36, 18, v[8:9]
	v_lshl_add_u64 v[10:11], v[10:11], 0, v[2:3]
	v_lshl_add_u64 v[12:13], v[12:13], 0, v[2:3]
	;; [unrolled: 1-line block ×7, first 2 shown]
	v_mad_u64_u32 v[86:87], s[16:17], v38, 18, v[8:9]
	v_lshl_add_u64 v[86:87], v[86:87], 0, v[2:3]
	global_load_dword v62, v[10:11], off offset:2
	global_load_dword v81, v[12:13], off offset:2
	;; [unrolled: 1-line block ×8, first 2 shown]
	v_mad_u64_u32 v[10:11], s[16:17], v40, 18, v[8:9]
	v_mad_u64_u32 v[12:13], s[16:17], v42, 18, v[8:9]
	;; [unrolled: 1-line block ×8, first 2 shown]
	v_lshl_add_u64 v[10:11], v[10:11], 0, v[2:3]
	v_lshl_add_u64 v[8:9], v[8:9], 0, v[2:3]
	v_lshl_add_u64 v[12:13], v[12:13], 0, v[2:3]
	v_lshl_add_u64 v[14:15], v[14:15], 0, v[2:3]
	v_lshl_add_u64 v[64:65], v[64:65], 0, v[2:3]
	v_lshl_add_u64 v[66:67], v[66:67], 0, v[2:3]
	v_lshl_add_u64 v[82:83], v[82:83], 0, v[2:3]
	v_lshl_add_u64 v[84:85], v[84:85], 0, v[2:3]
	global_load_dword v86, v[10:11], off offset:2
	global_load_dword v87, v[12:13], off offset:2
	;; [unrolled: 1-line block ×8, first 2 shown]
	v_mad_u64_u32 v[8:9], s[2:3], v28, 18, s[2:3]
	v_mad_u64_u32 v[10:11], s[2:3], v30, 18, v[8:9]
	;; [unrolled: 1-line block ×3, first 2 shown]
	global_load_ushort v14, v[10:11], off
	global_load_ushort v15, v[12:13], off
	v_mad_u64_u32 v[10:11], s[2:3], v58, 18, v[8:9]
	v_mad_u64_u32 v[8:9], s[2:3], v60, 18, v[8:9]
	global_load_ushort v10, v[10:11], off
	s_lshl_b32 s16, s19, 5
	global_load_ushort v8, v[8:9], off
	v_add_u32_e32 v9, 0x420, v19
	s_cmp_lt_i32 s16, s15
	s_waitcnt vmcnt(19)
	ds_write_b32 v19, v62
	s_waitcnt vmcnt(18)
	ds_write_b32 v9, v81
	v_add_u32_e32 v9, 0x840, v19
	s_waitcnt vmcnt(17)
	ds_write_b32 v9, v88
	v_add_u32_e32 v9, 0xc60, v19
	s_waitcnt vmcnt(16)
	ds_write_b32 v9, v89
	s_waitcnt vmcnt(15)
	ds_write_b32 v21, v90
	;; [unrolled: 2-line block ×13, first 2 shown]
	s_waitcnt vmcnt(3)
	v_cvt_f32_f16_e32 v9, v14
	s_waitcnt vmcnt(2)
	v_cvt_f32_f16_e32 v11, v15
	ds_write_b32 v76, v9
	ds_write_b32 v77, v11
	s_waitcnt vmcnt(1)
	v_cvt_f32_f16_e32 v10, v10
	s_waitcnt vmcnt(0)
	v_cvt_f32_f16_e32 v8, v8
	ds_write_b32 v78, v10
	ds_write_b32 v79, v8
	s_cbranch_scc0 .LBB197_4
; %bb.6:                                ;   in Loop: Header=BB197_5 Depth=1
	v_add_u32_e32 v8, s19, v49
	v_cmp_gt_i32_e64 s[2:3], s5, v8
	s_and_b64 s[22:23], s[0:1], s[2:3]
	s_and_saveexec_b64 s[2:3], s[22:23]
	s_cbranch_execz .LBB197_8
; %bb.7:                                ;   in Loop: Header=BB197_5 Depth=1
	v_add_u32_e32 v8, v32, v8
	v_mad_i64_i32 v[8:9], s[22:23], v8, 36, v[34:35]
	global_load_dword v8, v[8:9], off offset:4
	s_waitcnt vmcnt(0)
	ds_write_b32 v53, v8
.LBB197_8:                              ;   in Loop: Header=BB197_5 Depth=1
	s_or_b64 exec, exec, s[2:3]
	v_add_u32_e32 v64, s19, v17
	v_cmp_gt_i32_e64 s[2:3], s5, v64
	s_and_b64 s[22:23], s[8:9], s[2:3]
	s_and_saveexec_b64 s[2:3], s[22:23]
	s_cbranch_execz .LBB197_10
; %bb.9:                                ;   in Loop: Header=BB197_5 Depth=1
	v_add_u32_e32 v8, v32, v64
	v_mad_i64_i32 v[8:9], s[22:23], v8, 36, s[10:11]
	global_load_dword v8, v[8:9], off
	s_waitcnt vmcnt(0)
	ds_write_b32 v57, v8
.LBB197_10:                             ;   in Loop: Header=BB197_5 Depth=1
	s_or_b64 exec, exec, s[2:3]
	s_mov_b32 s2, -4
	v_mov_b32_e32 v65, v51
	v_mov_b32_e32 v81, v55
	;; [unrolled: 1-line block ×7, first 2 shown]
	s_waitcnt lgkmcnt(0)
	s_barrier
.LBB197_11:                             ;   Parent Loop BB197_5 Depth=1
                                        ; =>  This Inner Loop Header: Depth=2
	ds_read_b128 v[8:11], v65
	ds_read_b128 v[12:15], v65 offset:16
	ds_read_b32 v87, v81
	ds_read_b32 v66, v82
	ds_read2_b32 v[88:89], v86 offset1:1
	v_mov_b32_e32 v92, 0
	v_mov_b32_e32 v93, 0
	;; [unrolled: 1-line block ×4, first 2 shown]
	s_waitcnt lgkmcnt(0)
	v_and_b32_e32 v62, 0xf0f0f0f, v88
	v_lshrrev_b32_e32 v67, 4, v88
	v_and_b32_e32 v67, 0xf0f0f0f, v67
	v_dot4c_i32_i8_e32 v92, v62, v8
	v_dot4c_i32_i8_e32 v92, v67, v12
	v_and_b32_e32 v62, 0xf0f0f0f, v89
	v_lshrrev_b32_e32 v67, 4, v89
	ds_read2_b32 v[88:89], v86 offset0:2 offset1:3
	v_and_b32_e32 v67, 0xf0f0f0f, v67
	v_dot4c_i32_i8_e32 v92, v62, v9
	v_dot4c_i32_i8_e32 v92, v67, v13
	s_add_i32 s2, s2, 4
	s_waitcnt lgkmcnt(0)
	v_and_b32_e32 v62, 0xf0f0f0f, v88
	v_lshrrev_b32_e32 v67, 4, v88
	v_and_b32_e32 v67, 0xf0f0f0f, v67
	v_dot4c_i32_i8_e32 v92, v62, v10
	v_dot4c_i32_i8_e32 v92, v67, v14
	v_and_b32_e32 v62, 0xf0f0f0f, v89
	v_lshrrev_b32_e32 v67, 4, v89
	v_and_b32_e32 v67, 0xf0f0f0f, v67
	v_dot4c_i32_i8_e32 v92, v62, v11
	v_dot4c_i32_i8_e32 v92, v67, v15
	v_add_u32_e32 v62, 0x1080, v86
	ds_read_b32 v67, v83
	ds_read2_b32 v[88:89], v62 offset1:1
	v_add_u32_e32 v83, 4, v83
	v_add_u32_e32 v82, 4, v82
	;; [unrolled: 1-line block ×4, first 2 shown]
	s_waitcnt lgkmcnt(0)
	v_and_b32_e32 v62, 0xf0f0f0f, v88
	v_lshrrev_b32_e32 v88, 4, v88
	v_and_b32_e32 v88, 0xf0f0f0f, v88
	v_dot4c_i32_i8_e32 v93, v62, v8
	v_dot4c_i32_i8_e32 v93, v88, v12
	v_and_b32_e32 v62, 0xf0f0f0f, v89
	v_lshrrev_b32_e32 v88, 4, v89
	v_and_b32_e32 v88, 0xf0f0f0f, v88
	v_dot4c_i32_i8_e32 v93, v62, v9
	v_add_u32_e32 v62, 0x1088, v86
	v_dot4c_i32_i8_e32 v93, v88, v13
	ds_read2_b32 v[88:89], v62 offset1:1
	s_cmp_lt_u32 s2, 12
	s_waitcnt lgkmcnt(0)
	v_and_b32_e32 v62, 0xf0f0f0f, v88
	v_lshrrev_b32_e32 v88, 4, v88
	v_and_b32_e32 v88, 0xf0f0f0f, v88
	v_dot4c_i32_i8_e32 v93, v62, v10
	v_dot4c_i32_i8_e32 v93, v88, v14
	v_and_b32_e32 v62, 0xf0f0f0f, v89
	v_lshrrev_b32_e32 v88, 4, v89
	v_and_b32_e32 v88, 0xf0f0f0f, v88
	v_dot4c_i32_i8_e32 v93, v62, v11
	v_dot4c_i32_i8_e32 v93, v88, v15
	v_add_u32_e32 v62, 0x2100, v86
	ds_read_b32 v88, v84
	ds_read2_b32 v[90:91], v62 offset1:1
	v_add_u32_e32 v84, 4, v84
	s_waitcnt lgkmcnt(0)
	v_and_b32_e32 v62, 0xf0f0f0f, v90
	v_lshrrev_b32_e32 v89, 4, v90
	v_and_b32_e32 v89, 0xf0f0f0f, v89
	v_dot4c_i32_i8_e32 v94, v62, v8
	v_dot4c_i32_i8_e32 v94, v89, v12
	v_and_b32_e32 v62, 0xf0f0f0f, v91
	v_dot4c_i32_i8_e32 v94, v62, v9
	v_add_u32_e32 v62, 0x2108, v86
	v_lshrrev_b32_e32 v89, 4, v91
	ds_read2_b32 v[90:91], v62 offset1:1
	v_and_b32_e32 v89, 0xf0f0f0f, v89
	v_dot4c_i32_i8_e32 v94, v89, v13
	s_waitcnt lgkmcnt(0)
	v_and_b32_e32 v62, 0xf0f0f0f, v90
	v_lshrrev_b32_e32 v89, 4, v90
	v_and_b32_e32 v89, 0xf0f0f0f, v89
	v_dot4c_i32_i8_e32 v94, v62, v10
	v_dot4c_i32_i8_e32 v94, v89, v14
	v_and_b32_e32 v62, 0xf0f0f0f, v91
	v_lshrrev_b32_e32 v89, 4, v91
	v_and_b32_e32 v89, 0xf0f0f0f, v89
	v_dot4c_i32_i8_e32 v94, v62, v11
	v_dot4c_i32_i8_e32 v94, v89, v15
	v_add_u32_e32 v62, 0x3180, v86
	ds_read_b32 v89, v85
	ds_read2_b32 v[90:91], v62 offset1:1
	v_cvt_f32_i32_e32 v94, v94
	v_add_u32_e32 v85, 4, v85
	s_waitcnt lgkmcnt(0)
	v_and_b32_e32 v62, 0xf0f0f0f, v90
	v_lshrrev_b32_e32 v90, 4, v90
	v_and_b32_e32 v90, 0xf0f0f0f, v90
	v_dot4c_i32_i8_e32 v95, v62, v8
	v_dot4c_i32_i8_e32 v95, v90, v12
	v_and_b32_e32 v8, 0xf0f0f0f, v91
	v_dot4c_i32_i8_e32 v95, v8, v9
	v_add_u32_e32 v8, 0x3188, v86
	ds_read2_b32 v[8:9], v8 offset1:1
	v_lshrrev_b32_e32 v12, 4, v91
	v_and_b32_e32 v12, 0xf0f0f0f, v12
	v_dot4c_i32_i8_e32 v95, v12, v13
	v_cvt_f32_i32_e32 v13, v93
	s_waitcnt lgkmcnt(0)
	v_and_b32_e32 v12, 0xf0f0f0f, v8
	v_lshrrev_b32_e32 v8, 4, v8
	v_and_b32_e32 v8, 0xf0f0f0f, v8
	v_dot4c_i32_i8_e32 v95, v12, v10
	v_dot4c_i32_i8_e32 v95, v8, v14
	v_and_b32_e32 v8, 0xf0f0f0f, v9
	v_lshrrev_b32_e32 v9, 4, v9
	v_and_b32_e32 v9, 0xf0f0f0f, v9
	v_dot4c_i32_i8_e32 v95, v8, v11
	v_dot4c_i32_i8_e32 v95, v9, v15
	v_cvt_f32_f16_sdwa v9, v87 dst_sel:DWORD dst_unused:UNUSED_PAD src0_sel:WORD_1
	v_cvt_f32_f16_e32 v8, v87
	v_cvt_f32_i32_e32 v12, v92
	v_cvt_f32_i32_e32 v62, v95
	v_add_u32_e32 v86, 16, v86
	v_pk_mul_f32 v[10:11], v[62:63], v[8:9]
	v_pk_mul_f32 v[8:9], v[8:9], v[12:13] op_sel_hi:[0,1]
	v_sub_f32_e32 v9, v9, v11
	v_sub_f32_e32 v8, v8, v11
	v_fma_mix_f32 v12, v87, v94, -v11 op_sel_hi:[1,0,0]
	v_sub_f32_e32 v13, v10, v11
	v_pk_fma_f32 v[6:7], v[88:89], v[12:13], v[6:7]
	v_pk_fma_f32 v[4:5], v[66:67], v[8:9], v[4:5]
	s_cbranch_scc1 .LBB197_11
; %bb.12:                               ;   in Loop: Header=BB197_5 Depth=1
	s_bitset1_b32 s16, 7
	s_cmp_ge_i32 s16, s15
	s_barrier
	s_cbranch_scc1 .LBB197_4
; %bb.13:                               ;   in Loop: Header=BB197_5 Depth=1
	v_add_u32_e32 v8, s19, v61
	v_cmp_gt_i32_e64 s[2:3], s5, v8
	s_and_b64 s[16:17], s[0:1], s[2:3]
	s_and_saveexec_b64 s[2:3], s[16:17]
	s_cbranch_execz .LBB197_15
; %bb.14:                               ;   in Loop: Header=BB197_5 Depth=1
	v_add_u32_e32 v8, v32, v8
	v_mad_i64_i32 v[8:9], s[16:17], v8, 36, v[34:35]
	global_load_dword v8, v[8:9], off offset:4
	s_waitcnt vmcnt(0)
	ds_write_b32 v53, v8
.LBB197_15:                             ;   in Loop: Header=BB197_5 Depth=1
	s_or_b64 exec, exec, s[2:3]
	s_and_saveexec_b64 s[16:17], vcc
	s_cbranch_execz .LBB197_18
; %bb.16:                               ;   in Loop: Header=BB197_5 Depth=1
	v_or_b32_e32 v8, 4, v64
	v_cmp_gt_i32_e64 s[2:3], s5, v8
	s_and_b64 s[2:3], s[0:1], s[2:3]
	s_and_b64 exec, exec, s[2:3]
	s_cbranch_execz .LBB197_18
; %bb.17:                               ;   in Loop: Header=BB197_5 Depth=1
	v_ashrrev_i32_e32 v65, 31, v64
	v_lshl_add_u64 v[8:9], v[32:33], 0, v[64:65]
	v_mad_u64_u32 v[10:11], s[2:3], v8, 36, s[10:11]
	v_mad_i32_i24 v11, v9, 36, v11
	global_load_dword v8, v[10:11], off offset:144
	s_waitcnt vmcnt(0)
	ds_write_b32 v57, v8
.LBB197_18:                             ;   in Loop: Header=BB197_5 Depth=1
	s_or_b64 exec, exec, s[16:17]
	s_mov_b32 s2, 12
	v_mov_b32_e32 v66, v55
	v_mov_b32_e32 v67, v51
	;; [unrolled: 1-line block ×7, first 2 shown]
	s_waitcnt lgkmcnt(0)
	s_barrier
.LBB197_19:                             ;   Parent Loop BB197_5 Depth=1
                                        ; =>  This Inner Loop Header: Depth=2
	ds_read_b128 v[8:11], v67
	ds_read_b128 v[12:15], v67 offset:16
	ds_read_b32 v90, v66
	ds_read_b32 v64, v81
	ds_read2_b32 v[86:87], v85 offset1:1
	v_mov_b32_e32 v91, 0
	v_mov_b32_e32 v92, 0
	;; [unrolled: 1-line block ×4, first 2 shown]
	s_waitcnt lgkmcnt(0)
	v_and_b32_e32 v62, 0xf0f0f0f, v86
	v_lshrrev_b32_e32 v65, 4, v86
	v_and_b32_e32 v65, 0xf0f0f0f, v65
	v_dot4c_i32_i8_e32 v91, v62, v8
	v_dot4c_i32_i8_e32 v91, v65, v12
	v_and_b32_e32 v62, 0xf0f0f0f, v87
	v_lshrrev_b32_e32 v65, 4, v87
	ds_read2_b32 v[86:87], v85 offset0:2 offset1:3
	v_and_b32_e32 v65, 0xf0f0f0f, v65
	v_dot4c_i32_i8_e32 v91, v62, v9
	v_dot4c_i32_i8_e32 v91, v65, v13
	s_add_i32 s2, s2, 4
	s_waitcnt lgkmcnt(0)
	v_and_b32_e32 v62, 0xf0f0f0f, v86
	v_lshrrev_b32_e32 v65, 4, v86
	v_and_b32_e32 v65, 0xf0f0f0f, v65
	v_dot4c_i32_i8_e32 v91, v62, v10
	v_dot4c_i32_i8_e32 v91, v65, v14
	v_and_b32_e32 v62, 0xf0f0f0f, v87
	v_lshrrev_b32_e32 v65, 4, v87
	v_and_b32_e32 v65, 0xf0f0f0f, v65
	v_dot4c_i32_i8_e32 v91, v62, v11
	v_dot4c_i32_i8_e32 v91, v65, v15
	v_add_u32_e32 v62, 0x1080, v85
	ds_read_b32 v65, v82
	ds_read2_b32 v[86:87], v62 offset1:1
	v_add_u32_e32 v82, 4, v82
	v_add_u32_e32 v81, 4, v81
	;; [unrolled: 1-line block ×4, first 2 shown]
	s_waitcnt lgkmcnt(0)
	v_and_b32_e32 v62, 0xf0f0f0f, v86
	v_lshrrev_b32_e32 v86, 4, v86
	v_and_b32_e32 v86, 0xf0f0f0f, v86
	v_dot4c_i32_i8_e32 v92, v62, v8
	v_dot4c_i32_i8_e32 v92, v86, v12
	v_and_b32_e32 v62, 0xf0f0f0f, v87
	v_lshrrev_b32_e32 v86, 4, v87
	v_and_b32_e32 v86, 0xf0f0f0f, v86
	v_dot4c_i32_i8_e32 v92, v62, v9
	v_add_u32_e32 v62, 0x1088, v85
	v_dot4c_i32_i8_e32 v92, v86, v13
	ds_read2_b32 v[86:87], v62 offset1:1
	s_cmp_lt_u32 s2, 28
	s_waitcnt lgkmcnt(0)
	v_and_b32_e32 v62, 0xf0f0f0f, v86
	v_lshrrev_b32_e32 v86, 4, v86
	v_and_b32_e32 v86, 0xf0f0f0f, v86
	v_dot4c_i32_i8_e32 v92, v62, v10
	v_dot4c_i32_i8_e32 v92, v86, v14
	v_and_b32_e32 v62, 0xf0f0f0f, v87
	v_lshrrev_b32_e32 v86, 4, v87
	v_and_b32_e32 v86, 0xf0f0f0f, v86
	v_dot4c_i32_i8_e32 v92, v62, v11
	v_dot4c_i32_i8_e32 v92, v86, v15
	v_add_u32_e32 v62, 0x2100, v85
	ds_read_b32 v86, v83
	ds_read2_b32 v[88:89], v62 offset1:1
	v_add_u32_e32 v83, 4, v83
	s_waitcnt lgkmcnt(0)
	v_and_b32_e32 v62, 0xf0f0f0f, v88
	v_lshrrev_b32_e32 v87, 4, v88
	v_and_b32_e32 v87, 0xf0f0f0f, v87
	v_dot4c_i32_i8_e32 v93, v62, v8
	v_dot4c_i32_i8_e32 v93, v87, v12
	v_and_b32_e32 v62, 0xf0f0f0f, v89
	v_dot4c_i32_i8_e32 v93, v62, v9
	v_add_u32_e32 v62, 0x2108, v85
	v_lshrrev_b32_e32 v87, 4, v89
	ds_read2_b32 v[88:89], v62 offset1:1
	v_and_b32_e32 v87, 0xf0f0f0f, v87
	v_dot4c_i32_i8_e32 v93, v87, v13
	s_waitcnt lgkmcnt(0)
	v_and_b32_e32 v62, 0xf0f0f0f, v88
	v_lshrrev_b32_e32 v87, 4, v88
	v_and_b32_e32 v87, 0xf0f0f0f, v87
	v_dot4c_i32_i8_e32 v93, v62, v10
	v_dot4c_i32_i8_e32 v93, v87, v14
	v_and_b32_e32 v62, 0xf0f0f0f, v89
	v_lshrrev_b32_e32 v87, 4, v89
	v_and_b32_e32 v87, 0xf0f0f0f, v87
	v_dot4c_i32_i8_e32 v93, v62, v11
	v_dot4c_i32_i8_e32 v93, v87, v15
	v_add_u32_e32 v62, 0x3180, v85
	ds_read_b32 v87, v84
	ds_read2_b32 v[88:89], v62 offset1:1
	v_cvt_f32_i32_e32 v93, v93
	v_add_u32_e32 v84, 4, v84
	s_waitcnt lgkmcnt(0)
	v_and_b32_e32 v62, 0xf0f0f0f, v88
	v_lshrrev_b32_e32 v88, 4, v88
	v_and_b32_e32 v88, 0xf0f0f0f, v88
	v_dot4c_i32_i8_e32 v94, v62, v8
	v_dot4c_i32_i8_e32 v94, v88, v12
	v_and_b32_e32 v8, 0xf0f0f0f, v89
	v_dot4c_i32_i8_e32 v94, v8, v9
	v_add_u32_e32 v8, 0x3188, v85
	ds_read2_b32 v[8:9], v8 offset1:1
	v_lshrrev_b32_e32 v12, 4, v89
	v_and_b32_e32 v12, 0xf0f0f0f, v12
	v_dot4c_i32_i8_e32 v94, v12, v13
	v_cvt_f32_i32_e32 v13, v92
	s_waitcnt lgkmcnt(0)
	v_and_b32_e32 v12, 0xf0f0f0f, v8
	v_lshrrev_b32_e32 v8, 4, v8
	v_and_b32_e32 v8, 0xf0f0f0f, v8
	v_dot4c_i32_i8_e32 v94, v12, v10
	v_dot4c_i32_i8_e32 v94, v8, v14
	v_and_b32_e32 v8, 0xf0f0f0f, v9
	v_lshrrev_b32_e32 v9, 4, v9
	v_and_b32_e32 v9, 0xf0f0f0f, v9
	v_dot4c_i32_i8_e32 v94, v8, v11
	v_dot4c_i32_i8_e32 v94, v9, v15
	v_cvt_f32_f16_sdwa v9, v90 dst_sel:DWORD dst_unused:UNUSED_PAD src0_sel:WORD_1
	v_cvt_f32_f16_e32 v8, v90
	v_cvt_f32_i32_e32 v12, v91
	v_cvt_f32_i32_e32 v62, v94
	v_add_u32_e32 v85, 16, v85
	v_pk_mul_f32 v[10:11], v[62:63], v[8:9]
	v_pk_mul_f32 v[8:9], v[8:9], v[12:13] op_sel_hi:[0,1]
	v_sub_f32_e32 v9, v9, v11
	v_sub_f32_e32 v8, v8, v11
	v_fma_mix_f32 v12, v90, v93, -v11 op_sel_hi:[1,0,0]
	v_sub_f32_e32 v13, v10, v11
	v_pk_fma_f32 v[6:7], v[86:87], v[12:13], v[6:7]
	v_pk_fma_f32 v[4:5], v[64:65], v[8:9], v[4:5]
	s_cbranch_scc1 .LBB197_19
; %bb.20:                               ;   in Loop: Header=BB197_5 Depth=1
	s_barrier
	s_branch .LBB197_4
.LBB197_21:
	v_mov_b32_e32 v4, v3
	v_mov_b32_e32 v5, v3
	;; [unrolled: 1-line block ×3, first 2 shown]
	v_mov_b64_e32 v[6:7], v[4:5]
	v_mov_b64_e32 v[4:5], v[2:3]
.LBB197_22:
	s_mul_i32 s0, s7, s4
	s_waitcnt vmcnt(0)
	v_cmp_gt_i32_e32 vcc, s0, v1
	s_and_saveexec_b64 s[0:1], vcc
	s_cbranch_execz .LBB197_31
; %bb.23:
	v_and_b32_e32 v0, 0x3ff, v0
	v_add_u32_e32 v2, s18, v0
	v_mul_lo_u32 v0, v1, s6
	v_cmp_gt_u32_e32 vcc, s6, v2
	s_and_saveexec_b64 s[0:1], vcc
	s_cbranch_execz .LBB197_25
; %bb.24:
	v_cvt_f16_f32_e32 v1, v4
	v_add_u32_e32 v8, v0, v2
	v_mov_b32_e32 v9, 0
	v_lshl_add_u64 v[8:9], v[8:9], 1, s[12:13]
	global_store_short v[8:9], v1, off
.LBB197_25:
	s_or_b64 exec, exec, s[0:1]
	v_add_u32_e32 v1, 32, v2
	v_cmp_gt_u32_e32 vcc, s6, v1
	s_and_saveexec_b64 s[0:1], vcc
	s_cbranch_execz .LBB197_27
; %bb.26:
	v_cvt_f16_f32_e32 v3, v5
	v_add_u32_e32 v4, v0, v1
	v_mov_b32_e32 v5, 0
	v_lshl_add_u64 v[4:5], v[4:5], 1, s[12:13]
	global_store_short v[4:5], v3, off
.LBB197_27:
	s_or_b64 exec, exec, s[0:1]
	v_add_u32_e32 v1, 64, v2
	;; [unrolled: 12-line block ×3, first 2 shown]
	v_cmp_gt_u32_e32 vcc, s6, v1
	s_and_b64 exec, exec, vcc
	s_cbranch_execz .LBB197_31
; %bb.30:
	v_cvt_f16_f32_e32 v2, v7
	v_add_u32_e32 v0, v0, v1
	v_mov_b32_e32 v1, 0
	v_lshl_add_u64 v[0:1], v[0:1], 1, s[12:13]
	global_store_short v[0:1], v2, off
.LBB197_31:
	s_endpgm
	.section	.rodata,"a",@progbits
	.p2align	6, 0x0
	.amdhsa_kernel _ZL8moe_q4_0IN3c104HalfELb0EEvPKvS3_PT_PKiS7_S7_iiiiiii
		.amdhsa_group_segment_fixed_size 22272
		.amdhsa_private_segment_fixed_size 0
		.amdhsa_kernarg_size 76
		.amdhsa_user_sgpr_count 2
		.amdhsa_user_sgpr_dispatch_ptr 0
		.amdhsa_user_sgpr_queue_ptr 0
		.amdhsa_user_sgpr_kernarg_segment_ptr 1
		.amdhsa_user_sgpr_dispatch_id 0
		.amdhsa_user_sgpr_kernarg_preload_length 0
		.amdhsa_user_sgpr_kernarg_preload_offset 0
		.amdhsa_user_sgpr_private_segment_size 0
		.amdhsa_uses_dynamic_stack 0
		.amdhsa_enable_private_segment 0
		.amdhsa_system_sgpr_workgroup_id_x 1
		.amdhsa_system_sgpr_workgroup_id_y 1
		.amdhsa_system_sgpr_workgroup_id_z 0
		.amdhsa_system_sgpr_workgroup_info 0
		.amdhsa_system_vgpr_workitem_id 1
		.amdhsa_next_free_vgpr 100
		.amdhsa_next_free_sgpr 75
		.amdhsa_accum_offset 100
		.amdhsa_reserve_vcc 1
		.amdhsa_float_round_mode_32 0
		.amdhsa_float_round_mode_16_64 0
		.amdhsa_float_denorm_mode_32 3
		.amdhsa_float_denorm_mode_16_64 3
		.amdhsa_dx10_clamp 1
		.amdhsa_ieee_mode 1
		.amdhsa_fp16_overflow 0
		.amdhsa_tg_split 0
		.amdhsa_exception_fp_ieee_invalid_op 0
		.amdhsa_exception_fp_denorm_src 0
		.amdhsa_exception_fp_ieee_div_zero 0
		.amdhsa_exception_fp_ieee_overflow 0
		.amdhsa_exception_fp_ieee_underflow 0
		.amdhsa_exception_fp_ieee_inexact 0
		.amdhsa_exception_int_div_zero 0
	.end_amdhsa_kernel
	.section	.text._ZL8moe_q4_0IN3c104HalfELb0EEvPKvS3_PT_PKiS7_S7_iiiiiii,"axG",@progbits,_ZL8moe_q4_0IN3c104HalfELb0EEvPKvS3_PT_PKiS7_S7_iiiiiii,comdat
.Lfunc_end197:
	.size	_ZL8moe_q4_0IN3c104HalfELb0EEvPKvS3_PT_PKiS7_S7_iiiiiii, .Lfunc_end197-_ZL8moe_q4_0IN3c104HalfELb0EEvPKvS3_PT_PKiS7_S7_iiiiiii
                                        ; -- End function
	.set _ZL8moe_q4_0IN3c104HalfELb0EEvPKvS3_PT_PKiS7_S7_iiiiiii.num_vgpr, 100
	.set _ZL8moe_q4_0IN3c104HalfELb0EEvPKvS3_PT_PKiS7_S7_iiiiiii.num_agpr, 0
	.set _ZL8moe_q4_0IN3c104HalfELb0EEvPKvS3_PT_PKiS7_S7_iiiiiii.numbered_sgpr, 24
	.set _ZL8moe_q4_0IN3c104HalfELb0EEvPKvS3_PT_PKiS7_S7_iiiiiii.num_named_barrier, 0
	.set _ZL8moe_q4_0IN3c104HalfELb0EEvPKvS3_PT_PKiS7_S7_iiiiiii.private_seg_size, 0
	.set _ZL8moe_q4_0IN3c104HalfELb0EEvPKvS3_PT_PKiS7_S7_iiiiiii.uses_vcc, 1
	.set _ZL8moe_q4_0IN3c104HalfELb0EEvPKvS3_PT_PKiS7_S7_iiiiiii.uses_flat_scratch, 0
	.set _ZL8moe_q4_0IN3c104HalfELb0EEvPKvS3_PT_PKiS7_S7_iiiiiii.has_dyn_sized_stack, 0
	.set _ZL8moe_q4_0IN3c104HalfELb0EEvPKvS3_PT_PKiS7_S7_iiiiiii.has_recursion, 0
	.set _ZL8moe_q4_0IN3c104HalfELb0EEvPKvS3_PT_PKiS7_S7_iiiiiii.has_indirect_call, 0
	.section	.AMDGPU.csdata,"",@progbits
; Kernel info:
; codeLenInByte = 4016
; TotalNumSgprs: 30
; NumVgprs: 100
; NumAgprs: 0
; TotalNumVgprs: 100
; ScratchSize: 0
; MemoryBound: 0
; FloatMode: 240
; IeeeMode: 1
; LDSByteSize: 22272 bytes/workgroup (compile time only)
; SGPRBlocks: 10
; VGPRBlocks: 12
; NumSGPRsForWavesPerEU: 81
; NumVGPRsForWavesPerEU: 100
; AccumOffset: 100
; Occupancy: 4
; WaveLimiterHint : 1
; COMPUTE_PGM_RSRC2:SCRATCH_EN: 0
; COMPUTE_PGM_RSRC2:USER_SGPR: 2
; COMPUTE_PGM_RSRC2:TRAP_HANDLER: 0
; COMPUTE_PGM_RSRC2:TGID_X_EN: 1
; COMPUTE_PGM_RSRC2:TGID_Y_EN: 1
; COMPUTE_PGM_RSRC2:TGID_Z_EN: 0
; COMPUTE_PGM_RSRC2:TIDIG_COMP_CNT: 1
; COMPUTE_PGM_RSRC3_GFX90A:ACCUM_OFFSET: 24
; COMPUTE_PGM_RSRC3_GFX90A:TG_SPLIT: 0
	.section	.text._ZL8moe_q4_0IN3c104HalfELb1EEvPKvS3_PT_PKiS7_S7_iiiiiii,"axG",@progbits,_ZL8moe_q4_0IN3c104HalfELb1EEvPKvS3_PT_PKiS7_S7_iiiiiii,comdat
	.globl	_ZL8moe_q4_0IN3c104HalfELb1EEvPKvS3_PT_PKiS7_S7_iiiiiii ; -- Begin function _ZL8moe_q4_0IN3c104HalfELb1EEvPKvS3_PT_PKiS7_S7_iiiiiii
	.p2align	8
	.type	_ZL8moe_q4_0IN3c104HalfELb1EEvPKvS3_PT_PKiS7_S7_iiiiiii,@function
_ZL8moe_q4_0IN3c104HalfELb1EEvPKvS3_PT_PKiS7_S7_iiiiiii: ; @_ZL8moe_q4_0IN3c104HalfELb1EEvPKvS3_PT_PKiS7_S7_iiiiiii
; %bb.0:
	s_load_dwordx4 s[4:7], s[0:1], 0x18
	s_mov_b32 s8, s3
	s_mov_b32 s9, 0
	s_lshl_b64 s[10:11], s[8:9], 2
	s_waitcnt lgkmcnt(0)
	s_add_u32 s6, s6, s10
	s_addc_u32 s7, s7, s11
	s_load_dword s3, s[6:7], 0x0
	s_waitcnt lgkmcnt(0)
	s_cmpk_gt_u32 s3, 0xff
	s_cbranch_scc1 .LBB198_31
; %bb.1:
	s_load_dwordx2 s[6:7], s[0:1], 0x28
	s_waitcnt lgkmcnt(0)
	s_load_dword s7, s[6:7], 0x0
	s_lshl_b32 s6, s8, 3
	s_waitcnt lgkmcnt(0)
	s_cmp_gt_u32 s6, s7
	s_cbranch_scc1 .LBB198_31
; %bb.2:
	v_bfe_u32 v4, v0, 10, 10
	v_mov_b32_e32 v6, s4
	v_mov_b32_e32 v7, s5
	v_add_u32_e32 v2, s6, v4
	v_mov_b32_e32 v3, 0
	v_lshl_add_u64 v[6:7], v[2:3], 2, v[6:7]
	global_load_dword v1, v[6:7], off
	s_load_dwordx8 s[4:11], s[0:1], 0x30
	s_load_dwordx2 s[16:17], s[0:1], 0x10
	s_waitcnt lgkmcnt(0)
	s_lshl_b32 s11, s2, 7
	s_mov_b32 s20, 0
	s_cmp_lt_i32 s5, 32
	s_cbranch_scc1 .LBB198_21
; %bb.3:
	s_load_dwordx4 s[12:15], s[0:1], 0x0
	s_ashr_i32 s0, s5, 31
	s_lshr_b32 s0, s0, 27
	s_add_i32 s0, s5, s0
	s_ashr_i32 s21, s0, 5
	s_ashr_i32 s0, s8, 31
	s_lshr_b32 s0, s0, 27
	s_add_i32 s0, s8, s0
	s_mul_i32 s3, s3, s4
	s_ashr_i32 s8, s0, 5
	s_ashr_i32 s0, s3, 31
	s_waitcnt lgkmcnt(0)
	s_add_u32 s1, s12, s3
	s_mul_i32 s2, s21, s11
	s_addc_u32 s0, s13, s0
	s_mul_hi_i32 s3, s2, 18
	s_mul_i32 s2, s2, 18
	s_add_u32 s4, s1, s2
	s_addc_u32 s22, s0, s3
	s_not_b32 s0, s11
	s_add_i32 s0, s6, s0
	v_add_u32_e32 v5, 8, v4
	v_min_i32_e32 v9, s0, v5
	v_add_u32_e32 v5, 16, v4
	v_min_i32_e32 v10, s0, v5
	;; [unrolled: 2-line block ×5, first 2 shown]
	v_add_u32_e32 v5, 48, v4
	v_and_b32_e32 v41, 0x3ff, v0
	v_min_i32_e32 v14, s0, v5
	v_add_u32_e32 v5, 56, v4
	v_lshlrev_b32_e32 v6, 2, v41
	s_movk_i32 s2, 0x84
	v_min_i32_e32 v15, s0, v5
	v_add_u32_e32 v5, 64, v4
	v_mad_u64_u32 v[26:27], s[12:13], v13, s2, v[6:7]
	v_min_i32_e32 v59, s0, v5
	v_add_u32_e32 v5, 0x48, v4
	s_abs_i32 s3, s10
	v_min_i32_e32 v61, s0, v5
	v_add_u32_e32 v5, 0x50, v4
	v_cvt_f32_u32_e32 v27, s3
	v_min_i32_e32 v63, s0, v5
	v_add_u32_e32 v5, 0x58, v4
	v_min_i32_e32 v8, s0, v4
	v_min_i32_e32 v65, s0, v5
	v_add_u32_e32 v5, 0x60, v4
	v_mad_u64_u32 v[16:17], s[12:13], v8, s2, v[6:7]
	v_min_i32_e32 v67, s0, v5
	v_add_u32_e32 v5, 0x68, v4
	v_min_i32_e32 v69, s0, v5
	v_add_u32_e32 v5, 0x70, v4
	v_bfe_u32 v17, v0, 3, 7
	v_rcp_iflag_f32_e32 v27, v27
	v_mad_u64_u32 v[22:23], s[12:13], v11, s2, v[6:7]
	v_mad_u64_u32 v[24:25], s[12:13], v12, s2, v[6:7]
	v_min_i32_e32 v71, s0, v5
	v_lshl_add_u32 v5, v4, 2, v17
	v_min_i32_e32 v73, s0, v5
	v_add_u32_e32 v23, 32, v5
	v_add_u32_e32 v25, 64, v5
	;; [unrolled: 1-line block ×3, first 2 shown]
	v_min_i32_e32 v75, s0, v23
	v_min_i32_e32 v77, s0, v25
	;; [unrolled: 1-line block ×3, first 2 shown]
	v_mad_u64_u32 v[18:19], s[12:13], v9, s2, v[6:7]
	v_mad_u64_u32 v[20:21], s[12:13], v10, s2, v[6:7]
	;; [unrolled: 1-line block ×8, first 2 shown]
	v_ashrrev_i32_e32 v7, 31, v73
	v_ashrrev_i32_e32 v23, 31, v75
	;; [unrolled: 1-line block ×4, first 2 shown]
	v_mul_f32_e32 v27, 0x4f7ffffe, v27
	v_lshrrev_b32_e32 v7, 30, v7
	v_lshrrev_b32_e32 v23, 30, v23
	;; [unrolled: 1-line block ×4, first 2 shown]
	v_cvt_u32_f32_e32 v27, v27
	v_and_b32_e32 v40, 7, v0
	v_add_u32_e32 v7, v73, v7
	v_add_u32_e32 v23, v75, v23
	;; [unrolled: 1-line block ×4, first 2 shown]
	v_and_b32_e32 v7, -4, v7
	v_lshlrev_b32_e32 v19, 2, v40
	s_movk_i32 s1, 0x4200
	v_and_b32_e32 v23, -4, v23
	v_and_b32_e32 v25, -4, v25
	;; [unrolled: 1-line block ×3, first 2 shown]
	v_add3_u32 v7, v7, v19, s1
	v_add3_u32 v23, v23, v19, s1
	;; [unrolled: 1-line block ×4, first 2 shown]
	s_sub_i32 s1, 0, s3
	v_mul_lo_u32 v37, s1, v27
	s_waitcnt vmcnt(0)
	v_sub_u32_e32 v33, 0, v1
	v_mul_hi_u32 v37, v27, v37
	v_max_i32_e32 v33, v1, v33
	v_add_u32_e32 v27, v27, v37
	v_mul_hi_u32 v27, v33, v27
	v_mul_lo_u32 v37, v27, s3
	v_sub_u32_e32 v33, v33, v37
	v_add_u32_e32 v37, 1, v27
	v_cmp_le_u32_e32 vcc, s3, v33
	v_xor_b32_e32 v31, s10, v1
	v_ashrrev_i32_e32 v31, 31, v31
	v_cndmask_b32_e32 v27, v27, v37, vcc
	v_subrev_u32_e32 v37, s3, v33
	v_cndmask_b32_e32 v33, v33, v37, vcc
	v_add_u32_e32 v37, 1, v27
	v_cmp_le_u32_e32 vcc, s3, v33
	v_add_u32_e32 v19, 64, v41
	v_add_u32_e32 v35, 32, v41
	v_cndmask_b32_e32 v27, v27, v37, vcc
	v_xor_b32_e32 v27, v27, v31
	v_sub_u32_e32 v37, v27, v31
	v_lshlrev_b32_e32 v27, 5, v41
	v_and_b32_e32 v19, 0x1fc, v19
	v_add_u32_e32 v29, 0x60, v41
	v_add_u32_e32 v54, v27, v19
	v_and_b32_e32 v19, 0x1fc, v35
	v_and_b32_e32 v29, 0x1fc, v29
	v_add_u32_e32 v55, v27, v19
	v_and_b32_e32 v19, 0xfc, v0
	v_lshlrev_b32_e32 v21, 5, v73
	v_add_u32_e32 v39, v27, v29
	v_add_u32_e32 v56, v27, v19
	v_lshlrev_b32_e32 v27, 5, v75
	v_add_u32_e32 v19, v7, v21
	v_lshlrev_b32_e32 v7, 5, v77
	v_add_u32_e32 v21, v23, v27
	v_lshlrev_b32_e32 v27, 5, v79
	v_add_u32_e32 v23, v25, v7
	v_mov_b32_e32 v7, 0x5280
	v_add_u32_e32 v27, v5, v27
	v_mov_b32_e32 v5, 0x5680
	v_lshl_add_u32 v25, v4, 7, v7
	v_lshl_add_u32 v29, v4, 4, v5
	v_add_u32_e32 v4, 0x78, v4
	v_min_i32_e32 v81, s0, v4
	v_mad_u64_u32 v[42:43], s[0:1], v67, s2, v[6:7]
	v_mad_u64_u32 v[44:45], s[0:1], v69, s2, v[6:7]
	;; [unrolled: 1-line block ×4, first 2 shown]
	v_and_b32_e32 v2, 12, v6
	v_add_u32_e32 v31, v29, v6
	v_and_b32_e32 v4, 28, v6
	v_mov_b32_e32 v5, v3
	v_and_b32_e32 v6, 31, v0
	v_cmp_gt_u32_e32 vcc, 4, v41
	v_cmp_gt_i32_e64 s[0:1], s7, v37
	v_mul_lo_u32 v52, v37, s8
	v_lshl_or_b32 v33, v6, 2, v25
	v_lshrrev_b32_e32 v35, 3, v35
	v_lshl_add_u64 v[50:51], s[14:15], 0, v[4:5]
	s_and_b64 s[12:13], vcc, s[0:1]
	v_ashrrev_i32_e32 v53, 31, v52
	v_add_u32_e32 v37, 0x4e00, v39
	v_add_u32_e32 v39, 0x4e10, v39
	v_add_u32_e32 v43, 0x4a00, v54
	v_add_u32_e32 v45, 0x4a10, v54
	v_add_u32_e32 v47, 0x4600, v55
	v_add_u32_e32 v49, 0x4610, v55
	v_add_u32_e32 v55, 0x4200, v56
	v_add_u32_e32 v57, 0x4210, v56
	v_mov_b32_e32 v4, v3
	v_mov_b32_e32 v6, v3
	;; [unrolled: 1-line block ×3, first 2 shown]
	v_mul_lo_u32 v54, v8, s21
	v_mul_lo_u32 v56, v9, s21
	;; [unrolled: 1-line block ×20, first 2 shown]
	v_mul_u32_u24_e32 v59, 0x84, v41
	v_mad_u32_u24 v61, v41, s2, 64
	v_bfe_u32 v94, v0, 2, 8
	v_mov_b32_e32 v97, 0x41000000
	s_branch .LBB198_5
.LBB198_4:                              ;   in Loop: Header=BB198_5 Depth=1
	s_add_i32 s20, s20, 8
	s_cmp_ge_i32 s20, s21
	s_cbranch_scc1 .LBB198_22
.LBB198_5:                              ; =>This Loop Header: Depth=1
                                        ;     Child Loop BB198_11 Depth 2
                                        ;     Child Loop BB198_19 Depth 2
	s_mul_i32 s2, s20, 18
	s_mul_hi_u32 s3, s20, 18
	s_add_u32 s2, s4, s2
	s_addc_u32 s3, s22, s3
	v_mad_u64_u32 v[8:9], s[18:19], v94, 18, s[2:3]
	v_mad_i64_i32 v[10:11], s[18:19], v54, 18, v[8:9]
	v_mad_i64_i32 v[12:13], s[18:19], v56, 18, v[8:9]
	;; [unrolled: 1-line block ×7, first 2 shown]
	v_lshl_add_u64 v[10:11], v[10:11], 0, v[2:3]
	v_lshl_add_u64 v[12:13], v[12:13], 0, v[2:3]
	;; [unrolled: 1-line block ×7, first 2 shown]
	v_mad_i64_i32 v[106:107], s[18:19], v68, 18, v[8:9]
	v_lshl_add_u64 v[106:107], v[106:107], 0, v[2:3]
	global_load_dword v63, v[10:11], off offset:2
	global_load_dword v65, v[12:13], off offset:2
	;; [unrolled: 1-line block ×8, first 2 shown]
	v_mad_i64_i32 v[10:11], s[18:19], v70, 18, v[8:9]
	v_mad_i64_i32 v[12:13], s[18:19], v72, 18, v[8:9]
	;; [unrolled: 1-line block ×8, first 2 shown]
	v_lshl_add_u64 v[10:11], v[10:11], 0, v[2:3]
	v_lshl_add_u64 v[8:9], v[8:9], 0, v[2:3]
	;; [unrolled: 1-line block ×8, first 2 shown]
	global_load_dword v79, v[10:11], off offset:2
	global_load_dword v81, v[12:13], off offset:2
	;; [unrolled: 1-line block ×8, first 2 shown]
	v_mad_u64_u32 v[8:9], s[2:3], v40, 18, s[2:3]
	v_mad_i64_i32 v[10:11], s[2:3], v86, 18, v[8:9]
	v_mad_i64_i32 v[12:13], s[2:3], v88, 18, v[8:9]
	global_load_ushort v14, v[10:11], off
	global_load_ushort v15, v[12:13], off
	v_mad_i64_i32 v[10:11], s[2:3], v90, 18, v[8:9]
	v_mad_i64_i32 v[8:9], s[2:3], v92, 18, v[8:9]
	global_load_ushort v10, v[10:11], off
	s_lshl_b32 s6, s20, 5
	global_load_ushort v8, v[8:9], off
	s_cmp_lt_i32 s6, s5
	s_waitcnt vmcnt(19)
	ds_write_b32 v16, v63
	s_waitcnt vmcnt(18)
	ds_write_b32 v18, v65
	;; [unrolled: 2-line block ×16, first 2 shown]
	s_waitcnt vmcnt(3)
	v_cvt_f32_f16_e32 v9, v14
	s_waitcnt vmcnt(2)
	v_cvt_f32_f16_e32 v11, v15
	ds_write_b32 v19, v9
	ds_write_b32 v21, v11
	s_waitcnt vmcnt(1)
	v_cvt_f32_f16_e32 v10, v10
	s_waitcnt vmcnt(0)
	v_cvt_f32_f16_e32 v8, v8
	ds_write_b32 v23, v10
	ds_write_b32 v27, v8
	s_cbranch_scc0 .LBB198_4
; %bb.6:                                ;   in Loop: Header=BB198_5 Depth=1
	v_add_u32_e32 v8, s20, v17
	v_cmp_gt_i32_e64 s[2:3], s8, v8
	s_and_b64 s[18:19], s[0:1], s[2:3]
	s_and_saveexec_b64 s[2:3], s[18:19]
	s_cbranch_execz .LBB198_8
; %bb.7:                                ;   in Loop: Header=BB198_5 Depth=1
	v_add_u32_e32 v8, v52, v8
	v_mad_i64_i32 v[8:9], s[18:19], v8, 36, v[50:51]
	global_load_dword v8, v[8:9], off offset:4
	s_waitcnt vmcnt(0)
	ds_write_b32 v33, v8
.LBB198_8:                              ;   in Loop: Header=BB198_5 Depth=1
	s_or_b64 exec, exec, s[2:3]
	v_add_u32_e32 v98, s20, v41
	v_cmp_gt_i32_e64 s[2:3], s8, v98
	s_and_b64 s[18:19], s[12:13], s[2:3]
	s_and_saveexec_b64 s[2:3], s[18:19]
	s_cbranch_execz .LBB198_10
; %bb.9:                                ;   in Loop: Header=BB198_5 Depth=1
	v_add_u32_e32 v8, v52, v98
	v_mad_i64_i32 v[8:9], s[18:19], v8, 36, s[14:15]
	global_load_dword v8, v[8:9], off
	s_waitcnt vmcnt(0)
	ds_write_b32 v31, v8
.LBB198_10:                             ;   in Loop: Header=BB198_5 Depth=1
	s_or_b64 exec, exec, s[2:3]
	s_mov_b32 s2, -4
	v_mov_b32_e32 v63, v25
	v_mov_b32_e32 v65, v29
	;; [unrolled: 1-line block ×7, first 2 shown]
	s_waitcnt lgkmcnt(0)
	s_barrier
.LBB198_11:                             ;   Parent Loop BB198_5 Depth=1
                                        ; =>  This Inner Loop Header: Depth=2
	ds_read_b128 v[8:11], v63
	ds_read_b128 v[12:15], v63 offset:16
	ds_read_b32 v77, v65
	ds_read_b32 v100, v67
	ds_read2_b32 v[102:103], v75 offset1:1
	v_mov_b32_e32 v83, 0
	v_mov_b32_e32 v85, 0
	v_mov_b32_e32 v87, 0
	v_mov_b32_e32 v89, 0
	s_waitcnt lgkmcnt(0)
	v_and_b32_e32 v79, 0xf0f0f0f, v102
	v_lshrrev_b32_e32 v81, 4, v102
	v_and_b32_e32 v81, 0xf0f0f0f, v81
	v_dot4c_i32_i8_e32 v83, v79, v8
	v_dot4c_i32_i8_e32 v83, v81, v12
	v_and_b32_e32 v79, 0xf0f0f0f, v103
	v_lshrrev_b32_e32 v81, 4, v103
	ds_read2_b32 v[102:103], v75 offset0:2 offset1:3
	v_and_b32_e32 v81, 0xf0f0f0f, v81
	v_dot4c_i32_i8_e32 v83, v79, v9
	v_dot4c_i32_i8_e32 v83, v81, v13
	s_add_i32 s2, s2, 4
	s_waitcnt lgkmcnt(0)
	v_and_b32_e32 v79, 0xf0f0f0f, v102
	v_lshrrev_b32_e32 v81, 4, v102
	v_and_b32_e32 v81, 0xf0f0f0f, v81
	v_dot4c_i32_i8_e32 v83, v79, v10
	v_dot4c_i32_i8_e32 v83, v81, v14
	v_and_b32_e32 v79, 0xf0f0f0f, v103
	v_lshrrev_b32_e32 v81, 4, v103
	v_dot4c_i32_i8_e32 v83, v79, v11
	v_add_u32_e32 v79, 0x1080, v75
	ds_read_b32 v101, v69
	ds_read2_b32 v[102:103], v79 offset1:1
	v_and_b32_e32 v81, 0xf0f0f0f, v81
	v_dot4c_i32_i8_e32 v83, v81, v15
	v_add_u32_e32 v69, 4, v69
	v_add_u32_e32 v67, 4, v67
	s_waitcnt lgkmcnt(0)
	v_and_b32_e32 v79, 0xf0f0f0f, v102
	v_lshrrev_b32_e32 v81, 4, v102
	v_and_b32_e32 v81, 0xf0f0f0f, v81
	v_dot4c_i32_i8_e32 v85, v79, v8
	v_dot4c_i32_i8_e32 v85, v81, v12
	v_and_b32_e32 v79, 0xf0f0f0f, v103
	v_dot4c_i32_i8_e32 v85, v79, v9
	v_add_u32_e32 v79, 0x1088, v75
	v_lshrrev_b32_e32 v81, 4, v103
	ds_read2_b32 v[102:103], v79 offset1:1
	v_and_b32_e32 v81, 0xf0f0f0f, v81
	v_dot4c_i32_i8_e32 v85, v81, v13
	v_add_u32_e32 v65, 4, v65
	v_add_u32_e32 v63, 32, v63
	s_waitcnt lgkmcnt(0)
	v_and_b32_e32 v79, 0xf0f0f0f, v102
	v_lshrrev_b32_e32 v81, 4, v102
	v_and_b32_e32 v81, 0xf0f0f0f, v81
	v_dot4c_i32_i8_e32 v85, v79, v10
	v_dot4c_i32_i8_e32 v85, v81, v14
	v_and_b32_e32 v79, 0xf0f0f0f, v103
	v_dot4c_i32_i8_e32 v85, v79, v11
	v_add_u32_e32 v79, 0x2100, v75
	ds_read_b32 v102, v71
	ds_read2_b32 v[104:105], v79 offset1:1
	v_lshrrev_b32_e32 v81, 4, v103
	v_and_b32_e32 v81, 0xf0f0f0f, v81
	v_dot4c_i32_i8_e32 v85, v81, v15
	v_add_u32_e32 v71, 4, v71
	s_waitcnt lgkmcnt(0)
	v_and_b32_e32 v79, 0xf0f0f0f, v104
	v_lshrrev_b32_e32 v81, 4, v104
	v_and_b32_e32 v81, 0xf0f0f0f, v81
	v_dot4c_i32_i8_e32 v87, v79, v8
	v_dot4c_i32_i8_e32 v87, v81, v12
	v_and_b32_e32 v79, 0xf0f0f0f, v105
	v_dot4c_i32_i8_e32 v87, v79, v9
	v_add_u32_e32 v79, 0x2108, v75
	v_lshrrev_b32_e32 v81, 4, v105
	ds_read2_b32 v[104:105], v79 offset1:1
	v_and_b32_e32 v81, 0xf0f0f0f, v81
	v_dot4c_i32_i8_e32 v87, v81, v13
	s_cmp_lt_u32 s2, 12
	s_waitcnt lgkmcnt(0)
	v_and_b32_e32 v79, 0xf0f0f0f, v104
	v_lshrrev_b32_e32 v81, 4, v104
	v_and_b32_e32 v81, 0xf0f0f0f, v81
	v_dot4c_i32_i8_e32 v87, v79, v10
	v_dot4c_i32_i8_e32 v87, v81, v14
	v_and_b32_e32 v79, 0xf0f0f0f, v105
	v_lshrrev_b32_e32 v81, 4, v105
	v_and_b32_e32 v81, 0xf0f0f0f, v81
	v_dot4c_i32_i8_e32 v87, v79, v11
	v_dot4c_i32_i8_e32 v87, v81, v15
	v_add_u32_e32 v81, 0x3180, v75
	ds_read_b32 v103, v73
	ds_read2_b32 v[104:105], v81 offset1:1
	v_cvt_f32_i32_e32 v79, v87
	v_add_u32_e32 v73, 4, v73
	s_waitcnt lgkmcnt(0)
	v_and_b32_e32 v81, 0xf0f0f0f, v104
	v_lshrrev_b32_e32 v87, 4, v104
	v_and_b32_e32 v87, 0xf0f0f0f, v87
	v_dot4c_i32_i8_e32 v89, v81, v8
	v_dot4c_i32_i8_e32 v89, v87, v12
	v_and_b32_e32 v8, 0xf0f0f0f, v105
	v_dot4c_i32_i8_e32 v89, v8, v9
	v_add_u32_e32 v8, 0x3188, v75
	ds_read2_b32 v[8:9], v8 offset1:1
	v_lshrrev_b32_e32 v12, 4, v105
	v_and_b32_e32 v12, 0xf0f0f0f, v12
	v_dot4c_i32_i8_e32 v89, v12, v13
	v_cvt_f32_i32_e32 v13, v85
	s_waitcnt lgkmcnt(0)
	v_and_b32_e32 v12, 0xf0f0f0f, v8
	v_lshrrev_b32_e32 v8, 4, v8
	v_and_b32_e32 v8, 0xf0f0f0f, v8
	v_dot4c_i32_i8_e32 v89, v12, v10
	v_dot4c_i32_i8_e32 v89, v8, v14
	v_and_b32_e32 v8, 0xf0f0f0f, v9
	v_lshrrev_b32_e32 v9, 4, v9
	v_and_b32_e32 v9, 0xf0f0f0f, v9
	v_dot4c_i32_i8_e32 v89, v8, v11
	v_dot4c_i32_i8_e32 v89, v9, v15
	v_cvt_f32_f16_sdwa v9, v77 dst_sel:DWORD dst_unused:UNUSED_PAD src0_sel:WORD_1
	v_cvt_f32_f16_e32 v8, v77
	v_cvt_f32_i32_e32 v12, v83
	v_cvt_f32_i32_e32 v96, v89
	v_add_u32_e32 v75, 16, v75
	v_pk_mul_f32 v[10:11], v[96:97], v[8:9]
	v_pk_mul_f32 v[8:9], v[8:9], v[12:13] op_sel_hi:[0,1]
	v_sub_f32_e32 v9, v9, v11
	v_sub_f32_e32 v8, v8, v11
	v_fma_mix_f32 v12, v77, v79, -v11 op_sel_hi:[1,0,0]
	v_sub_f32_e32 v13, v10, v11
	v_pk_fma_f32 v[6:7], v[102:103], v[12:13], v[6:7]
	v_pk_fma_f32 v[4:5], v[100:101], v[8:9], v[4:5]
	s_cbranch_scc1 .LBB198_11
; %bb.12:                               ;   in Loop: Header=BB198_5 Depth=1
	s_bitset1_b32 s6, 7
	s_cmp_ge_i32 s6, s5
	s_barrier
	s_cbranch_scc1 .LBB198_4
; %bb.13:                               ;   in Loop: Header=BB198_5 Depth=1
	v_add_u32_e32 v8, s20, v35
	v_cmp_gt_i32_e64 s[2:3], s8, v8
	s_and_b64 s[18:19], s[0:1], s[2:3]
	s_and_saveexec_b64 s[2:3], s[18:19]
	s_cbranch_execz .LBB198_15
; %bb.14:                               ;   in Loop: Header=BB198_5 Depth=1
	v_add_u32_e32 v8, v52, v8
	v_mad_i64_i32 v[8:9], s[18:19], v8, 36, v[50:51]
	global_load_dword v8, v[8:9], off offset:4
	s_waitcnt vmcnt(0)
	ds_write_b32 v33, v8
.LBB198_15:                             ;   in Loop: Header=BB198_5 Depth=1
	s_or_b64 exec, exec, s[2:3]
	s_and_saveexec_b64 s[18:19], vcc
	s_cbranch_execz .LBB198_18
; %bb.16:                               ;   in Loop: Header=BB198_5 Depth=1
	v_or_b32_e32 v8, 4, v98
	v_cmp_gt_i32_e64 s[2:3], s8, v8
	s_and_b64 s[2:3], s[0:1], s[2:3]
	s_and_b64 exec, exec, s[2:3]
	s_cbranch_execz .LBB198_18
; %bb.17:                               ;   in Loop: Header=BB198_5 Depth=1
	v_ashrrev_i32_e32 v99, 31, v98
	v_lshl_add_u64 v[8:9], v[52:53], 0, v[98:99]
	v_mad_u64_u32 v[10:11], s[2:3], v8, 36, s[14:15]
	v_mad_i32_i24 v11, v9, 36, v11
	global_load_dword v8, v[10:11], off offset:144
	s_waitcnt vmcnt(0)
	ds_write_b32 v31, v8
.LBB198_18:                             ;   in Loop: Header=BB198_5 Depth=1
	s_or_b64 exec, exec, s[18:19]
	s_mov_b32 s2, 12
	v_mov_b32_e32 v8, v29
	v_mov_b32_e32 v9, v25
	;; [unrolled: 1-line block ×7, first 2 shown]
	s_waitcnt lgkmcnt(0)
	s_barrier
.LBB198_19:                             ;   Parent Loop BB198_5 Depth=1
                                        ; =>  This Inner Loop Header: Depth=2
	ds_read_b128 v[98:101], v9
	ds_read_b128 v[102:105], v9 offset:16
	ds_read_b32 v15, v8
	ds_read_b32 v106, v10
	ds_read2_b32 v[108:109], v14 offset1:1
	v_mov_b32_e32 v67, 0
	v_mov_b32_e32 v69, 0
	;; [unrolled: 1-line block ×4, first 2 shown]
	s_waitcnt lgkmcnt(0)
	v_and_b32_e32 v63, 0xf0f0f0f, v108
	v_lshrrev_b32_e32 v65, 4, v108
	v_and_b32_e32 v65, 0xf0f0f0f, v65
	v_dot4c_i32_i8_e32 v67, v63, v98
	v_dot4c_i32_i8_e32 v67, v65, v102
	v_and_b32_e32 v63, 0xf0f0f0f, v109
	v_lshrrev_b32_e32 v65, 4, v109
	ds_read2_b32 v[108:109], v14 offset0:2 offset1:3
	v_and_b32_e32 v65, 0xf0f0f0f, v65
	v_dot4c_i32_i8_e32 v67, v63, v99
	v_dot4c_i32_i8_e32 v67, v65, v103
	s_add_i32 s2, s2, 4
	s_waitcnt lgkmcnt(0)
	v_and_b32_e32 v63, 0xf0f0f0f, v108
	v_lshrrev_b32_e32 v65, 4, v108
	v_and_b32_e32 v65, 0xf0f0f0f, v65
	v_dot4c_i32_i8_e32 v67, v63, v100
	v_dot4c_i32_i8_e32 v67, v65, v104
	v_and_b32_e32 v63, 0xf0f0f0f, v109
	v_lshrrev_b32_e32 v65, 4, v109
	v_dot4c_i32_i8_e32 v67, v63, v101
	v_add_u32_e32 v63, 0x1080, v14
	ds_read_b32 v107, v11
	ds_read2_b32 v[108:109], v63 offset1:1
	v_and_b32_e32 v65, 0xf0f0f0f, v65
	v_dot4c_i32_i8_e32 v67, v65, v105
	v_add_u32_e32 v11, 4, v11
	v_add_u32_e32 v10, 4, v10
	s_waitcnt lgkmcnt(0)
	v_and_b32_e32 v63, 0xf0f0f0f, v108
	v_lshrrev_b32_e32 v65, 4, v108
	v_and_b32_e32 v65, 0xf0f0f0f, v65
	v_dot4c_i32_i8_e32 v69, v63, v98
	v_dot4c_i32_i8_e32 v69, v65, v102
	v_and_b32_e32 v63, 0xf0f0f0f, v109
	v_dot4c_i32_i8_e32 v69, v63, v99
	v_add_u32_e32 v63, 0x1088, v14
	v_lshrrev_b32_e32 v65, 4, v109
	ds_read2_b32 v[108:109], v63 offset1:1
	v_and_b32_e32 v65, 0xf0f0f0f, v65
	v_dot4c_i32_i8_e32 v69, v65, v103
	v_add_u32_e32 v9, 32, v9
	v_add_u32_e32 v8, 4, v8
	s_waitcnt lgkmcnt(0)
	v_and_b32_e32 v63, 0xf0f0f0f, v108
	v_lshrrev_b32_e32 v65, 4, v108
	v_and_b32_e32 v65, 0xf0f0f0f, v65
	v_dot4c_i32_i8_e32 v69, v63, v100
	v_dot4c_i32_i8_e32 v69, v65, v104
	v_and_b32_e32 v63, 0xf0f0f0f, v109
	v_dot4c_i32_i8_e32 v69, v63, v101
	v_add_u32_e32 v63, 0x2100, v14
	ds_read_b32 v108, v12
	ds_read2_b32 v[110:111], v63 offset1:1
	v_lshrrev_b32_e32 v65, 4, v109
	v_and_b32_e32 v65, 0xf0f0f0f, v65
	v_dot4c_i32_i8_e32 v69, v65, v105
	v_add_u32_e32 v12, 4, v12
	s_waitcnt lgkmcnt(0)
	v_and_b32_e32 v63, 0xf0f0f0f, v110
	v_lshrrev_b32_e32 v65, 4, v110
	v_and_b32_e32 v65, 0xf0f0f0f, v65
	v_dot4c_i32_i8_e32 v71, v63, v98
	v_dot4c_i32_i8_e32 v71, v65, v102
	v_and_b32_e32 v63, 0xf0f0f0f, v111
	v_dot4c_i32_i8_e32 v71, v63, v99
	v_add_u32_e32 v63, 0x2108, v14
	v_lshrrev_b32_e32 v65, 4, v111
	ds_read2_b32 v[110:111], v63 offset1:1
	v_and_b32_e32 v65, 0xf0f0f0f, v65
	v_dot4c_i32_i8_e32 v71, v65, v103
	s_cmp_lt_u32 s2, 28
	s_waitcnt lgkmcnt(0)
	v_and_b32_e32 v63, 0xf0f0f0f, v110
	v_lshrrev_b32_e32 v65, 4, v110
	v_and_b32_e32 v65, 0xf0f0f0f, v65
	v_dot4c_i32_i8_e32 v71, v63, v100
	v_dot4c_i32_i8_e32 v71, v65, v104
	v_and_b32_e32 v63, 0xf0f0f0f, v111
	v_lshrrev_b32_e32 v65, 4, v111
	v_and_b32_e32 v65, 0xf0f0f0f, v65
	v_dot4c_i32_i8_e32 v71, v63, v101
	v_dot4c_i32_i8_e32 v71, v65, v105
	v_add_u32_e32 v65, 0x3180, v14
	ds_read_b32 v109, v13
	ds_read2_b32 v[110:111], v65 offset1:1
	v_cvt_f32_i32_e32 v63, v71
	v_add_u32_e32 v13, 4, v13
	s_waitcnt lgkmcnt(0)
	v_and_b32_e32 v65, 0xf0f0f0f, v110
	v_lshrrev_b32_e32 v71, 4, v110
	v_and_b32_e32 v71, 0xf0f0f0f, v71
	v_dot4c_i32_i8_e32 v73, v65, v98
	v_dot4c_i32_i8_e32 v73, v71, v102
	v_and_b32_e32 v65, 0xf0f0f0f, v111
	v_dot4c_i32_i8_e32 v73, v65, v99
	v_add_u32_e32 v65, 0x3188, v14
	ds_read2_b32 v[98:99], v65 offset1:1
	v_lshrrev_b32_e32 v71, 4, v111
	v_and_b32_e32 v71, 0xf0f0f0f, v71
	v_dot4c_i32_i8_e32 v73, v71, v103
	v_cvt_f32_i32_e32 v102, v67
	s_waitcnt lgkmcnt(0)
	v_and_b32_e32 v65, 0xf0f0f0f, v98
	v_lshrrev_b32_e32 v71, 4, v98
	v_and_b32_e32 v71, 0xf0f0f0f, v71
	v_dot4c_i32_i8_e32 v73, v65, v100
	v_dot4c_i32_i8_e32 v73, v71, v104
	v_and_b32_e32 v65, 0xf0f0f0f, v99
	v_lshrrev_b32_e32 v71, 4, v99
	v_and_b32_e32 v71, 0xf0f0f0f, v71
	v_dot4c_i32_i8_e32 v73, v65, v101
	v_dot4c_i32_i8_e32 v73, v71, v105
	v_cvt_f32_f16_sdwa v99, v15 dst_sel:DWORD dst_unused:UNUSED_PAD src0_sel:WORD_1
	v_cvt_f32_f16_e32 v98, v15
	v_cvt_f32_i32_e32 v103, v69
	v_cvt_f32_i32_e32 v96, v73
	v_add_u32_e32 v14, 16, v14
	v_pk_mul_f32 v[100:101], v[96:97], v[98:99]
	v_pk_mul_f32 v[98:99], v[98:99], v[102:103] op_sel_hi:[0,1]
	v_sub_f32_e32 v99, v99, v101
	v_sub_f32_e32 v98, v98, v101
	v_fma_mix_f32 v102, v15, v63, -v101 op_sel_hi:[1,0,0]
	v_sub_f32_e32 v103, v100, v101
	v_pk_fma_f32 v[6:7], v[108:109], v[102:103], v[6:7]
	v_pk_fma_f32 v[4:5], v[106:107], v[98:99], v[4:5]
	s_cbranch_scc1 .LBB198_19
; %bb.20:                               ;   in Loop: Header=BB198_5 Depth=1
	s_barrier
	s_branch .LBB198_4
.LBB198_21:
	v_mov_b32_e32 v4, v3
	v_mov_b32_e32 v5, v3
	;; [unrolled: 1-line block ×3, first 2 shown]
	v_mov_b64_e32 v[6:7], v[4:5]
	v_mov_b64_e32 v[4:5], v[2:3]
.LBB198_22:
	s_mul_i32 s0, s10, s7
	s_waitcnt vmcnt(0)
	v_cmp_gt_i32_e32 vcc, s0, v1
	s_and_saveexec_b64 s[0:1], vcc
	s_cbranch_execz .LBB198_31
; %bb.23:
	v_and_b32_e32 v0, 0x3ff, v0
	v_add_u32_e32 v2, s11, v0
	v_mul_lo_u32 v0, v1, s9
	v_cmp_gt_u32_e32 vcc, s9, v2
	s_and_saveexec_b64 s[0:1], vcc
	s_cbranch_execz .LBB198_25
; %bb.24:
	v_cvt_f16_f32_e32 v1, v4
	v_add_u32_e32 v8, v0, v2
	v_mov_b32_e32 v9, 0
	v_lshl_add_u64 v[8:9], v[8:9], 1, s[16:17]
	global_store_short v[8:9], v1, off
.LBB198_25:
	s_or_b64 exec, exec, s[0:1]
	v_add_u32_e32 v1, 32, v2
	v_cmp_gt_u32_e32 vcc, s9, v1
	s_and_saveexec_b64 s[0:1], vcc
	s_cbranch_execz .LBB198_27
; %bb.26:
	v_cvt_f16_f32_e32 v3, v5
	v_add_u32_e32 v4, v0, v1
	v_mov_b32_e32 v5, 0
	v_lshl_add_u64 v[4:5], v[4:5], 1, s[16:17]
	global_store_short v[4:5], v3, off
.LBB198_27:
	s_or_b64 exec, exec, s[0:1]
	v_add_u32_e32 v1, 64, v2
	;; [unrolled: 12-line block ×3, first 2 shown]
	v_cmp_gt_u32_e32 vcc, s9, v1
	s_and_b64 exec, exec, vcc
	s_cbranch_execz .LBB198_31
; %bb.30:
	v_cvt_f16_f32_e32 v2, v7
	v_add_u32_e32 v0, v0, v1
	v_mov_b32_e32 v1, 0
	v_lshl_add_u64 v[0:1], v[0:1], 1, s[16:17]
	global_store_short v[0:1], v2, off
.LBB198_31:
	s_endpgm
	.section	.rodata,"a",@progbits
	.p2align	6, 0x0
	.amdhsa_kernel _ZL8moe_q4_0IN3c104HalfELb1EEvPKvS3_PT_PKiS7_S7_iiiiiii
		.amdhsa_group_segment_fixed_size 22272
		.amdhsa_private_segment_fixed_size 0
		.amdhsa_kernarg_size 76
		.amdhsa_user_sgpr_count 2
		.amdhsa_user_sgpr_dispatch_ptr 0
		.amdhsa_user_sgpr_queue_ptr 0
		.amdhsa_user_sgpr_kernarg_segment_ptr 1
		.amdhsa_user_sgpr_dispatch_id 0
		.amdhsa_user_sgpr_kernarg_preload_length 0
		.amdhsa_user_sgpr_kernarg_preload_offset 0
		.amdhsa_user_sgpr_private_segment_size 0
		.amdhsa_uses_dynamic_stack 0
		.amdhsa_enable_private_segment 0
		.amdhsa_system_sgpr_workgroup_id_x 1
		.amdhsa_system_sgpr_workgroup_id_y 1
		.amdhsa_system_sgpr_workgroup_id_z 0
		.amdhsa_system_sgpr_workgroup_info 0
		.amdhsa_system_vgpr_workitem_id 1
		.amdhsa_next_free_vgpr 112
		.amdhsa_next_free_sgpr 75
		.amdhsa_accum_offset 112
		.amdhsa_reserve_vcc 1
		.amdhsa_float_round_mode_32 0
		.amdhsa_float_round_mode_16_64 0
		.amdhsa_float_denorm_mode_32 3
		.amdhsa_float_denorm_mode_16_64 3
		.amdhsa_dx10_clamp 1
		.amdhsa_ieee_mode 1
		.amdhsa_fp16_overflow 0
		.amdhsa_tg_split 0
		.amdhsa_exception_fp_ieee_invalid_op 0
		.amdhsa_exception_fp_denorm_src 0
		.amdhsa_exception_fp_ieee_div_zero 0
		.amdhsa_exception_fp_ieee_overflow 0
		.amdhsa_exception_fp_ieee_underflow 0
		.amdhsa_exception_fp_ieee_inexact 0
		.amdhsa_exception_int_div_zero 0
	.end_amdhsa_kernel
	.section	.text._ZL8moe_q4_0IN3c104HalfELb1EEvPKvS3_PT_PKiS7_S7_iiiiiii,"axG",@progbits,_ZL8moe_q4_0IN3c104HalfELb1EEvPKvS3_PT_PKiS7_S7_iiiiiii,comdat
.Lfunc_end198:
	.size	_ZL8moe_q4_0IN3c104HalfELb1EEvPKvS3_PT_PKiS7_S7_iiiiiii, .Lfunc_end198-_ZL8moe_q4_0IN3c104HalfELb1EEvPKvS3_PT_PKiS7_S7_iiiiiii
                                        ; -- End function
	.set _ZL8moe_q4_0IN3c104HalfELb1EEvPKvS3_PT_PKiS7_S7_iiiiiii.num_vgpr, 112
	.set _ZL8moe_q4_0IN3c104HalfELb1EEvPKvS3_PT_PKiS7_S7_iiiiiii.num_agpr, 0
	.set _ZL8moe_q4_0IN3c104HalfELb1EEvPKvS3_PT_PKiS7_S7_iiiiiii.numbered_sgpr, 23
	.set _ZL8moe_q4_0IN3c104HalfELb1EEvPKvS3_PT_PKiS7_S7_iiiiiii.num_named_barrier, 0
	.set _ZL8moe_q4_0IN3c104HalfELb1EEvPKvS3_PT_PKiS7_S7_iiiiiii.private_seg_size, 0
	.set _ZL8moe_q4_0IN3c104HalfELb1EEvPKvS3_PT_PKiS7_S7_iiiiiii.uses_vcc, 1
	.set _ZL8moe_q4_0IN3c104HalfELb1EEvPKvS3_PT_PKiS7_S7_iiiiiii.uses_flat_scratch, 0
	.set _ZL8moe_q4_0IN3c104HalfELb1EEvPKvS3_PT_PKiS7_S7_iiiiiii.has_dyn_sized_stack, 0
	.set _ZL8moe_q4_0IN3c104HalfELb1EEvPKvS3_PT_PKiS7_S7_iiiiiii.has_recursion, 0
	.set _ZL8moe_q4_0IN3c104HalfELb1EEvPKvS3_PT_PKiS7_S7_iiiiiii.has_indirect_call, 0
	.section	.AMDGPU.csdata,"",@progbits
; Kernel info:
; codeLenInByte = 4252
; TotalNumSgprs: 29
; NumVgprs: 112
; NumAgprs: 0
; TotalNumVgprs: 112
; ScratchSize: 0
; MemoryBound: 0
; FloatMode: 240
; IeeeMode: 1
; LDSByteSize: 22272 bytes/workgroup (compile time only)
; SGPRBlocks: 10
; VGPRBlocks: 13
; NumSGPRsForWavesPerEU: 81
; NumVGPRsForWavesPerEU: 112
; AccumOffset: 112
; Occupancy: 4
; WaveLimiterHint : 1
; COMPUTE_PGM_RSRC2:SCRATCH_EN: 0
; COMPUTE_PGM_RSRC2:USER_SGPR: 2
; COMPUTE_PGM_RSRC2:TRAP_HANDLER: 0
; COMPUTE_PGM_RSRC2:TGID_X_EN: 1
; COMPUTE_PGM_RSRC2:TGID_Y_EN: 1
; COMPUTE_PGM_RSRC2:TGID_Z_EN: 0
; COMPUTE_PGM_RSRC2:TIDIG_COMP_CNT: 1
; COMPUTE_PGM_RSRC3_GFX90A:ACCUM_OFFSET: 27
; COMPUTE_PGM_RSRC3_GFX90A:TG_SPLIT: 0
	.section	.text._ZL8moe_q4_1IN3c104HalfELb0EEvPKvS3_PT_PKiS7_S7_iiiiiii,"axG",@progbits,_ZL8moe_q4_1IN3c104HalfELb0EEvPKvS3_PT_PKiS7_S7_iiiiiii,comdat
	.globl	_ZL8moe_q4_1IN3c104HalfELb0EEvPKvS3_PT_PKiS7_S7_iiiiiii ; -- Begin function _ZL8moe_q4_1IN3c104HalfELb0EEvPKvS3_PT_PKiS7_S7_iiiiiii
	.p2align	8
	.type	_ZL8moe_q4_1IN3c104HalfELb0EEvPKvS3_PT_PKiS7_S7_iiiiiii,@function
_ZL8moe_q4_1IN3c104HalfELb0EEvPKvS3_PT_PKiS7_S7_iiiiiii: ; @_ZL8moe_q4_1IN3c104HalfELb0EEvPKvS3_PT_PKiS7_S7_iiiiiii
; %bb.0:
	s_load_dwordx4 s[4:7], s[0:1], 0x18
	s_mov_b32 s8, s3
	s_mov_b32 s9, 0
	s_lshl_b64 s[10:11], s[8:9], 2
	s_waitcnt lgkmcnt(0)
	s_add_u32 s6, s6, s10
	s_addc_u32 s7, s7, s11
	s_load_dword s3, s[6:7], 0x0
	s_waitcnt lgkmcnt(0)
	s_cmpk_gt_u32 s3, 0xff
	s_cbranch_scc1 .LBB199_31
; %bb.1:
	s_load_dwordx2 s[6:7], s[0:1], 0x28
	s_waitcnt lgkmcnt(0)
	s_load_dword s7, s[6:7], 0x0
	s_lshl_b32 s6, s8, 3
	s_waitcnt lgkmcnt(0)
	s_cmp_gt_u32 s6, s7
	s_cbranch_scc1 .LBB199_31
; %bb.2:
	v_bfe_u32 v4, v0, 10, 10
	v_mov_b32_e32 v6, s4
	v_mov_b32_e32 v7, s5
	v_add_u32_e32 v2, s6, v4
	v_mov_b32_e32 v3, 0
	v_lshl_add_u64 v[6:7], v[2:3], 2, v[6:7]
	global_load_dword v1, v[6:7], off
	s_load_dwordx2 s[14:15], s[0:1], 0x30
	s_load_dwordx2 s[12:13], s[0:1], 0x10
	s_load_dwordx4 s[4:7], s[0:1], 0x3c
	s_lshl_b32 s18, s2, 7
	s_mov_b32 s19, 0
	s_waitcnt lgkmcnt(0)
	s_cmp_lt_i32 s15, 32
	s_cbranch_scc1 .LBB199_21
; %bb.3:
	s_load_dwordx4 s[8:11], s[0:1], 0x0
	s_ashr_i32 s0, s15, 31
	s_ashr_i32 s1, s5, 31
	s_lshr_b32 s0, s0, 27
	s_lshr_b32 s1, s1, 27
	s_add_i32 s0, s15, s0
	s_add_i32 s1, s5, s1
	s_mul_i32 s3, s3, s14
	s_ashr_i32 s20, s0, 5
	s_ashr_i32 s5, s1, 5
	;; [unrolled: 1-line block ×3, first 2 shown]
	s_waitcnt lgkmcnt(0)
	s_add_u32 s2, s8, s3
	s_mul_i32 s3, s20, s18
	s_addc_u32 s1, s9, s1
	s_mul_hi_i32 s8, s3, 20
	s_mul_i32 s3, s3, 20
	v_bfe_u32 v47, v0, 3, 7
	s_add_u32 s14, s2, s3
	v_and_b32_e32 v28, 7, v0
	v_lshl_add_u32 v6, v4, 2, v47
	v_mov_b32_e32 v33, 0x5280
	s_addc_u32 s21, s1, s8
	v_and_b32_e32 v7, 0x1ffc, v6
	v_lshlrev_b32_e32 v8, 2, v28
	s_movk_i32 s1, 0x4200
	v_and_b32_e32 v32, 31, v0
	v_lshl_add_u32 v49, v4, 7, v33
	v_and_b32_e32 v17, 0x3ff, v0
	v_add3_u32 v9, v7, v8, s1
	v_add_u32_e32 v7, 32, v6
	v_lshl_or_b32 v51, v32, 2, v49
	v_mov_b32_e32 v32, 0x5680
	v_lshlrev_b32_e32 v5, 2, v17
	s_movk_i32 s2, 0x84
	v_mul_lo_u32 v30, s20, v6
	v_lshlrev_b32_e32 v10, 5, v6
	v_and_b32_e32 v11, 0x3ffc, v7
	v_lshlrev_b32_e32 v12, 5, v7
	v_add_u32_e32 v7, 64, v6
	v_add_u32_e32 v6, 0x60, v6
	v_lshl_add_u32 v53, v4, 4, v32
	s_abs_i32 s8, s7
	v_and_b32_e32 v2, 12, v5
	v_mad_u32_u24 v19, v4, s2, v5
	v_and_b32_e32 v13, 0x3ffc, v7
	v_lshlrev_b32_e32 v14, 5, v7
	v_and_b32_e32 v7, 0x3ffc, v6
	v_lshlrev_b32_e32 v15, 5, v6
	v_and_b32_e32 v6, 28, v5
	v_add_u32_e32 v55, v53, v5
	v_cvt_f32_u32_e32 v5, s8
	s_and_b32 s16, s0, 0xffffffe0
	s_sub_i32 s0, 0, s8
	s_waitcnt vmcnt(0)
	v_sub_u32_e32 v33, 0, v1
	v_rcp_iflag_f32_e32 v5, v5
	v_max_i32_e32 v33, v1, v33
	v_add3_u32 v11, v11, v8, s1
	v_add3_u32 v13, v13, v8, s1
	v_mul_f32_e32 v5, 0x4f7ffffe, v5
	v_cvt_u32_f32_e32 v5, v5
	v_add3_u32 v8, v7, v8, s1
	v_mul_lo_u32 v16, s20, v4
	s_lshl_b32 s3, s20, 3
	v_mul_lo_u32 v34, s0, v5
	v_mul_hi_u32 v34, v5, v34
	v_add_u32_e32 v5, v5, v34
	v_mul_hi_u32 v5, v33, v5
	v_mul_lo_u32 v34, v5, s8
	v_sub_u32_e32 v33, v33, v34
	v_add_u32_e32 v34, 1, v5
	v_cmp_le_u32_e64 s[0:1], s8, v33
	v_add_u32_e32 v18, s3, v16
	v_xor_b32_e32 v32, s7, v1
	v_cndmask_b32_e64 v5, v5, v34, s[0:1]
	v_subrev_u32_e32 v34, s8, v33
	v_cndmask_b32_e64 v33, v33, v34, s[0:1]
	v_add_u32_e32 v34, 1, v5
	v_cmp_le_u32_e64 s[0:1], s8, v33
	v_add_u32_e32 v20, s3, v18
	v_ashrrev_i32_e32 v32, 31, v32
	v_cndmask_b32_e64 v5, v5, v34, s[0:1]
	v_add_u32_e32 v22, s3, v20
	v_xor_b32_e32 v5, v5, v32
	v_add_u32_e32 v24, s3, v22
	v_mov_b32_e32 v7, v3
	v_add_u32_e32 v4, 32, v17
	v_add_u32_e32 v36, 64, v17
	v_add_u32_e32 v38, 0x60, v17
	v_sub_u32_e32 v5, v5, v32
	v_add_u32_e32 v26, s3, v24
	v_lshrrev_b32_e32 v59, 3, v4
	v_cmp_gt_i32_e64 s[0:1], s4, v5
	v_mul_lo_u32 v32, v5, s5
	v_lshl_add_u64 v[34:35], s[10:11], 0, v[6:7]
	v_lshlrev_b32_e32 v5, 5, v17
	v_and_b32_e32 v6, 0x1fc, v38
	v_and_b32_e32 v7, 0x1fc, v36
	;; [unrolled: 1-line block ×4, first 2 shown]
	v_add_u32_e32 v6, v5, v6
	v_add_u32_e32 v7, v5, v7
	;; [unrolled: 1-line block ×13, first 2 shown]
	v_cmp_gt_u32_e32 vcc, 4, v17
	v_add_u32_e32 v52, s3, v50
	v_add_u32_e32 v58, s16, v56
	;; [unrolled: 1-line block ×13, first 2 shown]
	v_mul_u32_u24_e32 v57, 0x84, v17
	s_and_b64 s[8:9], vcc, s[0:1]
	v_ashrrev_i32_e32 v33, 31, v32
	v_add_u32_e32 v61, 0x4e00, v6
	v_add_u32_e32 v64, 0x4a00, v7
	;; [unrolled: 1-line block ×12, first 2 shown]
	v_mov_b32_e32 v4, v3
	v_mov_b32_e32 v5, v3
	;; [unrolled: 1-line block ×4, first 2 shown]
	v_mad_u32_u24 v75, v17, s2, 64
	v_add_u32_e32 v54, s3, v52
	v_add_u32_e32 v60, s16, v58
	s_branch .LBB199_5
.LBB199_4:                              ;   in Loop: Header=BB199_5 Depth=1
	s_add_i32 s19, s19, 8
	s_cmp_ge_i32 s19, s20
	s_cbranch_scc1 .LBB199_22
.LBB199_5:                              ; =>This Loop Header: Depth=1
                                        ;     Child Loop BB199_11 Depth 2
                                        ;     Child Loop BB199_19 Depth 2
	s_mul_i32 s2, s19, 20
	s_mul_hi_u32 s3, s19, 20
	s_add_u32 s2, s14, s2
	s_addc_u32 s3, s21, s3
	v_bfe_u32 v8, v0, 2, 8
	v_mad_u64_u32 v[8:9], s[16:17], v8, 20, s[2:3]
	v_mad_u64_u32 v[10:11], s[16:17], v16, 20, v[8:9]
	;; [unrolled: 1-line block ×8, first 2 shown]
	v_lshl_add_u64 v[10:11], v[10:11], 0, v[2:3]
	v_lshl_add_u64 v[12:13], v[12:13], 0, v[2:3]
	;; [unrolled: 1-line block ×7, first 2 shown]
	v_mad_u64_u32 v[82:83], s[16:17], v38, 20, v[8:9]
	v_lshl_add_u64 v[82:83], v[82:83], 0, v[2:3]
	global_load_dword v84, v[10:11], off offset:4
	global_load_dword v85, v[12:13], off offset:4
	;; [unrolled: 1-line block ×8, first 2 shown]
	v_mad_u64_u32 v[10:11], s[16:17], v40, 20, v[8:9]
	v_mad_u64_u32 v[12:13], s[16:17], v42, 20, v[8:9]
	;; [unrolled: 1-line block ×8, first 2 shown]
	v_lshl_add_u64 v[10:11], v[10:11], 0, v[2:3]
	v_lshl_add_u64 v[8:9], v[8:9], 0, v[2:3]
	;; [unrolled: 1-line block ×8, first 2 shown]
	global_load_dword v82, v[10:11], off offset:4
	global_load_dword v83, v[12:13], off offset:4
	;; [unrolled: 1-line block ×8, first 2 shown]
	v_mad_u64_u32 v[8:9], s[2:3], v28, 20, s[2:3]
	v_mad_u64_u32 v[10:11], s[2:3], v30, 20, v[8:9]
	;; [unrolled: 1-line block ×5, first 2 shown]
	global_load_dword v62, v[10:11], off
	global_load_dword v63, v[12:13], off
	;; [unrolled: 1-line block ×3, first 2 shown]
	s_lshl_b32 s16, s19, 5
	global_load_dword v8, v[8:9], off
	v_add_u32_e32 v9, 0x420, v19
	s_cmp_lt_i32 s16, s15
	s_waitcnt vmcnt(19)
	ds_write_b32 v19, v84
	s_waitcnt vmcnt(18)
	ds_write_b32 v9, v85
	v_add_u32_e32 v9, 0x840, v19
	s_waitcnt vmcnt(17)
	ds_write_b32 v9, v86
	v_add_u32_e32 v9, 0xc60, v19
	;; [unrolled: 3-line block ×3, first 2 shown]
	s_waitcnt vmcnt(15)
	ds_write_b32 v9, v88
	s_waitcnt vmcnt(14)
	ds_write_b32 v21, v89
	;; [unrolled: 2-line block ×16, first 2 shown]
	s_cbranch_scc0 .LBB199_4
; %bb.6:                                ;   in Loop: Header=BB199_5 Depth=1
	v_add_u32_e32 v8, s19, v47
	v_cmp_gt_i32_e64 s[2:3], s5, v8
	s_and_b64 s[22:23], s[0:1], s[2:3]
	s_and_saveexec_b64 s[2:3], s[22:23]
	s_cbranch_execz .LBB199_8
; %bb.7:                                ;   in Loop: Header=BB199_5 Depth=1
	v_add_u32_e32 v8, v32, v8
	v_mad_i64_i32 v[8:9], s[22:23], v8, 36, v[34:35]
	global_load_dword v8, v[8:9], off offset:4
	s_waitcnt vmcnt(0)
	ds_write_b32 v51, v8
.LBB199_8:                              ;   in Loop: Header=BB199_5 Depth=1
	s_or_b64 exec, exec, s[2:3]
	v_add_u32_e32 v62, s19, v17
	v_cmp_gt_i32_e64 s[2:3], s5, v62
	s_and_b64 s[22:23], s[8:9], s[2:3]
	s_and_saveexec_b64 s[2:3], s[22:23]
	s_cbranch_execz .LBB199_10
; %bb.9:                                ;   in Loop: Header=BB199_5 Depth=1
	v_add_u32_e32 v8, v32, v62
	v_mad_i64_i32 v[8:9], s[22:23], v8, 36, s[10:11]
	global_load_dword v8, v[8:9], off
	s_waitcnt vmcnt(0)
	ds_write_b32 v55, v8
.LBB199_10:                             ;   in Loop: Header=BB199_5 Depth=1
	s_or_b64 exec, exec, s[2:3]
	s_mov_b32 s2, -4
	v_mov_b32_e32 v63, v49
	v_mov_b32_e32 v76, v53
	;; [unrolled: 1-line block ×7, first 2 shown]
	s_waitcnt lgkmcnt(0)
	s_barrier
.LBB199_11:                             ;   Parent Loop BB199_5 Depth=1
                                        ; =>  This Inner Loop Header: Depth=2
	ds_read_b128 v[8:11], v63
	ds_read_b128 v[12:15], v63 offset:16
	ds_read_b32 v88, v76
	ds_read_b32 v84, v77
	ds_read2_b32 v[82:83], v81 offset1:1
	v_mov_b32_e32 v89, 0
	v_mov_b32_e32 v90, 0
	v_mov_b32_e32 v93, 0
	v_mov_b32_e32 v95, 0
	s_waitcnt lgkmcnt(0)
	v_and_b32_e32 v85, 0xf0f0f0f, v82
	v_lshrrev_b32_e32 v82, 4, v82
	v_and_b32_e32 v82, 0xf0f0f0f, v82
	v_dot4c_i32_i8_e32 v89, v85, v8
	v_dot4c_i32_i8_e32 v89, v82, v12
	v_and_b32_e32 v82, 0xf0f0f0f, v83
	v_lshrrev_b32_e32 v83, 4, v83
	v_and_b32_e32 v83, 0xf0f0f0f, v83
	v_dot4c_i32_i8_e32 v89, v82, v9
	v_dot4c_i32_i8_e32 v89, v83, v13
	ds_read2_b32 v[82:83], v81 offset0:2 offset1:3
	v_pk_mul_f16 v84, v88, v84
	s_add_i32 s2, s2, 4
	v_add_u32_e32 v77, 4, v77
	v_add_u32_e32 v76, 4, v76
	s_waitcnt lgkmcnt(0)
	v_and_b32_e32 v85, 0xf0f0f0f, v82
	v_lshrrev_b32_e32 v82, 4, v82
	v_and_b32_e32 v82, 0xf0f0f0f, v82
	v_dot4c_i32_i8_e32 v89, v85, v10
	v_dot4c_i32_i8_e32 v89, v82, v14
	v_and_b32_e32 v82, 0xf0f0f0f, v83
	v_lshrrev_b32_e32 v83, 4, v83
	v_and_b32_e32 v83, 0xf0f0f0f, v83
	v_dot4c_i32_i8_e32 v89, v82, v11
	v_add_u32_e32 v82, 0x1080, v81
	v_dot4c_i32_i8_e32 v89, v83, v15
	ds_read_b32 v85, v78
	ds_read2_b32 v[82:83], v82 offset1:1
	v_add_u32_e32 v78, 4, v78
	v_add_u32_e32 v63, 32, v63
	s_cmp_lt_u32 s2, 12
	s_waitcnt lgkmcnt(1)
	v_pk_mul_f16 v85, v88, v85
	s_waitcnt lgkmcnt(0)
	v_and_b32_e32 v86, 0xf0f0f0f, v82
	v_lshrrev_b32_e32 v82, 4, v82
	v_and_b32_e32 v82, 0xf0f0f0f, v82
	v_dot4c_i32_i8_e32 v90, v86, v8
	v_dot4c_i32_i8_e32 v90, v82, v12
	v_and_b32_e32 v82, 0xf0f0f0f, v83
	v_lshrrev_b32_e32 v83, 4, v83
	v_and_b32_e32 v83, 0xf0f0f0f, v83
	v_dot4c_i32_i8_e32 v90, v82, v9
	v_add_u32_e32 v82, 0x1088, v81
	v_dot4c_i32_i8_e32 v90, v83, v13
	ds_read2_b32 v[82:83], v82 offset1:1
	s_waitcnt lgkmcnt(0)
	v_and_b32_e32 v86, 0xf0f0f0f, v82
	v_dot4c_i32_i8_e32 v90, v86, v10
	v_add_u32_e32 v86, 0x2100, v81
	ds_read_b32 v91, v79
	ds_read2_b32 v[86:87], v86 offset1:1
	v_lshrrev_b32_e32 v82, 4, v82
	v_and_b32_e32 v82, 0xf0f0f0f, v82
	v_dot4c_i32_i8_e32 v90, v82, v14
	v_and_b32_e32 v82, 0xf0f0f0f, v83
	s_waitcnt lgkmcnt(0)
	v_and_b32_e32 v92, 0xf0f0f0f, v86
	v_lshrrev_b32_e32 v86, 4, v86
	v_and_b32_e32 v86, 0xf0f0f0f, v86
	v_dot4c_i32_i8_e32 v93, v92, v8
	v_dot4c_i32_i8_e32 v93, v86, v12
	v_and_b32_e32 v86, 0xf0f0f0f, v87
	v_lshrrev_b32_e32 v87, 4, v87
	v_and_b32_e32 v87, 0xf0f0f0f, v87
	v_dot4c_i32_i8_e32 v93, v86, v9
	v_add_u32_e32 v86, 0x2108, v81
	v_dot4c_i32_i8_e32 v93, v87, v13
	ds_read2_b32 v[86:87], v86 offset1:1
	v_lshrrev_b32_e32 v83, 4, v83
	v_and_b32_e32 v83, 0xf0f0f0f, v83
	v_dot4c_i32_i8_e32 v90, v82, v11
	v_dot4c_i32_i8_e32 v90, v83, v15
	s_waitcnt lgkmcnt(0)
	v_and_b32_e32 v92, 0xf0f0f0f, v86
	v_lshrrev_b32_e32 v86, 4, v86
	v_and_b32_e32 v86, 0xf0f0f0f, v86
	v_dot4c_i32_i8_e32 v93, v92, v10
	v_dot4c_i32_i8_e32 v93, v86, v14
	v_and_b32_e32 v86, 0xf0f0f0f, v87
	v_lshrrev_b32_e32 v87, 4, v87
	v_and_b32_e32 v87, 0xf0f0f0f, v87
	v_dot4c_i32_i8_e32 v93, v86, v11
	v_add_u32_e32 v86, 0x3180, v81
	v_dot4c_i32_i8_e32 v93, v87, v15
	ds_read_b32 v92, v80
	ds_read2_b32 v[86:87], v86 offset1:1
	v_pk_mul_f16 v91, v88, v91
	v_cvt_f32_f16_e32 v83, v85
	v_cvt_f32_f16_e32 v82, v84
	v_cvt_f32_f16_sdwa v85, v85 dst_sel:DWORD dst_unused:UNUSED_PAD src0_sel:WORD_1
	s_waitcnt lgkmcnt(0)
	v_and_b32_e32 v94, 0xf0f0f0f, v86
	v_lshrrev_b32_e32 v86, 4, v86
	v_and_b32_e32 v86, 0xf0f0f0f, v86
	v_dot4c_i32_i8_e32 v95, v94, v8
	v_dot4c_i32_i8_e32 v95, v86, v12
	v_and_b32_e32 v8, 0xf0f0f0f, v87
	v_dot4c_i32_i8_e32 v95, v8, v9
	v_add_u32_e32 v8, 0x3188, v81
	ds_read2_b32 v[8:9], v8 offset1:1
	v_lshrrev_b32_e32 v12, 4, v87
	v_and_b32_e32 v12, 0xf0f0f0f, v12
	v_dot4c_i32_i8_e32 v95, v12, v13
	v_cvt_f32_f16_sdwa v84, v84 dst_sel:DWORD dst_unused:UNUSED_PAD src0_sel:WORD_1
	s_waitcnt lgkmcnt(0)
	v_and_b32_e32 v12, 0xf0f0f0f, v8
	v_lshrrev_b32_e32 v8, 4, v8
	v_and_b32_e32 v8, 0xf0f0f0f, v8
	v_dot4c_i32_i8_e32 v95, v12, v10
	v_dot4c_i32_i8_e32 v95, v8, v14
	v_and_b32_e32 v8, 0xf0f0f0f, v9
	v_lshrrev_b32_e32 v9, 4, v9
	v_and_b32_e32 v9, 0xf0f0f0f, v9
	v_dot4c_i32_i8_e32 v95, v8, v11
	v_dot4c_i32_i8_e32 v95, v9, v15
	v_pk_mul_f16 v10, v88, v92
	v_cvt_f32_f16_e32 v8, v91
	v_cvt_f32_f16_e32 v9, v10
	v_cvt_f32_f16_sdwa v11, v10 dst_sel:DWORD dst_unused:UNUSED_PAD src0_sel:WORD_1
	v_cvt_f32_f16_sdwa v10, v91 dst_sel:DWORD dst_unused:UNUSED_PAD src0_sel:WORD_1
	v_cvt_f32_i32_e32 v13, v95
	v_cvt_f32_i32_e32 v12, v93
	;; [unrolled: 1-line block ×4, first 2 shown]
	v_add_u32_e32 v81, 16, v81
	v_pk_fma_f32 v[8:9], v[8:9], v[12:13], v[10:11]
	v_add_u32_e32 v80, 4, v80
	v_pk_fma_f32 v[14:15], v[82:83], v[14:15], v[84:85]
	v_pk_add_f32 v[6:7], v[6:7], v[8:9]
	v_pk_add_f32 v[4:5], v[4:5], v[14:15]
	v_add_u32_e32 v79, 4, v79
	s_cbranch_scc1 .LBB199_11
; %bb.12:                               ;   in Loop: Header=BB199_5 Depth=1
	s_bitset1_b32 s16, 7
	s_cmp_ge_i32 s16, s15
	s_barrier
	s_cbranch_scc1 .LBB199_4
; %bb.13:                               ;   in Loop: Header=BB199_5 Depth=1
	v_add_u32_e32 v8, s19, v59
	v_cmp_gt_i32_e64 s[2:3], s5, v8
	s_and_b64 s[16:17], s[0:1], s[2:3]
	s_and_saveexec_b64 s[2:3], s[16:17]
	s_cbranch_execz .LBB199_15
; %bb.14:                               ;   in Loop: Header=BB199_5 Depth=1
	v_add_u32_e32 v8, v32, v8
	v_mad_i64_i32 v[8:9], s[16:17], v8, 36, v[34:35]
	global_load_dword v8, v[8:9], off offset:4
	s_waitcnt vmcnt(0)
	ds_write_b32 v51, v8
.LBB199_15:                             ;   in Loop: Header=BB199_5 Depth=1
	s_or_b64 exec, exec, s[2:3]
	s_and_saveexec_b64 s[16:17], vcc
	s_cbranch_execz .LBB199_18
; %bb.16:                               ;   in Loop: Header=BB199_5 Depth=1
	v_or_b32_e32 v8, 4, v62
	v_cmp_gt_i32_e64 s[2:3], s5, v8
	s_and_b64 s[2:3], s[0:1], s[2:3]
	s_and_b64 exec, exec, s[2:3]
	s_cbranch_execz .LBB199_18
; %bb.17:                               ;   in Loop: Header=BB199_5 Depth=1
	v_ashrrev_i32_e32 v63, 31, v62
	v_lshl_add_u64 v[8:9], v[32:33], 0, v[62:63]
	v_mad_u64_u32 v[10:11], s[2:3], v8, 36, s[10:11]
	v_mad_i32_i24 v11, v9, 36, v11
	global_load_dword v8, v[10:11], off offset:144
	s_waitcnt vmcnt(0)
	ds_write_b32 v55, v8
.LBB199_18:                             ;   in Loop: Header=BB199_5 Depth=1
	s_or_b64 exec, exec, s[16:17]
	s_mov_b32 s2, 12
	v_mov_b32_e32 v62, v53
	v_mov_b32_e32 v63, v49
	;; [unrolled: 1-line block ×7, first 2 shown]
	s_waitcnt lgkmcnt(0)
	s_barrier
.LBB199_19:                             ;   Parent Loop BB199_5 Depth=1
                                        ; =>  This Inner Loop Header: Depth=2
	ds_read_b128 v[8:11], v63
	ds_read_b128 v[12:15], v63 offset:16
	ds_read_b32 v81, v62
	ds_read_b32 v84, v76
	ds_read2_b32 v[82:83], v80 offset1:1
	v_mov_b32_e32 v88, 0
	v_mov_b32_e32 v89, 0
	;; [unrolled: 1-line block ×4, first 2 shown]
	s_waitcnt lgkmcnt(0)
	v_and_b32_e32 v85, 0xf0f0f0f, v82
	v_lshrrev_b32_e32 v82, 4, v82
	v_and_b32_e32 v82, 0xf0f0f0f, v82
	v_dot4c_i32_i8_e32 v88, v85, v8
	v_dot4c_i32_i8_e32 v88, v82, v12
	v_and_b32_e32 v82, 0xf0f0f0f, v83
	v_lshrrev_b32_e32 v83, 4, v83
	v_and_b32_e32 v83, 0xf0f0f0f, v83
	v_dot4c_i32_i8_e32 v88, v82, v9
	v_dot4c_i32_i8_e32 v88, v83, v13
	ds_read2_b32 v[82:83], v80 offset0:2 offset1:3
	v_pk_mul_f16 v84, v81, v84
	s_add_i32 s2, s2, 4
	v_add_u32_e32 v76, 4, v76
	v_add_u32_e32 v63, 32, v63
	s_waitcnt lgkmcnt(0)
	v_and_b32_e32 v85, 0xf0f0f0f, v82
	v_lshrrev_b32_e32 v82, 4, v82
	v_and_b32_e32 v82, 0xf0f0f0f, v82
	v_dot4c_i32_i8_e32 v88, v85, v10
	v_dot4c_i32_i8_e32 v88, v82, v14
	v_and_b32_e32 v82, 0xf0f0f0f, v83
	v_lshrrev_b32_e32 v83, 4, v83
	v_and_b32_e32 v83, 0xf0f0f0f, v83
	v_dot4c_i32_i8_e32 v88, v82, v11
	v_add_u32_e32 v82, 0x1080, v80
	v_dot4c_i32_i8_e32 v88, v83, v15
	ds_read_b32 v85, v77
	ds_read2_b32 v[82:83], v82 offset1:1
	v_add_u32_e32 v77, 4, v77
	v_add_u32_e32 v62, 4, v62
	s_cmp_lt_u32 s2, 28
	s_waitcnt lgkmcnt(1)
	v_pk_mul_f16 v85, v81, v85
	s_waitcnt lgkmcnt(0)
	v_and_b32_e32 v86, 0xf0f0f0f, v82
	v_lshrrev_b32_e32 v82, 4, v82
	v_and_b32_e32 v82, 0xf0f0f0f, v82
	v_dot4c_i32_i8_e32 v89, v86, v8
	v_dot4c_i32_i8_e32 v89, v82, v12
	v_and_b32_e32 v82, 0xf0f0f0f, v83
	v_lshrrev_b32_e32 v83, 4, v83
	v_and_b32_e32 v83, 0xf0f0f0f, v83
	v_dot4c_i32_i8_e32 v89, v82, v9
	v_add_u32_e32 v82, 0x1088, v80
	v_dot4c_i32_i8_e32 v89, v83, v13
	ds_read2_b32 v[82:83], v82 offset1:1
	s_waitcnt lgkmcnt(0)
	v_and_b32_e32 v86, 0xf0f0f0f, v82
	v_dot4c_i32_i8_e32 v89, v86, v10
	v_add_u32_e32 v86, 0x2100, v80
	ds_read_b32 v90, v78
	ds_read2_b32 v[86:87], v86 offset1:1
	v_lshrrev_b32_e32 v82, 4, v82
	v_and_b32_e32 v82, 0xf0f0f0f, v82
	v_dot4c_i32_i8_e32 v89, v82, v14
	v_and_b32_e32 v82, 0xf0f0f0f, v83
	s_waitcnt lgkmcnt(0)
	v_and_b32_e32 v91, 0xf0f0f0f, v86
	v_lshrrev_b32_e32 v86, 4, v86
	v_and_b32_e32 v86, 0xf0f0f0f, v86
	v_dot4c_i32_i8_e32 v92, v91, v8
	v_dot4c_i32_i8_e32 v92, v86, v12
	v_and_b32_e32 v86, 0xf0f0f0f, v87
	v_lshrrev_b32_e32 v87, 4, v87
	v_and_b32_e32 v87, 0xf0f0f0f, v87
	v_dot4c_i32_i8_e32 v92, v86, v9
	v_add_u32_e32 v86, 0x2108, v80
	v_dot4c_i32_i8_e32 v92, v87, v13
	ds_read2_b32 v[86:87], v86 offset1:1
	v_lshrrev_b32_e32 v83, 4, v83
	v_and_b32_e32 v83, 0xf0f0f0f, v83
	v_dot4c_i32_i8_e32 v89, v82, v11
	v_dot4c_i32_i8_e32 v89, v83, v15
	s_waitcnt lgkmcnt(0)
	v_and_b32_e32 v91, 0xf0f0f0f, v86
	v_lshrrev_b32_e32 v86, 4, v86
	v_and_b32_e32 v86, 0xf0f0f0f, v86
	v_dot4c_i32_i8_e32 v92, v91, v10
	v_dot4c_i32_i8_e32 v92, v86, v14
	v_and_b32_e32 v86, 0xf0f0f0f, v87
	v_lshrrev_b32_e32 v87, 4, v87
	v_and_b32_e32 v87, 0xf0f0f0f, v87
	v_dot4c_i32_i8_e32 v92, v86, v11
	v_add_u32_e32 v86, 0x3180, v80
	v_dot4c_i32_i8_e32 v92, v87, v15
	ds_read_b32 v91, v79
	ds_read2_b32 v[86:87], v86 offset1:1
	v_pk_mul_f16 v90, v81, v90
	v_cvt_f32_f16_e32 v83, v85
	v_cvt_f32_f16_e32 v82, v84
	v_cvt_f32_f16_sdwa v85, v85 dst_sel:DWORD dst_unused:UNUSED_PAD src0_sel:WORD_1
	s_waitcnt lgkmcnt(0)
	v_and_b32_e32 v93, 0xf0f0f0f, v86
	v_lshrrev_b32_e32 v86, 4, v86
	v_and_b32_e32 v86, 0xf0f0f0f, v86
	v_dot4c_i32_i8_e32 v94, v93, v8
	v_dot4c_i32_i8_e32 v94, v86, v12
	v_and_b32_e32 v8, 0xf0f0f0f, v87
	v_dot4c_i32_i8_e32 v94, v8, v9
	v_add_u32_e32 v8, 0x3188, v80
	ds_read2_b32 v[8:9], v8 offset1:1
	v_lshrrev_b32_e32 v12, 4, v87
	v_and_b32_e32 v12, 0xf0f0f0f, v12
	v_dot4c_i32_i8_e32 v94, v12, v13
	v_cvt_f32_f16_sdwa v84, v84 dst_sel:DWORD dst_unused:UNUSED_PAD src0_sel:WORD_1
	s_waitcnt lgkmcnt(0)
	v_and_b32_e32 v12, 0xf0f0f0f, v8
	v_lshrrev_b32_e32 v8, 4, v8
	v_and_b32_e32 v8, 0xf0f0f0f, v8
	v_dot4c_i32_i8_e32 v94, v12, v10
	v_dot4c_i32_i8_e32 v94, v8, v14
	v_and_b32_e32 v8, 0xf0f0f0f, v9
	v_lshrrev_b32_e32 v9, 4, v9
	v_and_b32_e32 v9, 0xf0f0f0f, v9
	v_dot4c_i32_i8_e32 v94, v8, v11
	v_dot4c_i32_i8_e32 v94, v9, v15
	v_pk_mul_f16 v10, v81, v91
	v_cvt_f32_f16_e32 v8, v90
	v_cvt_f32_f16_e32 v9, v10
	v_cvt_f32_f16_sdwa v11, v10 dst_sel:DWORD dst_unused:UNUSED_PAD src0_sel:WORD_1
	v_cvt_f32_f16_sdwa v10, v90 dst_sel:DWORD dst_unused:UNUSED_PAD src0_sel:WORD_1
	v_cvt_f32_i32_e32 v13, v94
	v_cvt_f32_i32_e32 v12, v92
	;; [unrolled: 1-line block ×4, first 2 shown]
	v_add_u32_e32 v80, 16, v80
	v_pk_fma_f32 v[8:9], v[8:9], v[12:13], v[10:11]
	v_add_u32_e32 v79, 4, v79
	v_pk_fma_f32 v[14:15], v[82:83], v[14:15], v[84:85]
	v_pk_add_f32 v[6:7], v[6:7], v[8:9]
	v_pk_add_f32 v[4:5], v[4:5], v[14:15]
	v_add_u32_e32 v78, 4, v78
	s_cbranch_scc1 .LBB199_19
; %bb.20:                               ;   in Loop: Header=BB199_5 Depth=1
	s_barrier
	s_branch .LBB199_4
.LBB199_21:
	v_mov_b32_e32 v4, v3
	v_mov_b32_e32 v5, v3
	;; [unrolled: 1-line block ×3, first 2 shown]
	v_mov_b64_e32 v[6:7], v[4:5]
	v_mov_b64_e32 v[4:5], v[2:3]
.LBB199_22:
	s_mul_i32 s0, s7, s4
	s_waitcnt vmcnt(0)
	v_cmp_gt_i32_e32 vcc, s0, v1
	s_and_saveexec_b64 s[0:1], vcc
	s_cbranch_execz .LBB199_31
; %bb.23:
	v_and_b32_e32 v0, 0x3ff, v0
	v_add_u32_e32 v2, s18, v0
	v_mul_lo_u32 v0, v1, s6
	v_cmp_gt_u32_e32 vcc, s6, v2
	s_and_saveexec_b64 s[0:1], vcc
	s_cbranch_execz .LBB199_25
; %bb.24:
	v_cvt_f16_f32_e32 v1, v4
	v_add_u32_e32 v8, v0, v2
	v_mov_b32_e32 v9, 0
	v_lshl_add_u64 v[8:9], v[8:9], 1, s[12:13]
	global_store_short v[8:9], v1, off
.LBB199_25:
	s_or_b64 exec, exec, s[0:1]
	v_add_u32_e32 v1, 32, v2
	v_cmp_gt_u32_e32 vcc, s6, v1
	s_and_saveexec_b64 s[0:1], vcc
	s_cbranch_execz .LBB199_27
; %bb.26:
	v_cvt_f16_f32_e32 v3, v5
	v_add_u32_e32 v4, v0, v1
	v_mov_b32_e32 v5, 0
	v_lshl_add_u64 v[4:5], v[4:5], 1, s[12:13]
	global_store_short v[4:5], v3, off
.LBB199_27:
	s_or_b64 exec, exec, s[0:1]
	v_add_u32_e32 v1, 64, v2
	;; [unrolled: 12-line block ×3, first 2 shown]
	v_cmp_gt_u32_e32 vcc, s6, v1
	s_and_b64 exec, exec, vcc
	s_cbranch_execz .LBB199_31
; %bb.30:
	v_cvt_f16_f32_e32 v2, v7
	v_add_u32_e32 v0, v0, v1
	v_mov_b32_e32 v1, 0
	v_lshl_add_u64 v[0:1], v[0:1], 1, s[12:13]
	global_store_short v[0:1], v2, off
.LBB199_31:
	s_endpgm
	.section	.rodata,"a",@progbits
	.p2align	6, 0x0
	.amdhsa_kernel _ZL8moe_q4_1IN3c104HalfELb0EEvPKvS3_PT_PKiS7_S7_iiiiiii
		.amdhsa_group_segment_fixed_size 22272
		.amdhsa_private_segment_fixed_size 0
		.amdhsa_kernarg_size 76
		.amdhsa_user_sgpr_count 2
		.amdhsa_user_sgpr_dispatch_ptr 0
		.amdhsa_user_sgpr_queue_ptr 0
		.amdhsa_user_sgpr_kernarg_segment_ptr 1
		.amdhsa_user_sgpr_dispatch_id 0
		.amdhsa_user_sgpr_kernarg_preload_length 0
		.amdhsa_user_sgpr_kernarg_preload_offset 0
		.amdhsa_user_sgpr_private_segment_size 0
		.amdhsa_uses_dynamic_stack 0
		.amdhsa_enable_private_segment 0
		.amdhsa_system_sgpr_workgroup_id_x 1
		.amdhsa_system_sgpr_workgroup_id_y 1
		.amdhsa_system_sgpr_workgroup_id_z 0
		.amdhsa_system_sgpr_workgroup_info 0
		.amdhsa_system_vgpr_workitem_id 1
		.amdhsa_next_free_vgpr 98
		.amdhsa_next_free_sgpr 75
		.amdhsa_accum_offset 100
		.amdhsa_reserve_vcc 1
		.amdhsa_float_round_mode_32 0
		.amdhsa_float_round_mode_16_64 0
		.amdhsa_float_denorm_mode_32 3
		.amdhsa_float_denorm_mode_16_64 3
		.amdhsa_dx10_clamp 1
		.amdhsa_ieee_mode 1
		.amdhsa_fp16_overflow 0
		.amdhsa_tg_split 0
		.amdhsa_exception_fp_ieee_invalid_op 0
		.amdhsa_exception_fp_denorm_src 0
		.amdhsa_exception_fp_ieee_div_zero 0
		.amdhsa_exception_fp_ieee_overflow 0
		.amdhsa_exception_fp_ieee_underflow 0
		.amdhsa_exception_fp_ieee_inexact 0
		.amdhsa_exception_int_div_zero 0
	.end_amdhsa_kernel
	.section	.text._ZL8moe_q4_1IN3c104HalfELb0EEvPKvS3_PT_PKiS7_S7_iiiiiii,"axG",@progbits,_ZL8moe_q4_1IN3c104HalfELb0EEvPKvS3_PT_PKiS7_S7_iiiiiii,comdat
.Lfunc_end199:
	.size	_ZL8moe_q4_1IN3c104HalfELb0EEvPKvS3_PT_PKiS7_S7_iiiiiii, .Lfunc_end199-_ZL8moe_q4_1IN3c104HalfELb0EEvPKvS3_PT_PKiS7_S7_iiiiiii
                                        ; -- End function
	.set _ZL8moe_q4_1IN3c104HalfELb0EEvPKvS3_PT_PKiS7_S7_iiiiiii.num_vgpr, 98
	.set _ZL8moe_q4_1IN3c104HalfELb0EEvPKvS3_PT_PKiS7_S7_iiiiiii.num_agpr, 0
	.set _ZL8moe_q4_1IN3c104HalfELb0EEvPKvS3_PT_PKiS7_S7_iiiiiii.numbered_sgpr, 24
	.set _ZL8moe_q4_1IN3c104HalfELb0EEvPKvS3_PT_PKiS7_S7_iiiiiii.num_named_barrier, 0
	.set _ZL8moe_q4_1IN3c104HalfELb0EEvPKvS3_PT_PKiS7_S7_iiiiiii.private_seg_size, 0
	.set _ZL8moe_q4_1IN3c104HalfELb0EEvPKvS3_PT_PKiS7_S7_iiiiiii.uses_vcc, 1
	.set _ZL8moe_q4_1IN3c104HalfELb0EEvPKvS3_PT_PKiS7_S7_iiiiiii.uses_flat_scratch, 0
	.set _ZL8moe_q4_1IN3c104HalfELb0EEvPKvS3_PT_PKiS7_S7_iiiiiii.has_dyn_sized_stack, 0
	.set _ZL8moe_q4_1IN3c104HalfELb0EEvPKvS3_PT_PKiS7_S7_iiiiiii.has_recursion, 0
	.set _ZL8moe_q4_1IN3c104HalfELb0EEvPKvS3_PT_PKiS7_S7_iiiiiii.has_indirect_call, 0
	.section	.AMDGPU.csdata,"",@progbits
; Kernel info:
; codeLenInByte = 4096
; TotalNumSgprs: 30
; NumVgprs: 98
; NumAgprs: 0
; TotalNumVgprs: 98
; ScratchSize: 0
; MemoryBound: 0
; FloatMode: 240
; IeeeMode: 1
; LDSByteSize: 22272 bytes/workgroup (compile time only)
; SGPRBlocks: 10
; VGPRBlocks: 12
; NumSGPRsForWavesPerEU: 81
; NumVGPRsForWavesPerEU: 98
; AccumOffset: 100
; Occupancy: 4
; WaveLimiterHint : 1
; COMPUTE_PGM_RSRC2:SCRATCH_EN: 0
; COMPUTE_PGM_RSRC2:USER_SGPR: 2
; COMPUTE_PGM_RSRC2:TRAP_HANDLER: 0
; COMPUTE_PGM_RSRC2:TGID_X_EN: 1
; COMPUTE_PGM_RSRC2:TGID_Y_EN: 1
; COMPUTE_PGM_RSRC2:TGID_Z_EN: 0
; COMPUTE_PGM_RSRC2:TIDIG_COMP_CNT: 1
; COMPUTE_PGM_RSRC3_GFX90A:ACCUM_OFFSET: 24
; COMPUTE_PGM_RSRC3_GFX90A:TG_SPLIT: 0
	.section	.text._ZL8moe_q4_1IN3c104HalfELb1EEvPKvS3_PT_PKiS7_S7_iiiiiii,"axG",@progbits,_ZL8moe_q4_1IN3c104HalfELb1EEvPKvS3_PT_PKiS7_S7_iiiiiii,comdat
	.globl	_ZL8moe_q4_1IN3c104HalfELb1EEvPKvS3_PT_PKiS7_S7_iiiiiii ; -- Begin function _ZL8moe_q4_1IN3c104HalfELb1EEvPKvS3_PT_PKiS7_S7_iiiiiii
	.p2align	8
	.type	_ZL8moe_q4_1IN3c104HalfELb1EEvPKvS3_PT_PKiS7_S7_iiiiiii,@function
_ZL8moe_q4_1IN3c104HalfELb1EEvPKvS3_PT_PKiS7_S7_iiiiiii: ; @_ZL8moe_q4_1IN3c104HalfELb1EEvPKvS3_PT_PKiS7_S7_iiiiiii
; %bb.0:
	s_load_dwordx4 s[4:7], s[0:1], 0x18
	s_mov_b32 s8, s3
	s_mov_b32 s9, 0
	s_lshl_b64 s[10:11], s[8:9], 2
	s_waitcnt lgkmcnt(0)
	s_add_u32 s6, s6, s10
	s_addc_u32 s7, s7, s11
	s_load_dword s3, s[6:7], 0x0
	s_waitcnt lgkmcnt(0)
	s_cmpk_gt_u32 s3, 0xff
	s_cbranch_scc1 .LBB200_31
; %bb.1:
	s_load_dwordx2 s[6:7], s[0:1], 0x28
	s_waitcnt lgkmcnt(0)
	s_load_dword s7, s[6:7], 0x0
	s_lshl_b32 s6, s8, 3
	s_waitcnt lgkmcnt(0)
	s_cmp_gt_u32 s6, s7
	s_cbranch_scc1 .LBB200_31
; %bb.2:
	v_bfe_u32 v4, v0, 10, 10
	v_mov_b32_e32 v6, s4
	v_mov_b32_e32 v7, s5
	v_add_u32_e32 v2, s6, v4
	v_mov_b32_e32 v3, 0
	v_lshl_add_u64 v[6:7], v[2:3], 2, v[6:7]
	global_load_dword v1, v[6:7], off
	s_load_dwordx8 s[4:11], s[0:1], 0x30
	s_load_dwordx2 s[16:17], s[0:1], 0x10
	s_waitcnt lgkmcnt(0)
	s_lshl_b32 s11, s2, 7
	s_mov_b32 s20, 0
	s_cmp_lt_i32 s5, 32
	s_cbranch_scc1 .LBB200_21
; %bb.3:
	s_load_dwordx4 s[12:15], s[0:1], 0x0
	s_ashr_i32 s0, s5, 31
	s_lshr_b32 s0, s0, 27
	s_add_i32 s0, s5, s0
	s_ashr_i32 s21, s0, 5
	s_ashr_i32 s0, s8, 31
	s_lshr_b32 s0, s0, 27
	s_add_i32 s0, s8, s0
	s_mul_i32 s3, s3, s4
	s_ashr_i32 s8, s0, 5
	s_ashr_i32 s0, s3, 31
	s_waitcnt lgkmcnt(0)
	s_add_u32 s1, s12, s3
	s_mul_i32 s2, s21, s11
	s_addc_u32 s0, s13, s0
	s_mul_hi_i32 s3, s2, 20
	s_mul_i32 s2, s2, 20
	s_add_u32 s4, s1, s2
	s_addc_u32 s22, s0, s3
	s_not_b32 s0, s11
	s_add_i32 s0, s6, s0
	v_add_u32_e32 v5, 8, v4
	v_min_i32_e32 v9, s0, v5
	v_add_u32_e32 v5, 16, v4
	v_min_i32_e32 v10, s0, v5
	v_add_u32_e32 v5, 24, v4
	v_min_i32_e32 v11, s0, v5
	v_add_u32_e32 v5, 32, v4
	v_min_i32_e32 v12, s0, v5
	v_add_u32_e32 v5, 40, v4
	v_min_i32_e32 v13, s0, v5
	v_add_u32_e32 v5, 48, v4
	v_and_b32_e32 v41, 0x3ff, v0
	v_min_i32_e32 v14, s0, v5
	v_add_u32_e32 v5, 56, v4
	v_lshlrev_b32_e32 v6, 2, v41
	s_movk_i32 s2, 0x84
	v_min_i32_e32 v15, s0, v5
	v_add_u32_e32 v5, 64, v4
	v_mad_u64_u32 v[26:27], s[12:13], v13, s2, v[6:7]
	v_min_i32_e32 v59, s0, v5
	v_add_u32_e32 v5, 0x48, v4
	s_abs_i32 s3, s10
	v_min_i32_e32 v61, s0, v5
	v_add_u32_e32 v5, 0x50, v4
	v_cvt_f32_u32_e32 v27, s3
	v_min_i32_e32 v63, s0, v5
	v_add_u32_e32 v5, 0x58, v4
	v_min_i32_e32 v8, s0, v4
	v_min_i32_e32 v65, s0, v5
	v_add_u32_e32 v5, 0x60, v4
	v_mad_u64_u32 v[16:17], s[12:13], v8, s2, v[6:7]
	v_min_i32_e32 v67, s0, v5
	v_add_u32_e32 v5, 0x68, v4
	v_min_i32_e32 v69, s0, v5
	v_add_u32_e32 v5, 0x70, v4
	v_bfe_u32 v17, v0, 3, 7
	v_rcp_iflag_f32_e32 v27, v27
	v_mad_u64_u32 v[22:23], s[12:13], v11, s2, v[6:7]
	v_mad_u64_u32 v[24:25], s[12:13], v12, s2, v[6:7]
	v_min_i32_e32 v71, s0, v5
	v_lshl_add_u32 v5, v4, 2, v17
	v_min_i32_e32 v73, s0, v5
	v_add_u32_e32 v23, 32, v5
	v_add_u32_e32 v25, 64, v5
	;; [unrolled: 1-line block ×3, first 2 shown]
	v_min_i32_e32 v75, s0, v23
	v_min_i32_e32 v77, s0, v25
	;; [unrolled: 1-line block ×3, first 2 shown]
	v_mad_u64_u32 v[18:19], s[12:13], v9, s2, v[6:7]
	v_mad_u64_u32 v[20:21], s[12:13], v10, s2, v[6:7]
	;; [unrolled: 1-line block ×8, first 2 shown]
	v_ashrrev_i32_e32 v7, 31, v73
	v_ashrrev_i32_e32 v23, 31, v75
	;; [unrolled: 1-line block ×4, first 2 shown]
	v_mul_f32_e32 v27, 0x4f7ffffe, v27
	v_lshrrev_b32_e32 v7, 30, v7
	v_lshrrev_b32_e32 v23, 30, v23
	;; [unrolled: 1-line block ×4, first 2 shown]
	v_cvt_u32_f32_e32 v27, v27
	v_and_b32_e32 v40, 7, v0
	v_add_u32_e32 v7, v73, v7
	v_add_u32_e32 v23, v75, v23
	;; [unrolled: 1-line block ×4, first 2 shown]
	v_and_b32_e32 v7, -4, v7
	v_lshlrev_b32_e32 v19, 2, v40
	s_movk_i32 s1, 0x4200
	v_and_b32_e32 v23, -4, v23
	v_and_b32_e32 v25, -4, v25
	;; [unrolled: 1-line block ×3, first 2 shown]
	v_add3_u32 v7, v7, v19, s1
	v_add3_u32 v23, v23, v19, s1
	;; [unrolled: 1-line block ×4, first 2 shown]
	s_sub_i32 s1, 0, s3
	v_mul_lo_u32 v37, s1, v27
	s_waitcnt vmcnt(0)
	v_sub_u32_e32 v33, 0, v1
	v_mul_hi_u32 v37, v27, v37
	v_max_i32_e32 v33, v1, v33
	v_add_u32_e32 v27, v27, v37
	v_mul_hi_u32 v27, v33, v27
	v_mul_lo_u32 v37, v27, s3
	v_sub_u32_e32 v33, v33, v37
	v_add_u32_e32 v37, 1, v27
	v_cmp_le_u32_e32 vcc, s3, v33
	v_xor_b32_e32 v31, s10, v1
	v_ashrrev_i32_e32 v31, 31, v31
	v_cndmask_b32_e32 v27, v27, v37, vcc
	v_subrev_u32_e32 v37, s3, v33
	v_cndmask_b32_e32 v33, v33, v37, vcc
	v_add_u32_e32 v37, 1, v27
	v_cmp_le_u32_e32 vcc, s3, v33
	v_add_u32_e32 v19, 64, v41
	v_add_u32_e32 v35, 32, v41
	v_cndmask_b32_e32 v27, v27, v37, vcc
	v_xor_b32_e32 v27, v27, v31
	v_sub_u32_e32 v37, v27, v31
	v_lshlrev_b32_e32 v27, 5, v41
	v_and_b32_e32 v19, 0x1fc, v19
	v_add_u32_e32 v29, 0x60, v41
	v_add_u32_e32 v54, v27, v19
	v_and_b32_e32 v19, 0x1fc, v35
	v_and_b32_e32 v29, 0x1fc, v29
	v_add_u32_e32 v55, v27, v19
	v_and_b32_e32 v19, 0xfc, v0
	v_lshlrev_b32_e32 v21, 5, v73
	v_add_u32_e32 v39, v27, v29
	v_add_u32_e32 v56, v27, v19
	v_lshlrev_b32_e32 v27, 5, v75
	v_add_u32_e32 v19, v7, v21
	v_lshlrev_b32_e32 v7, 5, v77
	v_add_u32_e32 v21, v23, v27
	v_lshlrev_b32_e32 v27, 5, v79
	v_add_u32_e32 v23, v25, v7
	v_mov_b32_e32 v7, 0x5280
	v_add_u32_e32 v27, v5, v27
	v_mov_b32_e32 v5, 0x5680
	v_lshl_add_u32 v25, v4, 7, v7
	v_lshl_add_u32 v29, v4, 4, v5
	v_add_u32_e32 v4, 0x78, v4
	v_min_i32_e32 v81, s0, v4
	v_mad_u64_u32 v[42:43], s[0:1], v67, s2, v[6:7]
	v_mad_u64_u32 v[44:45], s[0:1], v69, s2, v[6:7]
	;; [unrolled: 1-line block ×4, first 2 shown]
	v_and_b32_e32 v2, 12, v6
	v_add_u32_e32 v31, v29, v6
	v_and_b32_e32 v4, 28, v6
	v_mov_b32_e32 v5, v3
	v_and_b32_e32 v6, 31, v0
	v_cmp_gt_u32_e32 vcc, 4, v41
	v_cmp_gt_i32_e64 s[0:1], s7, v37
	v_mul_lo_u32 v52, v37, s8
	v_lshl_or_b32 v33, v6, 2, v25
	v_lshrrev_b32_e32 v35, 3, v35
	v_lshl_add_u64 v[50:51], s[14:15], 0, v[4:5]
	s_and_b64 s[12:13], vcc, s[0:1]
	v_ashrrev_i32_e32 v53, 31, v52
	v_add_u32_e32 v37, 0x4e00, v39
	v_add_u32_e32 v39, 0x4e10, v39
	;; [unrolled: 1-line block ×8, first 2 shown]
	v_mov_b32_e32 v4, v3
	v_mov_b32_e32 v6, v3
	;; [unrolled: 1-line block ×3, first 2 shown]
	v_mul_lo_u32 v54, v8, s21
	v_mul_lo_u32 v56, v9, s21
	;; [unrolled: 1-line block ×20, first 2 shown]
	v_mul_u32_u24_e32 v59, 0x84, v41
	v_mad_u32_u24 v61, v41, s2, 64
	v_bfe_u32 v94, v0, 2, 8
	s_branch .LBB200_5
.LBB200_4:                              ;   in Loop: Header=BB200_5 Depth=1
	s_add_i32 s20, s20, 8
	s_cmp_ge_i32 s20, s21
	s_cbranch_scc1 .LBB200_22
.LBB200_5:                              ; =>This Loop Header: Depth=1
                                        ;     Child Loop BB200_11 Depth 2
                                        ;     Child Loop BB200_19 Depth 2
	s_mul_i32 s2, s20, 20
	s_mul_hi_u32 s3, s20, 20
	s_add_u32 s2, s4, s2
	s_addc_u32 s3, s22, s3
	v_mad_u64_u32 v[8:9], s[18:19], v94, 20, s[2:3]
	v_mad_i64_i32 v[10:11], s[18:19], v54, 20, v[8:9]
	v_mad_i64_i32 v[12:13], s[18:19], v56, 20, v[8:9]
	;; [unrolled: 1-line block ×7, first 2 shown]
	v_lshl_add_u64 v[10:11], v[10:11], 0, v[2:3]
	v_lshl_add_u64 v[12:13], v[12:13], 0, v[2:3]
	;; [unrolled: 1-line block ×7, first 2 shown]
	v_mad_i64_i32 v[104:105], s[18:19], v68, 20, v[8:9]
	v_lshl_add_u64 v[104:105], v[104:105], 0, v[2:3]
	global_load_dword v63, v[10:11], off offset:4
	global_load_dword v65, v[12:13], off offset:4
	;; [unrolled: 1-line block ×8, first 2 shown]
	v_mad_i64_i32 v[10:11], s[18:19], v70, 20, v[8:9]
	v_mad_i64_i32 v[12:13], s[18:19], v72, 20, v[8:9]
	;; [unrolled: 1-line block ×8, first 2 shown]
	v_lshl_add_u64 v[10:11], v[10:11], 0, v[2:3]
	v_lshl_add_u64 v[8:9], v[8:9], 0, v[2:3]
	v_lshl_add_u64 v[12:13], v[12:13], 0, v[2:3]
	v_lshl_add_u64 v[14:15], v[14:15], 0, v[2:3]
	v_lshl_add_u64 v[96:97], v[96:97], 0, v[2:3]
	v_lshl_add_u64 v[98:99], v[98:99], 0, v[2:3]
	v_lshl_add_u64 v[100:101], v[100:101], 0, v[2:3]
	v_lshl_add_u64 v[102:103], v[102:103], 0, v[2:3]
	global_load_dword v79, v[10:11], off offset:4
	global_load_dword v81, v[12:13], off offset:4
	global_load_dword v83, v[14:15], off offset:4
	global_load_dword v85, v[96:97], off offset:4
	global_load_dword v87, v[98:99], off offset:4
	global_load_dword v89, v[100:101], off offset:4
	global_load_dword v91, v[102:103], off offset:4
	global_load_dword v93, v[8:9], off offset:4
	v_mad_u64_u32 v[8:9], s[2:3], v40, 20, s[2:3]
	v_mad_i64_i32 v[10:11], s[2:3], v86, 20, v[8:9]
	v_mad_i64_i32 v[12:13], s[2:3], v88, 20, v[8:9]
	;; [unrolled: 1-line block ×4, first 2 shown]
	global_load_dword v95, v[10:11], off
	global_load_dword v96, v[12:13], off
	;; [unrolled: 1-line block ×3, first 2 shown]
	s_lshl_b32 s6, s20, 5
	global_load_dword v8, v[8:9], off
	s_cmp_lt_i32 s6, s5
	s_waitcnt vmcnt(19)
	ds_write_b32 v16, v63
	s_waitcnt vmcnt(18)
	ds_write_b32 v18, v65
	;; [unrolled: 2-line block ×20, first 2 shown]
	s_cbranch_scc0 .LBB200_4
; %bb.6:                                ;   in Loop: Header=BB200_5 Depth=1
	v_add_u32_e32 v8, s20, v17
	v_cmp_gt_i32_e64 s[2:3], s8, v8
	s_and_b64 s[18:19], s[0:1], s[2:3]
	s_and_saveexec_b64 s[2:3], s[18:19]
	s_cbranch_execz .LBB200_8
; %bb.7:                                ;   in Loop: Header=BB200_5 Depth=1
	v_add_u32_e32 v8, v52, v8
	v_mad_i64_i32 v[8:9], s[18:19], v8, 36, v[50:51]
	global_load_dword v8, v[8:9], off offset:4
	s_waitcnt vmcnt(0)
	ds_write_b32 v33, v8
.LBB200_8:                              ;   in Loop: Header=BB200_5 Depth=1
	s_or_b64 exec, exec, s[2:3]
	v_add_u32_e32 v96, s20, v41
	v_cmp_gt_i32_e64 s[2:3], s8, v96
	s_and_b64 s[18:19], s[12:13], s[2:3]
	s_and_saveexec_b64 s[2:3], s[18:19]
	s_cbranch_execz .LBB200_10
; %bb.9:                                ;   in Loop: Header=BB200_5 Depth=1
	v_add_u32_e32 v8, v52, v96
	v_mad_i64_i32 v[8:9], s[18:19], v8, 36, s[14:15]
	global_load_dword v8, v[8:9], off
	s_waitcnt vmcnt(0)
	ds_write_b32 v31, v8
.LBB200_10:                             ;   in Loop: Header=BB200_5 Depth=1
	s_or_b64 exec, exec, s[2:3]
	s_mov_b32 s2, -4
	v_mov_b32_e32 v63, v25
	v_mov_b32_e32 v65, v29
	v_mov_b32_e32 v67, v55
	v_mov_b32_e32 v69, v47
	v_mov_b32_e32 v71, v43
	v_mov_b32_e32 v73, v37
	v_mov_b32_e32 v75, v59
	s_waitcnt lgkmcnt(0)
	s_barrier
.LBB200_11:                             ;   Parent Loop BB200_5 Depth=1
                                        ; =>  This Inner Loop Header: Depth=2
	ds_read_b128 v[8:11], v63
	ds_read_b128 v[12:15], v63 offset:16
	ds_read_b32 v77, v65
	ds_read_b32 v79, v67
	ds_read2_b32 v[98:99], v75 offset1:1
	v_mov_b32_e32 v85, 0
	v_mov_b32_e32 v89, 0
	;; [unrolled: 1-line block ×3, first 2 shown]
	s_waitcnt lgkmcnt(1)
	v_pk_mul_f16 v79, v77, v79
	s_waitcnt lgkmcnt(0)
	v_and_b32_e32 v81, 0xf0f0f0f, v98
	v_lshrrev_b32_e32 v83, 4, v98
	v_and_b32_e32 v83, 0xf0f0f0f, v83
	v_dot4c_i32_i8_e32 v85, v81, v8
	v_dot4c_i32_i8_e32 v85, v83, v12
	v_and_b32_e32 v81, 0xf0f0f0f, v99
	v_lshrrev_b32_e32 v83, 4, v99
	ds_read2_b32 v[98:99], v75 offset0:2 offset1:3
	v_and_b32_e32 v83, 0xf0f0f0f, v83
	v_dot4c_i32_i8_e32 v85, v81, v9
	v_dot4c_i32_i8_e32 v85, v83, v13
	v_cvt_f32_f16_sdwa v100, v79 dst_sel:DWORD dst_unused:UNUSED_PAD src0_sel:WORD_1
	s_waitcnt lgkmcnt(0)
	v_and_b32_e32 v81, 0xf0f0f0f, v98
	v_lshrrev_b32_e32 v83, 4, v98
	v_and_b32_e32 v83, 0xf0f0f0f, v83
	v_dot4c_i32_i8_e32 v85, v81, v10
	v_dot4c_i32_i8_e32 v85, v83, v14
	v_and_b32_e32 v81, 0xf0f0f0f, v99
	v_lshrrev_b32_e32 v83, 4, v99
	v_and_b32_e32 v83, 0xf0f0f0f, v83
	v_dot4c_i32_i8_e32 v85, v81, v11
	v_dot4c_i32_i8_e32 v85, v83, v15
	v_add_u32_e32 v81, 0x1080, v75
	ds_read_b32 v83, v69
	ds_read2_b32 v[98:99], v81 offset1:1
	s_add_i32 s2, s2, 4
	v_add_u32_e32 v69, 4, v69
	v_add_u32_e32 v67, 4, v67
	;; [unrolled: 1-line block ×3, first 2 shown]
	s_waitcnt lgkmcnt(0)
	v_and_b32_e32 v81, 0xf0f0f0f, v98
	v_lshrrev_b32_e32 v87, 4, v98
	v_and_b32_e32 v87, 0xf0f0f0f, v87
	v_dot4c_i32_i8_e32 v89, v81, v8
	v_dot4c_i32_i8_e32 v89, v87, v12
	v_and_b32_e32 v81, 0xf0f0f0f, v99
	v_dot4c_i32_i8_e32 v89, v81, v9
	v_add_u32_e32 v81, 0x1088, v75
	v_lshrrev_b32_e32 v87, 4, v99
	ds_read2_b32 v[98:99], v81 offset1:1
	v_and_b32_e32 v87, 0xf0f0f0f, v87
	v_dot4c_i32_i8_e32 v89, v87, v13
	v_add_u32_e32 v63, 32, v63
	s_cmp_lt_u32 s2, 12
	s_waitcnt lgkmcnt(0)
	v_and_b32_e32 v81, 0xf0f0f0f, v98
	v_lshrrev_b32_e32 v87, 4, v98
	v_and_b32_e32 v87, 0xf0f0f0f, v87
	v_dot4c_i32_i8_e32 v89, v81, v10
	v_dot4c_i32_i8_e32 v89, v87, v14
	v_and_b32_e32 v81, 0xf0f0f0f, v99
	v_dot4c_i32_i8_e32 v89, v81, v11
	v_pk_mul_f16 v81, v77, v83
	v_lshrrev_b32_e32 v87, 4, v99
	v_cvt_f32_f16_e32 v99, v81
	v_cvt_f32_f16_e32 v98, v79
	v_cvt_f32_f16_sdwa v101, v81 dst_sel:DWORD dst_unused:UNUSED_PAD src0_sel:WORD_1
	v_add_u32_e32 v79, 0x2100, v75
	ds_read_b32 v81, v71
	ds_read2_b32 v[102:103], v79 offset1:1
	v_and_b32_e32 v87, 0xf0f0f0f, v87
	v_dot4c_i32_i8_e32 v89, v87, v15
	v_mov_b32_e32 v87, 0
	v_add_u32_e32 v71, 4, v71
	s_waitcnt lgkmcnt(0)
	v_and_b32_e32 v79, 0xf0f0f0f, v102
	v_lshrrev_b32_e32 v83, 4, v102
	v_and_b32_e32 v83, 0xf0f0f0f, v83
	v_dot4c_i32_i8_e32 v87, v79, v8
	v_dot4c_i32_i8_e32 v87, v83, v12
	v_and_b32_e32 v79, 0xf0f0f0f, v103
	v_dot4c_i32_i8_e32 v87, v79, v9
	v_add_u32_e32 v79, 0x2108, v75
	v_lshrrev_b32_e32 v83, 4, v103
	ds_read2_b32 v[102:103], v79 offset1:1
	v_and_b32_e32 v83, 0xf0f0f0f, v83
	v_dot4c_i32_i8_e32 v87, v83, v13
	s_waitcnt lgkmcnt(0)
	v_and_b32_e32 v79, 0xf0f0f0f, v102
	v_lshrrev_b32_e32 v83, 4, v102
	v_and_b32_e32 v83, 0xf0f0f0f, v83
	v_dot4c_i32_i8_e32 v87, v79, v10
	v_dot4c_i32_i8_e32 v87, v83, v14
	v_and_b32_e32 v79, 0xf0f0f0f, v103
	v_lshrrev_b32_e32 v83, 4, v103
	v_and_b32_e32 v83, 0xf0f0f0f, v83
	v_dot4c_i32_i8_e32 v87, v79, v11
	v_dot4c_i32_i8_e32 v87, v83, v15
	v_pk_mul_f16 v79, v77, v81
	v_add_u32_e32 v81, 0x3180, v75
	ds_read_b32 v83, v73
	ds_read2_b32 v[102:103], v81 offset1:1
	v_add_u32_e32 v73, 4, v73
	s_waitcnt lgkmcnt(0)
	v_and_b32_e32 v81, 0xf0f0f0f, v102
	v_lshrrev_b32_e32 v91, 4, v102
	v_and_b32_e32 v91, 0xf0f0f0f, v91
	v_dot4c_i32_i8_e32 v93, v81, v8
	v_dot4c_i32_i8_e32 v93, v91, v12
	v_and_b32_e32 v8, 0xf0f0f0f, v103
	v_dot4c_i32_i8_e32 v93, v8, v9
	v_add_u32_e32 v8, 0x3188, v75
	ds_read2_b32 v[8:9], v8 offset1:1
	v_lshrrev_b32_e32 v12, 4, v103
	v_and_b32_e32 v12, 0xf0f0f0f, v12
	v_dot4c_i32_i8_e32 v93, v12, v13
	v_add_u32_e32 v75, 16, v75
	s_waitcnt lgkmcnt(0)
	v_and_b32_e32 v12, 0xf0f0f0f, v8
	v_lshrrev_b32_e32 v8, 4, v8
	v_and_b32_e32 v8, 0xf0f0f0f, v8
	v_dot4c_i32_i8_e32 v93, v12, v10
	v_dot4c_i32_i8_e32 v93, v8, v14
	v_and_b32_e32 v8, 0xf0f0f0f, v9
	v_lshrrev_b32_e32 v9, 4, v9
	v_and_b32_e32 v9, 0xf0f0f0f, v9
	v_dot4c_i32_i8_e32 v93, v8, v11
	v_dot4c_i32_i8_e32 v93, v9, v15
	v_pk_mul_f16 v10, v77, v83
	v_cvt_f32_f16_e32 v8, v79
	v_cvt_f32_f16_e32 v9, v10
	v_cvt_f32_f16_sdwa v11, v10 dst_sel:DWORD dst_unused:UNUSED_PAD src0_sel:WORD_1
	v_cvt_f32_f16_sdwa v10, v79 dst_sel:DWORD dst_unused:UNUSED_PAD src0_sel:WORD_1
	v_cvt_f32_i32_e32 v13, v93
	v_cvt_f32_i32_e32 v12, v87
	;; [unrolled: 1-line block ×4, first 2 shown]
	v_pk_fma_f32 v[8:9], v[8:9], v[12:13], v[10:11]
	s_nop 0
	v_pk_add_f32 v[6:7], v[6:7], v[8:9]
	v_pk_fma_f32 v[14:15], v[98:99], v[14:15], v[100:101]
	s_nop 0
	v_pk_add_f32 v[4:5], v[4:5], v[14:15]
	s_cbranch_scc1 .LBB200_11
; %bb.12:                               ;   in Loop: Header=BB200_5 Depth=1
	s_bitset1_b32 s6, 7
	s_cmp_ge_i32 s6, s5
	s_barrier
	s_cbranch_scc1 .LBB200_4
; %bb.13:                               ;   in Loop: Header=BB200_5 Depth=1
	v_add_u32_e32 v8, s20, v35
	v_cmp_gt_i32_e64 s[2:3], s8, v8
	s_and_b64 s[18:19], s[0:1], s[2:3]
	s_and_saveexec_b64 s[2:3], s[18:19]
	s_cbranch_execz .LBB200_15
; %bb.14:                               ;   in Loop: Header=BB200_5 Depth=1
	v_add_u32_e32 v8, v52, v8
	v_mad_i64_i32 v[8:9], s[18:19], v8, 36, v[50:51]
	global_load_dword v8, v[8:9], off offset:4
	s_waitcnt vmcnt(0)
	ds_write_b32 v33, v8
.LBB200_15:                             ;   in Loop: Header=BB200_5 Depth=1
	s_or_b64 exec, exec, s[2:3]
	s_and_saveexec_b64 s[18:19], vcc
	s_cbranch_execz .LBB200_18
; %bb.16:                               ;   in Loop: Header=BB200_5 Depth=1
	v_or_b32_e32 v8, 4, v96
	v_cmp_gt_i32_e64 s[2:3], s8, v8
	s_and_b64 s[2:3], s[0:1], s[2:3]
	s_and_b64 exec, exec, s[2:3]
	s_cbranch_execz .LBB200_18
; %bb.17:                               ;   in Loop: Header=BB200_5 Depth=1
	v_ashrrev_i32_e32 v97, 31, v96
	v_lshl_add_u64 v[8:9], v[52:53], 0, v[96:97]
	v_mad_u64_u32 v[10:11], s[2:3], v8, 36, s[14:15]
	v_mad_i32_i24 v11, v9, 36, v11
	global_load_dword v8, v[10:11], off offset:144
	s_waitcnt vmcnt(0)
	ds_write_b32 v31, v8
.LBB200_18:                             ;   in Loop: Header=BB200_5 Depth=1
	s_or_b64 exec, exec, s[18:19]
	s_mov_b32 s2, 12
	v_mov_b32_e32 v8, v29
	v_mov_b32_e32 v9, v25
	;; [unrolled: 1-line block ×7, first 2 shown]
	s_waitcnt lgkmcnt(0)
	s_barrier
.LBB200_19:                             ;   Parent Loop BB200_5 Depth=1
                                        ; =>  This Inner Loop Header: Depth=2
	ds_read_b128 v[96:99], v9
	ds_read_b128 v[100:103], v9 offset:16
	ds_read_b32 v15, v8
	ds_read_b32 v63, v10
	ds_read2_b32 v[104:105], v14 offset1:1
	v_mov_b32_e32 v69, 0
	v_mov_b32_e32 v73, 0
	;; [unrolled: 1-line block ×3, first 2 shown]
	s_waitcnt lgkmcnt(1)
	v_pk_mul_f16 v63, v15, v63
	s_waitcnt lgkmcnt(0)
	v_and_b32_e32 v65, 0xf0f0f0f, v104
	v_lshrrev_b32_e32 v67, 4, v104
	v_and_b32_e32 v67, 0xf0f0f0f, v67
	v_dot4c_i32_i8_e32 v69, v65, v96
	v_dot4c_i32_i8_e32 v69, v67, v100
	v_and_b32_e32 v65, 0xf0f0f0f, v105
	v_lshrrev_b32_e32 v67, 4, v105
	ds_read2_b32 v[104:105], v14 offset0:2 offset1:3
	v_and_b32_e32 v67, 0xf0f0f0f, v67
	v_dot4c_i32_i8_e32 v69, v65, v97
	v_dot4c_i32_i8_e32 v69, v67, v101
	v_cvt_f32_f16_sdwa v106, v63 dst_sel:DWORD dst_unused:UNUSED_PAD src0_sel:WORD_1
	s_waitcnt lgkmcnt(0)
	v_and_b32_e32 v65, 0xf0f0f0f, v104
	v_lshrrev_b32_e32 v67, 4, v104
	v_and_b32_e32 v67, 0xf0f0f0f, v67
	v_dot4c_i32_i8_e32 v69, v65, v98
	v_dot4c_i32_i8_e32 v69, v67, v102
	v_and_b32_e32 v65, 0xf0f0f0f, v105
	v_lshrrev_b32_e32 v67, 4, v105
	v_and_b32_e32 v67, 0xf0f0f0f, v67
	v_dot4c_i32_i8_e32 v69, v65, v99
	v_dot4c_i32_i8_e32 v69, v67, v103
	v_add_u32_e32 v65, 0x1080, v14
	ds_read_b32 v67, v11
	ds_read2_b32 v[104:105], v65 offset1:1
	s_add_i32 s2, s2, 4
	v_add_u32_e32 v11, 4, v11
	v_add_u32_e32 v10, 4, v10
	;; [unrolled: 1-line block ×3, first 2 shown]
	s_waitcnt lgkmcnt(0)
	v_and_b32_e32 v65, 0xf0f0f0f, v104
	v_lshrrev_b32_e32 v71, 4, v104
	v_and_b32_e32 v71, 0xf0f0f0f, v71
	v_dot4c_i32_i8_e32 v73, v65, v96
	v_dot4c_i32_i8_e32 v73, v71, v100
	v_and_b32_e32 v65, 0xf0f0f0f, v105
	v_dot4c_i32_i8_e32 v73, v65, v97
	v_add_u32_e32 v65, 0x1088, v14
	v_lshrrev_b32_e32 v71, 4, v105
	ds_read2_b32 v[104:105], v65 offset1:1
	v_and_b32_e32 v71, 0xf0f0f0f, v71
	v_dot4c_i32_i8_e32 v73, v71, v101
	v_add_u32_e32 v8, 4, v8
	s_cmp_lt_u32 s2, 28
	s_waitcnt lgkmcnt(0)
	v_and_b32_e32 v65, 0xf0f0f0f, v104
	v_lshrrev_b32_e32 v71, 4, v104
	v_and_b32_e32 v71, 0xf0f0f0f, v71
	v_dot4c_i32_i8_e32 v73, v65, v98
	v_dot4c_i32_i8_e32 v73, v71, v102
	v_and_b32_e32 v65, 0xf0f0f0f, v105
	v_dot4c_i32_i8_e32 v73, v65, v99
	v_pk_mul_f16 v65, v15, v67
	v_lshrrev_b32_e32 v71, 4, v105
	v_cvt_f32_f16_e32 v105, v65
	v_cvt_f32_f16_e32 v104, v63
	v_cvt_f32_f16_sdwa v107, v65 dst_sel:DWORD dst_unused:UNUSED_PAD src0_sel:WORD_1
	v_add_u32_e32 v63, 0x2100, v14
	ds_read_b32 v65, v12
	ds_read2_b32 v[108:109], v63 offset1:1
	v_and_b32_e32 v71, 0xf0f0f0f, v71
	v_dot4c_i32_i8_e32 v73, v71, v103
	v_mov_b32_e32 v71, 0
	v_add_u32_e32 v12, 4, v12
	s_waitcnt lgkmcnt(0)
	v_and_b32_e32 v63, 0xf0f0f0f, v108
	v_lshrrev_b32_e32 v67, 4, v108
	v_and_b32_e32 v67, 0xf0f0f0f, v67
	v_dot4c_i32_i8_e32 v71, v63, v96
	v_dot4c_i32_i8_e32 v71, v67, v100
	v_and_b32_e32 v63, 0xf0f0f0f, v109
	v_dot4c_i32_i8_e32 v71, v63, v97
	v_add_u32_e32 v63, 0x2108, v14
	v_lshrrev_b32_e32 v67, 4, v109
	ds_read2_b32 v[108:109], v63 offset1:1
	v_and_b32_e32 v67, 0xf0f0f0f, v67
	v_dot4c_i32_i8_e32 v71, v67, v101
	s_waitcnt lgkmcnt(0)
	v_and_b32_e32 v63, 0xf0f0f0f, v108
	v_lshrrev_b32_e32 v67, 4, v108
	v_and_b32_e32 v67, 0xf0f0f0f, v67
	v_dot4c_i32_i8_e32 v71, v63, v98
	v_dot4c_i32_i8_e32 v71, v67, v102
	v_and_b32_e32 v63, 0xf0f0f0f, v109
	v_lshrrev_b32_e32 v67, 4, v109
	v_and_b32_e32 v67, 0xf0f0f0f, v67
	v_dot4c_i32_i8_e32 v71, v63, v99
	v_dot4c_i32_i8_e32 v71, v67, v103
	v_pk_mul_f16 v63, v15, v65
	v_add_u32_e32 v65, 0x3180, v14
	ds_read_b32 v67, v13
	ds_read2_b32 v[108:109], v65 offset1:1
	v_add_u32_e32 v13, 4, v13
	s_waitcnt lgkmcnt(1)
	v_pk_mul_f16 v15, v15, v67
	s_waitcnt lgkmcnt(0)
	v_and_b32_e32 v65, 0xf0f0f0f, v108
	v_lshrrev_b32_e32 v75, 4, v108
	v_and_b32_e32 v75, 0xf0f0f0f, v75
	v_dot4c_i32_i8_e32 v77, v65, v96
	v_dot4c_i32_i8_e32 v77, v75, v100
	v_and_b32_e32 v65, 0xf0f0f0f, v109
	v_dot4c_i32_i8_e32 v77, v65, v97
	v_add_u32_e32 v65, 0x3188, v14
	ds_read2_b32 v[96:97], v65 offset1:1
	v_lshrrev_b32_e32 v75, 4, v109
	v_and_b32_e32 v75, 0xf0f0f0f, v75
	v_dot4c_i32_i8_e32 v77, v75, v101
	v_cvt_f32_i32_e32 v100, v71
	s_waitcnt lgkmcnt(0)
	v_and_b32_e32 v65, 0xf0f0f0f, v96
	v_lshrrev_b32_e32 v75, 4, v96
	v_and_b32_e32 v75, 0xf0f0f0f, v75
	v_dot4c_i32_i8_e32 v77, v65, v98
	v_dot4c_i32_i8_e32 v77, v75, v102
	v_and_b32_e32 v65, 0xf0f0f0f, v97
	v_lshrrev_b32_e32 v75, 4, v97
	v_and_b32_e32 v75, 0xf0f0f0f, v75
	v_dot4c_i32_i8_e32 v77, v65, v99
	v_dot4c_i32_i8_e32 v77, v75, v103
	v_cvt_f32_f16_e32 v97, v15
	v_cvt_f32_f16_e32 v96, v63
	v_cvt_f32_f16_sdwa v99, v15 dst_sel:DWORD dst_unused:UNUSED_PAD src0_sel:WORD_1
	v_cvt_f32_f16_sdwa v98, v63 dst_sel:DWORD dst_unused:UNUSED_PAD src0_sel:WORD_1
	v_cvt_f32_i32_e32 v101, v77
	v_cvt_f32_i32_e32 v102, v69
	;; [unrolled: 1-line block ×3, first 2 shown]
	v_add_u32_e32 v14, 16, v14
	v_pk_fma_f32 v[96:97], v[96:97], v[100:101], v[98:99]
	v_pk_fma_f32 v[102:103], v[104:105], v[102:103], v[106:107]
	v_pk_add_f32 v[6:7], v[6:7], v[96:97]
	v_pk_add_f32 v[4:5], v[4:5], v[102:103]
	s_cbranch_scc1 .LBB200_19
; %bb.20:                               ;   in Loop: Header=BB200_5 Depth=1
	s_barrier
	s_branch .LBB200_4
.LBB200_21:
	v_mov_b32_e32 v4, v3
	v_mov_b32_e32 v5, v3
	;; [unrolled: 1-line block ×3, first 2 shown]
	v_mov_b64_e32 v[6:7], v[4:5]
	v_mov_b64_e32 v[4:5], v[2:3]
.LBB200_22:
	s_mul_i32 s0, s10, s7
	s_waitcnt vmcnt(0)
	v_cmp_gt_i32_e32 vcc, s0, v1
	s_and_saveexec_b64 s[0:1], vcc
	s_cbranch_execz .LBB200_31
; %bb.23:
	v_and_b32_e32 v0, 0x3ff, v0
	v_add_u32_e32 v2, s11, v0
	v_mul_lo_u32 v0, v1, s9
	v_cmp_gt_u32_e32 vcc, s9, v2
	s_and_saveexec_b64 s[0:1], vcc
	s_cbranch_execz .LBB200_25
; %bb.24:
	v_cvt_f16_f32_e32 v1, v4
	v_add_u32_e32 v8, v0, v2
	v_mov_b32_e32 v9, 0
	v_lshl_add_u64 v[8:9], v[8:9], 1, s[16:17]
	global_store_short v[8:9], v1, off
.LBB200_25:
	s_or_b64 exec, exec, s[0:1]
	v_add_u32_e32 v1, 32, v2
	v_cmp_gt_u32_e32 vcc, s9, v1
	s_and_saveexec_b64 s[0:1], vcc
	s_cbranch_execz .LBB200_27
; %bb.26:
	v_cvt_f16_f32_e32 v3, v5
	v_add_u32_e32 v4, v0, v1
	v_mov_b32_e32 v5, 0
	v_lshl_add_u64 v[4:5], v[4:5], 1, s[16:17]
	global_store_short v[4:5], v3, off
.LBB200_27:
	s_or_b64 exec, exec, s[0:1]
	v_add_u32_e32 v1, 64, v2
	;; [unrolled: 12-line block ×3, first 2 shown]
	v_cmp_gt_u32_e32 vcc, s9, v1
	s_and_b64 exec, exec, vcc
	s_cbranch_execz .LBB200_31
; %bb.30:
	v_cvt_f16_f32_e32 v2, v7
	v_add_u32_e32 v0, v0, v1
	v_mov_b32_e32 v1, 0
	v_lshl_add_u64 v[0:1], v[0:1], 1, s[16:17]
	global_store_short v[0:1], v2, off
.LBB200_31:
	s_endpgm
	.section	.rodata,"a",@progbits
	.p2align	6, 0x0
	.amdhsa_kernel _ZL8moe_q4_1IN3c104HalfELb1EEvPKvS3_PT_PKiS7_S7_iiiiiii
		.amdhsa_group_segment_fixed_size 22272
		.amdhsa_private_segment_fixed_size 0
		.amdhsa_kernarg_size 76
		.amdhsa_user_sgpr_count 2
		.amdhsa_user_sgpr_dispatch_ptr 0
		.amdhsa_user_sgpr_queue_ptr 0
		.amdhsa_user_sgpr_kernarg_segment_ptr 1
		.amdhsa_user_sgpr_dispatch_id 0
		.amdhsa_user_sgpr_kernarg_preload_length 0
		.amdhsa_user_sgpr_kernarg_preload_offset 0
		.amdhsa_user_sgpr_private_segment_size 0
		.amdhsa_uses_dynamic_stack 0
		.amdhsa_enable_private_segment 0
		.amdhsa_system_sgpr_workgroup_id_x 1
		.amdhsa_system_sgpr_workgroup_id_y 1
		.amdhsa_system_sgpr_workgroup_id_z 0
		.amdhsa_system_sgpr_workgroup_info 0
		.amdhsa_system_vgpr_workitem_id 1
		.amdhsa_next_free_vgpr 110
		.amdhsa_next_free_sgpr 75
		.amdhsa_accum_offset 112
		.amdhsa_reserve_vcc 1
		.amdhsa_float_round_mode_32 0
		.amdhsa_float_round_mode_16_64 0
		.amdhsa_float_denorm_mode_32 3
		.amdhsa_float_denorm_mode_16_64 3
		.amdhsa_dx10_clamp 1
		.amdhsa_ieee_mode 1
		.amdhsa_fp16_overflow 0
		.amdhsa_tg_split 0
		.amdhsa_exception_fp_ieee_invalid_op 0
		.amdhsa_exception_fp_denorm_src 0
		.amdhsa_exception_fp_ieee_div_zero 0
		.amdhsa_exception_fp_ieee_overflow 0
		.amdhsa_exception_fp_ieee_underflow 0
		.amdhsa_exception_fp_ieee_inexact 0
		.amdhsa_exception_int_div_zero 0
	.end_amdhsa_kernel
	.section	.text._ZL8moe_q4_1IN3c104HalfELb1EEvPKvS3_PT_PKiS7_S7_iiiiiii,"axG",@progbits,_ZL8moe_q4_1IN3c104HalfELb1EEvPKvS3_PT_PKiS7_S7_iiiiiii,comdat
.Lfunc_end200:
	.size	_ZL8moe_q4_1IN3c104HalfELb1EEvPKvS3_PT_PKiS7_S7_iiiiiii, .Lfunc_end200-_ZL8moe_q4_1IN3c104HalfELb1EEvPKvS3_PT_PKiS7_S7_iiiiiii
                                        ; -- End function
	.set _ZL8moe_q4_1IN3c104HalfELb1EEvPKvS3_PT_PKiS7_S7_iiiiiii.num_vgpr, 110
	.set _ZL8moe_q4_1IN3c104HalfELb1EEvPKvS3_PT_PKiS7_S7_iiiiiii.num_agpr, 0
	.set _ZL8moe_q4_1IN3c104HalfELb1EEvPKvS3_PT_PKiS7_S7_iiiiiii.numbered_sgpr, 23
	.set _ZL8moe_q4_1IN3c104HalfELb1EEvPKvS3_PT_PKiS7_S7_iiiiiii.num_named_barrier, 0
	.set _ZL8moe_q4_1IN3c104HalfELb1EEvPKvS3_PT_PKiS7_S7_iiiiiii.private_seg_size, 0
	.set _ZL8moe_q4_1IN3c104HalfELb1EEvPKvS3_PT_PKiS7_S7_iiiiiii.uses_vcc, 1
	.set _ZL8moe_q4_1IN3c104HalfELb1EEvPKvS3_PT_PKiS7_S7_iiiiiii.uses_flat_scratch, 0
	.set _ZL8moe_q4_1IN3c104HalfELb1EEvPKvS3_PT_PKiS7_S7_iiiiiii.has_dyn_sized_stack, 0
	.set _ZL8moe_q4_1IN3c104HalfELb1EEvPKvS3_PT_PKiS7_S7_iiiiiii.has_recursion, 0
	.set _ZL8moe_q4_1IN3c104HalfELb1EEvPKvS3_PT_PKiS7_S7_iiiiiii.has_indirect_call, 0
	.section	.AMDGPU.csdata,"",@progbits
; Kernel info:
; codeLenInByte = 4344
; TotalNumSgprs: 29
; NumVgprs: 110
; NumAgprs: 0
; TotalNumVgprs: 110
; ScratchSize: 0
; MemoryBound: 0
; FloatMode: 240
; IeeeMode: 1
; LDSByteSize: 22272 bytes/workgroup (compile time only)
; SGPRBlocks: 10
; VGPRBlocks: 13
; NumSGPRsForWavesPerEU: 81
; NumVGPRsForWavesPerEU: 110
; AccumOffset: 112
; Occupancy: 4
; WaveLimiterHint : 1
; COMPUTE_PGM_RSRC2:SCRATCH_EN: 0
; COMPUTE_PGM_RSRC2:USER_SGPR: 2
; COMPUTE_PGM_RSRC2:TRAP_HANDLER: 0
; COMPUTE_PGM_RSRC2:TGID_X_EN: 1
; COMPUTE_PGM_RSRC2:TGID_Y_EN: 1
; COMPUTE_PGM_RSRC2:TGID_Z_EN: 0
; COMPUTE_PGM_RSRC2:TIDIG_COMP_CNT: 1
; COMPUTE_PGM_RSRC3_GFX90A:ACCUM_OFFSET: 27
; COMPUTE_PGM_RSRC3_GFX90A:TG_SPLIT: 0
	.section	.text._ZL8moe_q5_0IN3c104HalfELb0EEvPKvS3_PT_PKiS7_S7_iiiiiii,"axG",@progbits,_ZL8moe_q5_0IN3c104HalfELb0EEvPKvS3_PT_PKiS7_S7_iiiiiii,comdat
	.globl	_ZL8moe_q5_0IN3c104HalfELb0EEvPKvS3_PT_PKiS7_S7_iiiiiii ; -- Begin function _ZL8moe_q5_0IN3c104HalfELb0EEvPKvS3_PT_PKiS7_S7_iiiiiii
	.p2align	8
	.type	_ZL8moe_q5_0IN3c104HalfELb0EEvPKvS3_PT_PKiS7_S7_iiiiiii,@function
_ZL8moe_q5_0IN3c104HalfELb0EEvPKvS3_PT_PKiS7_S7_iiiiiii: ; @_ZL8moe_q5_0IN3c104HalfELb0EEvPKvS3_PT_PKiS7_S7_iiiiiii
; %bb.0:
	s_load_dwordx4 s[4:7], s[0:1], 0x18
	s_mov_b32 s8, s3
	s_mov_b32 s9, 0
	s_lshl_b64 s[10:11], s[8:9], 2
	s_waitcnt lgkmcnt(0)
	s_add_u32 s6, s6, s10
	s_addc_u32 s7, s7, s11
	s_load_dword s3, s[6:7], 0x0
	s_waitcnt lgkmcnt(0)
	s_cmpk_gt_u32 s3, 0xff
	s_cbranch_scc1 .LBB201_26
; %bb.1:
	s_load_dwordx2 s[6:7], s[0:1], 0x28
	s_waitcnt lgkmcnt(0)
	s_load_dword s7, s[6:7], 0x0
	s_lshl_b32 s6, s8, 3
	s_waitcnt lgkmcnt(0)
	s_cmp_gt_u32 s6, s7
	s_cbranch_scc1 .LBB201_26
; %bb.2:
	v_bfe_u32 v2, v0, 10, 10
	v_mov_b32_e32 v4, s4
	v_mov_b32_e32 v5, s5
	v_add_u32_e32 v78, s6, v2
	v_mov_b32_e32 v79, 0
	v_lshl_add_u64 v[4:5], v[78:79], 2, v[4:5]
	global_load_dword v1, v[4:5], off
	s_load_dwordx2 s[14:15], s[0:1], 0x30
	s_load_dwordx2 s[12:13], s[0:1], 0x10
	s_load_dwordx4 s[4:7], s[0:1], 0x3c
	s_lshl_b32 s24, s2, 7
	v_mov_b32_e32 v78, v79
	s_waitcnt lgkmcnt(0)
	s_cmp_lt_i32 s15, 32
	v_mov_b32_e32 v105, v79
	v_mov_b32_e32 v104, v79
	s_cbranch_scc1 .LBB201_17
; %bb.3:
	s_load_dwordx4 s[8:11], s[0:1], 0x0
	s_ashr_i32 s0, s15, 31
	s_ashr_i32 s1, s5, 31
	s_lshr_b32 s0, s0, 27
	s_lshr_b32 s1, s1, 27
	s_add_i32 s0, s15, s0
	s_add_i32 s1, s5, s1
	v_and_b32_e32 v22, 0x3ff, v0
	s_ashr_i32 s25, s0, 5
	s_ashr_i32 s5, s1, 5
	v_lshlrev_b32_e32 v4, 3, v22
	s_movk_i32 s1, 0x104
	v_mul_lo_u32 v9, s25, v2
	v_mad_u32_u24 v112, v2, s1, v4
	s_lshl_b32 s1, s25, 3
	v_add_u32_e32 v10, s1, v9
	v_add_u32_e32 v11, s1, v10
	;; [unrolled: 1-line block ×13, first 2 shown]
	v_bfe_u32 v128, v0, 3, 7
	v_add_u32_e32 v79, s1, v78
	v_and_b32_e32 v102, 7, v0
	v_lshl_add_u32 v4, v2, 2, v128
	v_add_u32_e32 v92, s1, v79
	v_and_b32_e32 v5, 0x1ffc, v4
	v_lshlrev_b32_e32 v6, 2, v102
	s_mov_b32 s1, 0x8200
	v_add3_u32 v104, v5, v6, s1
	v_add_u32_e32 v5, 32, v4
	v_and_b32_e32 v7, 0x3ffc, v5
	v_lshlrev_b32_e32 v107, 5, v5
	v_add_u32_e32 v5, 64, v4
	v_mul_lo_u32 v96, s25, v4
	v_lshlrev_b32_e32 v105, 5, v4
	v_add3_u32 v106, v7, v6, s1
	v_and_b32_e32 v7, 0x3ffc, v5
	v_add_u32_e32 v4, 0x60, v4
	v_add3_u32 v108, v7, v6, s1
	v_lshlrev_b32_e32 v109, 5, v5
	v_and_b32_e32 v5, 0x3ffc, v4
	v_mov_b32_e32 v7, 0x9280
	s_mul_i32 s16, s3, s14
	v_add3_u32 v110, v5, v6, s1
	v_and_b32_e32 v6, 31, v0
	v_lshl_add_u32 v129, v2, 7, v7
	s_abs_i32 s3, s7
	v_lshl_or_b32 v130, v6, 2, v129
	v_mov_b32_e32 v6, 0x9680
	v_cvt_f32_u32_e32 v7, s3
	v_lshlrev_b32_e32 v3, 2, v22
	v_lshl_add_u32 v131, v2, 4, v6
	v_and_b32_e32 v24, 12, v3
	v_lshlrev_b32_e32 v111, 5, v4
	v_and_b32_e32 v4, 28, v3
	v_add_u32_e32 v132, v131, v3
	v_and_b32_e32 v2, 0xfc, v0
	v_lshlrev_b32_e32 v3, 5, v22
	v_add3_u32 v134, v3, v2, s1
	v_add_u32_e32 v2, 32, v22
	v_and_b32_e32 v3, 0x1fc, v2
	v_lshlrev_b32_e32 v6, 5, v2
	v_lshrrev_b32_e32 v138, 3, v2
	v_rcp_iflag_f32_e32 v2, v7
	s_andn2_b32 s0, s0, 31
	v_add_u32_e32 v98, s0, v96
	v_add3_u32 v135, v6, v3, s1
	v_mul_f32_e32 v2, 0x4f7ffffe, v2
	v_cvt_u32_f32_e32 v2, v2
	v_add_u32_e32 v3, 64, v22
	v_add_u32_e32 v100, s0, v98
	v_and_b32_e32 v6, 0x1fc, v3
	v_lshlrev_b32_e32 v3, 5, v3
	v_add_u32_e32 v103, s0, v100
	v_add3_u32 v136, v3, v6, s1
	v_add_u32_e32 v3, 0x60, v22
	s_sub_i32 s0, 0, s3
	v_and_b32_e32 v6, 0x1fc, v3
	v_lshlrev_b32_e32 v3, 5, v3
	v_mul_lo_u32 v7, s0, v2
	v_add3_u32 v137, v3, v6, s1
	s_waitcnt vmcnt(0)
	v_sub_u32_e32 v6, 0, v1
	v_mul_hi_u32 v7, v2, v7
	v_max_i32_e32 v6, v1, v6
	v_add_u32_e32 v2, v2, v7
	v_mul_hi_u32 v2, v6, v2
	v_mul_lo_u32 v7, v2, s3
	v_sub_u32_e32 v6, v6, v7
	v_add_u32_e32 v7, 1, v2
	v_cmp_le_u32_e64 s[0:1], s3, v6
	v_xor_b32_e32 v3, s7, v1
	v_ashrrev_i32_e32 v3, 31, v3
	v_cndmask_b32_e64 v2, v2, v7, s[0:1]
	v_subrev_u32_e32 v7, s3, v6
	v_cndmask_b32_e64 v6, v6, v7, s[0:1]
	v_add_u32_e32 v7, 1, v2
	v_cmp_le_u32_e64 s[0:1], s3, v6
	v_mov_b32_e32 v25, 0
	v_mov_b32_e32 v5, v25
	v_cndmask_b32_e64 v2, v2, v7, s[0:1]
	v_xor_b32_e32 v2, v2, v3
	v_sub_u32_e32 v2, v2, v3
	v_cmp_gt_i32_e64 s[0:1], s4, v2
	v_mul_lo_u32 v2, v2, s5
	v_ashrrev_i32_e32 v3, 31, v2
	v_mov_b32_e32 v23, v25
	s_waitcnt lgkmcnt(0)
	v_lshl_add_u64 v[26:27], s[10:11], 0, v[4:5]
	v_lshl_add_u64 v[4:5], v[2:3], 0, v[22:23]
	v_mad_u64_u32 v[6:7], s[20:21], v4, 36, s[10:11]
	s_mul_i32 s2, s25, s24
	v_mad_i32_i24 v7, v5, 36, v7
	s_mov_b64 s[20:21], 0x90
	v_lshl_add_u64 v[28:29], v[6:7], 0, s[20:21]
	s_mul_hi_i32 s3, s2, 22
	s_mul_i32 s20, s2, 22
	v_bfe_u32 v8, v0, 2, 8
	v_add_u32_e32 v139, v138, v2
	v_add_u32_e32 v140, v128, v2
	;; [unrolled: 1-line block ×3, first 2 shown]
	v_mov_b32_e32 v2, s20
	v_mov_b32_e32 v3, s3
	v_mad_u64_u32 v[2:3], s[20:21], v8, 22, v[2:3]
	v_mad_u64_u32 v[4:5], s[20:21], v9, 22, v[2:3]
	v_lshl_add_u64 v[6:7], v[4:5], 0, v[24:25]
	v_lshl_add_u64 v[6:7], s[8:9], 0, v[6:7]
	v_lshl_add_u64 v[32:33], s[8:9], 0, v[4:5]
	v_mad_u64_u32 v[4:5], s[20:21], v10, 22, v[2:3]
	v_lshl_add_u64 v[30:31], v[6:7], 0, 6
	v_lshl_add_u64 v[6:7], v[4:5], 0, v[24:25]
	v_lshl_add_u64 v[4:5], s[8:9], 0, v[4:5]
	v_lshl_add_u64 v[6:7], s[8:9], 0, v[6:7]
	v_lshl_add_u64 v[36:37], v[4:5], 0, 2
	v_mad_u64_u32 v[4:5], s[20:21], v11, 22, v[2:3]
	v_lshl_add_u64 v[34:35], v[6:7], 0, 6
	v_lshl_add_u64 v[6:7], v[4:5], 0, v[24:25]
	;; [unrolled: 6-line block ×14, first 2 shown]
	v_lshl_add_u64 v[4:5], s[8:9], 0, v[4:5]
	v_mad_u64_u32 v[2:3], s[20:21], v92, 22, v[2:3]
	v_lshl_add_u64 v[90:91], v[4:5], 0, 2
	v_lshl_add_u64 v[4:5], v[2:3], 0, v[24:25]
	;; [unrolled: 1-line block ×4, first 2 shown]
	v_mad_u64_u32 v[2:3], s[20:21], v96, 22, 0
	v_mad_i64_i32 v[2:3], s[20:21], s2, 22, v[2:3]
	v_mad_u64_u32 v[2:3], s[20:21], v102, 22, v[2:3]
	v_lshl_add_u64 v[96:97], s[8:9], 0, v[2:3]
	v_mad_u64_u32 v[2:3], s[20:21], v98, 22, 0
	v_mad_i64_i32 v[2:3], s[20:21], s2, 22, v[2:3]
	v_mad_u64_u32 v[2:3], s[20:21], v102, 22, v[2:3]
	v_lshl_add_u64 v[98:99], s[8:9], 0, v[2:3]
	;; [unrolled: 4-line block ×3, first 2 shown]
	v_mad_u64_u32 v[2:3], s[20:21], v103, 22, 0
	v_mad_i64_i32 v[2:3], s[2:3], s2, 22, v[2:3]
	v_cmp_gt_u32_e32 vcc, 4, v22
	v_lshl_add_u64 v[6:7], s[8:9], 0, v[6:7]
	v_lshl_add_u64 v[4:5], s[8:9], 0, v[4:5]
	v_mad_u64_u32 v[2:3], s[2:3], v102, 22, v[2:3]
	s_ashr_i32 s17, s16, 31
	v_add_u32_e32 v113, 0x820, v112
	v_add_u32_e32 v114, 0x1040, v112
	;; [unrolled: 1-line block ×15, first 2 shown]
	v_mul_u32_u24_e32 v133, 0x104, v22
	s_mov_b32 s14, 0
	s_and_b64 s[18:19], vcc, s[0:1]
	v_lshl_add_u64 v[88:89], v[6:7], 0, 6
	v_lshl_add_u64 v[92:93], v[4:5], 0, 6
	;; [unrolled: 1-line block ×3, first 2 shown]
	s_movk_i32 s26, 0x80
	s_movk_i32 s27, 0x1f00
	s_mov_b32 s28, 0xc0c0105
	v_add_u32_e32 v141, v104, v105
	v_add_u32_e32 v142, v106, v107
	;; [unrolled: 1-line block ×4, first 2 shown]
	s_mov_b64 s[8:9], 0x120
	s_mov_b64 s[20:21], 0xb0
	v_mov_b32_e32 v145, 8
	v_mov_b32_e32 v104, v25
	;; [unrolled: 1-line block ×5, first 2 shown]
	s_branch .LBB201_6
.LBB201_4:                              ;   in Loop: Header=BB201_6 Depth=1
	s_or_b64 exec, exec, s[22:23]
	s_waitcnt lgkmcnt(0)
	s_barrier
	ds_read_b128 v[14:17], v129
	ds_read_b128 v[18:21], v129 offset:16
	ds_read2_b32 v[106:107], v133 offset0:32 offset1:33
	ds_read_b128 v[2:5], v129 offset:32
	ds_read_b128 v[6:9], v129 offset:48
	ds_read_b128 v[10:13], v131
	ds_read2_b32 v[110:111], v133 offset0:34 offset1:35
	v_mov_b32_e32 v25, 0
	s_waitcnt lgkmcnt(4)
	v_dot4c_i32_i8_e32 v25, v106, v14
	v_dot4c_i32_i8_e32 v25, v107, v18
	ds_read2_b32 v[106:107], v133 offset0:36 offset1:37
	ds_read2_b32 v[146:147], v133 offset0:38 offset1:39
	;; [unrolled: 1-line block ×3, first 2 shown]
	s_waitcnt lgkmcnt(3)
	v_dot4c_i32_i8_e32 v25, v110, v15
	v_dot4c_i32_i8_e32 v25, v111, v19
	s_waitcnt lgkmcnt(2)
	v_dot4c_i32_i8_e32 v25, v106, v16
	v_add_u32_e32 v106, 0x2100, v133
	v_dot4c_i32_i8_e32 v25, v107, v20
	ds_read2_b32 v[148:149], v106 offset1:1
	s_waitcnt lgkmcnt(2)
	v_dot4c_i32_i8_e32 v25, v146, v17
	v_add_u32_e32 v146, 0x2108, v133
	v_dot4c_i32_i8_e32 v25, v147, v21
	ds_read2_b32 v[106:107], v137 offset0:4 offset1:5
	ds_read2_b32 v[110:111], v137 offset0:6 offset1:7
	ds_read2_b32 v[146:147], v146 offset1:1
	v_mov_b32_e32 v156, 0
	s_waitcnt lgkmcnt(3)
	v_dot4c_i32_i8_e32 v156, v148, v14
	v_add_u32_e32 v148, 0x2110, v133
	v_add_u32_e32 v150, 0x2118, v133
	;; [unrolled: 1-line block ×3, first 2 shown]
	v_dot4c_i32_i8_e32 v156, v149, v18
	ds_read2_b32 v[148:149], v148 offset1:1
	ds_read2_b32 v[150:151], v150 offset1:1
	;; [unrolled: 1-line block ×3, first 2 shown]
	s_waitcnt lgkmcnt(3)
	v_dot4c_i32_i8_e32 v156, v146, v15
	v_dot4c_i32_i8_e32 v156, v147, v19
	s_waitcnt lgkmcnt(2)
	v_dot4c_i32_i8_e32 v156, v148, v16
	v_dot4c_i32_i8_e32 v156, v149, v20
	v_mov_b32_e32 v157, 0
	s_waitcnt lgkmcnt(1)
	v_dot4c_i32_i8_e32 v156, v150, v17
	s_waitcnt lgkmcnt(0)
	v_dot4c_i32_i8_e32 v157, v152, v14
	v_add_u32_e32 v148, 0x4188, v133
	v_add_u32_e32 v150, 0x4190, v133
	v_add_u32_e32 v152, 0x4198, v133
	v_add_u32_e32 v154, 0x6200, v133
	v_dot4c_i32_i8_e32 v156, v151, v21
	ds_read2_b32 v[146:147], v136 offset0:4 offset1:5
	ds_read2_b32 v[148:149], v148 offset1:1
	v_dot4c_i32_i8_e32 v157, v153, v18
	ds_read2_b32 v[150:151], v150 offset1:1
	ds_read2_b32 v[152:153], v152 offset1:1
	;; [unrolled: 1-line block ×3, first 2 shown]
	v_mov_b32_e32 v158, 0
	v_mov_b32_e32 v159, 0
	s_waitcnt lgkmcnt(3)
	v_dot4c_i32_i8_e32 v157, v148, v15
	v_dot4c_i32_i8_e32 v157, v149, v19
	s_waitcnt lgkmcnt(0)
	v_dot4c_i32_i8_e32 v158, v154, v14
	v_add_u32_e32 v14, 0x6208, v133
	ds_read2_b32 v[148:149], v14 offset1:1
	v_dot4c_i32_i8_e32 v157, v150, v16
	v_dot4c_i32_i8_e32 v157, v151, v20
	;; [unrolled: 1-line block ×3, first 2 shown]
	v_add_u32_e32 v14, 0x6210, v133
	v_add_u32_e32 v154, 0x2120, v133
	v_dot4c_i32_i8_e32 v157, v153, v21
	v_dot4c_i32_i8_e32 v158, v155, v18
	v_add_u32_e32 v18, 0x6218, v133
	ds_read2_b32 v[150:151], v14 offset1:1
	ds_read2_b32 v[152:153], v18 offset1:1
	;; [unrolled: 1-line block ×3, first 2 shown]
	s_waitcnt lgkmcnt(3)
	v_dot4c_i32_i8_e32 v158, v148, v15
	v_dot4c_i32_i8_e32 v158, v149, v19
	ds_read2_b32 v[14:15], v133 offset0:42 offset1:43
	s_waitcnt lgkmcnt(3)
	v_dot4c_i32_i8_e32 v158, v150, v16
	v_dot4c_i32_i8_e32 v158, v151, v20
	s_waitcnt lgkmcnt(2)
	v_dot4c_i32_i8_e32 v158, v152, v17
	v_dot4c_i32_i8_e32 v159, v108, v2
	;; [unrolled: 1-line block ×4, first 2 shown]
	ds_read2_b32 v[16:17], v133 offset0:44 offset1:45
	ds_read2_b32 v[18:19], v133 offset0:46 offset1:47
	;; [unrolled: 1-line block ×3, first 2 shown]
	s_waitcnt lgkmcnt(3)
	v_dot4c_i32_i8_e32 v159, v14, v3
	v_add_u32_e32 v14, 0x2128, v133
	v_dot4c_i32_i8_e32 v159, v15, v7
	ds_read2_b32 v[14:15], v14 offset1:1
	s_waitcnt lgkmcnt(3)
	v_dot4c_i32_i8_e32 v159, v16, v4
	v_dot4c_i32_i8_e32 v159, v17, v8
	v_mov_b32_e32 v160, 0
	s_waitcnt lgkmcnt(2)
	v_dot4c_i32_i8_e32 v159, v18, v5
	v_dot4c_i32_i8_e32 v160, v154, v2
	v_add_u32_e32 v16, 0x2130, v133
	v_add_u32_e32 v18, 0x2138, v133
	;; [unrolled: 1-line block ×3, first 2 shown]
	v_dot4c_i32_i8_e32 v159, v19, v9
	v_dot4c_i32_i8_e32 v160, v155, v6
	ds_read2_b32 v[16:17], v16 offset1:1
	ds_read2_b32 v[18:19], v18 offset1:1
	;; [unrolled: 1-line block ×3, first 2 shown]
	s_waitcnt lgkmcnt(3)
	v_dot4c_i32_i8_e32 v160, v14, v3
	v_add_u32_e32 v14, 0x41a8, v133
	v_dot4c_i32_i8_e32 v160, v15, v7
	ds_read2_b32 v[14:15], v14 offset1:1
	s_waitcnt lgkmcnt(3)
	v_dot4c_i32_i8_e32 v160, v16, v4
	v_dot4c_i32_i8_e32 v160, v17, v8
	v_mov_b32_e32 v148, 0
	s_waitcnt lgkmcnt(2)
	v_dot4c_i32_i8_e32 v160, v18, v5
	s_waitcnt lgkmcnt(1)
	v_dot4c_i32_i8_e32 v148, v108, v2
	v_add_u32_e32 v16, 0x41b0, v133
	v_add_u32_e32 v18, 0x41b8, v133
	;; [unrolled: 1-line block ×3, first 2 shown]
	v_dot4c_i32_i8_e32 v160, v19, v9
	v_dot4c_i32_i8_e32 v148, v109, v6
	ds_read2_b32 v[16:17], v16 offset1:1
	ds_read2_b32 v[18:19], v18 offset1:1
	;; [unrolled: 1-line block ×3, first 2 shown]
	s_waitcnt lgkmcnt(3)
	v_dot4c_i32_i8_e32 v148, v14, v3
	v_dot4c_i32_i8_e32 v148, v15, v7
	s_waitcnt lgkmcnt(2)
	v_dot4c_i32_i8_e32 v148, v16, v4
	v_dot4c_i32_i8_e32 v148, v17, v8
	;; [unrolled: 3-line block ×3, first 2 shown]
	v_cvt_f32_i32_e32 v157, v157
	v_mov_b32_e32 v167, 0
	s_nop 0
	v_cvt_f32_i32_e32 v150, v148
	v_mov_b32_e32 v148, 0
	s_waitcnt lgkmcnt(0)
	v_dot4c_i32_i8_e32 v148, v108, v2
	v_add_u32_e32 v2, 0x6228, v133
	ds_read2_b32 v[14:15], v2 offset1:1
	v_add_u32_e32 v2, 0x6230, v133
	v_add_u32_e32 v108, 0x2140, v133
	v_dot4c_i32_i8_e32 v148, v109, v6
	v_add_u32_e32 v6, 0x6238, v133
	ds_read2_b32 v[16:17], v2 offset1:1
	ds_read2_b32 v[18:19], v6 offset1:1
	;; [unrolled: 1-line block ×3, first 2 shown]
	s_waitcnt lgkmcnt(3)
	v_dot4c_i32_i8_e32 v148, v14, v3
	v_dot4c_i32_i8_e32 v148, v15, v7
	s_waitcnt lgkmcnt(2)
	v_dot4c_i32_i8_e32 v148, v16, v4
	v_dot4c_i32_i8_e32 v148, v17, v8
	;; [unrolled: 3-line block ×3, first 2 shown]
	v_cvt_f32_i32_e32 v2, v158
	v_mul_f32_e32 v4, v10, v146
	v_mul_f32_e32 v18, v4, v157
	v_cvt_f32_i32_e32 v3, v148
	v_pk_mul_f32 v[4:5], v[10:11], v[106:107]
	ds_read2_b32 v[14:15], v135 offset0:4 offset1:5
	ds_read2_b32 v[16:17], v135 offset0:6 offset1:7
	v_mul_f32_e32 v19, v11, v147
	v_pk_mul_f32 v[106:107], v[4:5], v[2:3]
	ds_read_b128 v[2:5], v129 offset:64
	ds_read_b128 v[6:9], v129 offset:80
	ds_read2_b32 v[148:149], v136 offset0:6 offset1:7
	v_mul_f32_e32 v146, v19, v150
	ds_read2_b32 v[150:151], v133 offset0:50 offset1:51
	v_mov_b32_e32 v19, 0
	s_waitcnt lgkmcnt(3)
	v_dot4c_i32_i8_e32 v19, v20, v2
	s_waitcnt lgkmcnt(2)
	v_dot4c_i32_i8_e32 v19, v21, v6
	ds_read2_b32 v[20:21], v133 offset0:52 offset1:53
	ds_read2_b32 v[152:153], v133 offset0:54 offset1:55
	;; [unrolled: 1-line block ×3, first 2 shown]
	s_waitcnt lgkmcnt(3)
	v_dot4c_i32_i8_e32 v19, v150, v3
	v_dot4c_i32_i8_e32 v19, v151, v7
	s_waitcnt lgkmcnt(2)
	v_dot4c_i32_i8_e32 v19, v20, v4
	v_add_u32_e32 v20, 0x2148, v133
	v_dot4c_i32_i8_e32 v19, v21, v8
	ds_read2_b32 v[20:21], v20 offset1:1
	v_mov_b32_e32 v147, 0
	s_waitcnt lgkmcnt(2)
	v_dot4c_i32_i8_e32 v19, v152, v5
	v_dot4c_i32_i8_e32 v147, v108, v2
	v_add_u32_e32 v108, 0x2150, v133
	v_add_u32_e32 v150, 0x2158, v133
	;; [unrolled: 1-line block ×3, first 2 shown]
	v_dot4c_i32_i8_e32 v19, v153, v9
	v_dot4c_i32_i8_e32 v147, v109, v6
	ds_read2_b32 v[108:109], v108 offset1:1
	ds_read2_b32 v[150:151], v150 offset1:1
	;; [unrolled: 1-line block ×3, first 2 shown]
	s_waitcnt lgkmcnt(3)
	v_dot4c_i32_i8_e32 v147, v20, v3
	v_dot4c_i32_i8_e32 v147, v21, v7
	s_waitcnt lgkmcnt(2)
	v_dot4c_i32_i8_e32 v147, v108, v4
	v_dot4c_i32_i8_e32 v147, v109, v8
	v_mov_b32_e32 v157, 0
	s_waitcnt lgkmcnt(1)
	v_dot4c_i32_i8_e32 v147, v150, v5
	s_waitcnt lgkmcnt(0)
	v_dot4c_i32_i8_e32 v157, v152, v2
	v_add_u32_e32 v20, 0x41c8, v133
	v_add_u32_e32 v108, 0x41d0, v133
	;; [unrolled: 1-line block ×4, first 2 shown]
	v_dot4c_i32_i8_e32 v147, v151, v9
	v_dot4c_i32_i8_e32 v157, v153, v6
	ds_read2_b32 v[20:21], v20 offset1:1
	ds_read2_b32 v[108:109], v108 offset1:1
	;; [unrolled: 1-line block ×4, first 2 shown]
	v_mov_b32_e32 v163, v14
	s_waitcnt lgkmcnt(3)
	v_dot4c_i32_i8_e32 v157, v20, v3
	s_waitcnt lgkmcnt(0)
	v_dot4c_i32_i8_e32 v167, v152, v2
	v_add_u32_e32 v2, 0x6248, v133
	v_dot4c_i32_i8_e32 v157, v21, v7
	ds_read2_b32 v[20:21], v2 offset1:1
	v_dot4c_i32_i8_e32 v157, v108, v4
	v_dot4c_i32_i8_e32 v157, v109, v8
	;; [unrolled: 1-line block ×3, first 2 shown]
	v_add_u32_e32 v2, 0x6250, v133
	v_add_u32_e32 v152, 0x2160, v133
	v_dot4c_i32_i8_e32 v157, v151, v9
	v_dot4c_i32_i8_e32 v167, v153, v6
	v_add_u32_e32 v6, 0x6258, v133
	ds_read2_b32 v[108:109], v2 offset1:1
	ds_read2_b32 v[150:151], v6 offset1:1
	;; [unrolled: 1-line block ×3, first 2 shown]
	s_waitcnt lgkmcnt(3)
	v_dot4c_i32_i8_e32 v167, v20, v3
	v_dot4c_i32_i8_e32 v167, v21, v7
	s_waitcnt lgkmcnt(2)
	v_dot4c_i32_i8_e32 v167, v108, v4
	v_dot4c_i32_i8_e32 v167, v109, v8
	;; [unrolled: 3-line block ×3, first 2 shown]
	ds_read_b128 v[2:5], v129 offset:96
	ds_read_b128 v[6:9], v129 offset:112
	ds_read2_b32 v[108:109], v134 offset0:4 offset1:5
	v_cvt_f32_i32_e32 v166, v157
	v_cvt_f32_i32_e32 v21, v156
	;; [unrolled: 1-line block ×4, first 2 shown]
	s_waitcnt lgkmcnt(0)
	v_mov_b32_e32 v162, v108
	v_mov_b32_e32 v14, v109
	v_add_u32_e32 v108, 0x2168, v133
	ds_read2_b32 v[156:157], v133 offset0:58 offset1:59
	ds_read2_b32 v[158:159], v133 offset0:60 offset1:61
	;; [unrolled: 1-line block ×4, first 2 shown]
	ds_read2_b32 v[108:109], v108 offset1:1
	v_pk_mul_f32 v[162:163], v[10:11], v[162:163] op_sel_hi:[0,1]
	v_pk_mul_f32 v[10:11], v[10:11], v[14:15] op_sel:[1,0]
	v_cvt_f32_i32_e32 v14, v19
	v_mov_b32_e32 v19, 0
	v_dot4c_i32_i8_e32 v19, v154, v2
	v_cvt_f32_i32_e32 v20, v25
	v_dot4c_i32_i8_e32 v19, v155, v6
	v_mov_b32_e32 v25, 0
	v_cvt_f32_i32_e32 v15, v147
	s_waitcnt lgkmcnt(4)
	v_dot4c_i32_i8_e32 v19, v156, v3
	v_dot4c_i32_i8_e32 v25, v152, v2
	v_add_u32_e32 v147, 0x2170, v133
	v_add_u32_e32 v154, 0x2178, v133
	;; [unrolled: 1-line block ×3, first 2 shown]
	v_dot4c_i32_i8_e32 v19, v157, v7
	v_dot4c_i32_i8_e32 v25, v153, v6
	ds_read2_b32 v[152:153], v147 offset1:1
	ds_read2_b32 v[154:155], v154 offset1:1
	;; [unrolled: 1-line block ×3, first 2 shown]
	s_waitcnt lgkmcnt(3)
	v_dot4c_i32_i8_e32 v25, v108, v3
	v_dot4c_i32_i8_e32 v25, v109, v7
	;; [unrolled: 1-line block ×3, first 2 shown]
	s_waitcnt lgkmcnt(2)
	v_dot4c_i32_i8_e32 v25, v152, v4
	v_dot4c_i32_i8_e32 v19, v159, v8
	;; [unrolled: 1-line block ×4, first 2 shown]
	s_waitcnt lgkmcnt(1)
	v_dot4c_i32_i8_e32 v25, v154, v5
	v_dot4c_i32_i8_e32 v19, v161, v9
	;; [unrolled: 1-line block ×3, first 2 shown]
	v_add_u32_e32 v158, 0x6260, v133
	v_add_u32_e32 v147, 0x41f8, v133
	v_cvt_f32_i32_e32 v108, v19
	v_cvt_f32_i32_e32 v109, v25
	v_mov_b32_e32 v19, 0
	v_add_u32_e32 v25, 0x41e8, v133
	s_waitcnt lgkmcnt(0)
	v_dot4c_i32_i8_e32 v19, v156, v2
	ds_read2_b32 v[152:153], v25 offset1:1
	v_add_u32_e32 v25, 0x41f0, v133
	v_dot4c_i32_i8_e32 v19, v157, v6
	ds_read2_b32 v[154:155], v25 offset1:1
	ds_read2_b32 v[156:157], v147 offset1:1
	;; [unrolled: 1-line block ×3, first 2 shown]
	v_mov_b32_e32 v25, 0
	s_waitcnt lgkmcnt(3)
	v_dot4c_i32_i8_e32 v19, v152, v3
	v_dot4c_i32_i8_e32 v19, v153, v7
	s_waitcnt lgkmcnt(2)
	v_dot4c_i32_i8_e32 v19, v154, v4
	s_waitcnt lgkmcnt(0)
	v_dot4c_i32_i8_e32 v25, v158, v2
	v_add_u32_e32 v2, 0x6268, v133
	ds_read2_b32 v[152:153], v2 offset1:1
	v_add_u32_e32 v2, 0x6270, v133
	v_dot4c_i32_i8_e32 v19, v155, v8
	ds_read2_b32 v[154:155], v2 offset1:1
	v_dot4c_i32_i8_e32 v19, v156, v5
	v_add_u32_e32 v2, 0x6278, v133
	v_dot4c_i32_i8_e32 v19, v157, v9
	v_dot4c_i32_i8_e32 v25, v159, v6
	ds_read2_b32 v[156:157], v2 offset1:1
	s_waitcnt lgkmcnt(2)
	v_dot4c_i32_i8_e32 v25, v152, v3
	v_dot4c_i32_i8_e32 v25, v153, v7
	s_waitcnt lgkmcnt(1)
	v_dot4c_i32_i8_e32 v25, v154, v4
	v_dot4c_i32_i8_e32 v25, v155, v8
	;; [unrolled: 3-line block ×3, first 2 shown]
	v_cvt_f32_i32_e32 v19, v19
	v_cvt_f32_i32_e32 v4, v167
	v_mov_b32_e32 v2, v164
	v_cvt_f32_i32_e32 v5, v25
	v_mov_b32_e32 v3, v16
	v_pk_mul_f32 v[8:9], v[12:13], v[110:111]
	v_mul_f32_e32 v7, v13, v149
	v_pk_mul_f32 v[2:3], v[12:13], v[2:3] op_sel_hi:[0,1]
	v_mul_f32_e32 v6, v12, v148
	v_pk_mul_f32 v[4:5], v[8:9], v[4:5]
	v_mov_b32_e32 v8, v13
	v_mov_b32_e32 v16, v165
	v_mul_f32_e32 v12, v7, v19
	v_mov_b32_e32 v19, v106
	v_pk_mul_f32 v[8:9], v[8:9], v[16:17] op_sel_hi:[0,1]
	v_mov_b32_e32 v147, v107
	v_mov_b32_e32 v7, v4
	;; [unrolled: 1-line block ×3, first 2 shown]
	v_pk_fma_f32 v[4:5], v[162:163], v[20:21], v[104:105]
	v_pk_add_f32 v[16:17], v[78:79], v[18:19]
	v_mul_f32_e32 v6, v6, v166
	v_pk_fma_f32 v[4:5], v[10:11], v[150:151], v[4:5]
	v_pk_add_f32 v[10:11], v[16:17], v[146:147]
	v_pk_fma_f32 v[2:3], v[2:3], v[14:15], v[4:5]
	v_pk_add_f32 v[4:5], v[10:11], v[6:7]
	;; [unrolled: 2-line block ×3, first 2 shown]
	s_barrier
.LBB201_5:                              ;   in Loop: Header=BB201_6 Depth=1
	s_add_i32 s14, s14, 8
	s_addk_i32 s26, 0x100
	v_lshl_add_u64 v[28:29], v[28:29], 0, s[8:9]
	v_lshl_add_u64 v[30:31], v[30:31], 0, s[20:21]
	;; [unrolled: 1-line block ×36, first 2 shown]
	s_cmp_ge_i32 s14, s25
	v_lshl_add_u64 v[102:103], v[102:103], 0, s[20:21]
	s_cbranch_scc1 .LBB201_17
.LBB201_6:                              ; =>This Inner Loop Header: Depth=1
	v_lshl_add_u64 v[2:3], v[30:31], 0, s[16:17]
	global_load_dword v4, v[2:3], off
	v_lshl_add_u64 v[2:3], v[32:33], 0, s[16:17]
	global_load_dword v2, v[2:3], off offset:2
	s_add_i32 s2, s26, 0xffffff80
	s_cmp_lt_i32 s2, s15
	s_waitcnt vmcnt(1)
	v_and_b32_e32 v3, 0xf0f0f0f, v4
	v_lshrrev_b32_e32 v4, 4, v4
	s_waitcnt vmcnt(0)
	v_ashrrev_i32_e32 v2, v24, v2
	v_lshlrev_b32_e32 v5, 4, v2
	v_lshlrev_b32_e32 v6, 11, v2
	v_and_b32_e32 v5, 16, v5
	v_and_b32_e32 v6, 0x1000, v6
	v_or3_b32 v5, v5, v3, v6
	v_lshlrev_b32_e32 v6, 18, v2
	v_lshlrev_b32_e32 v7, 25, v2
	v_and_b32_e32 v6, 0x100000, v6
	v_and_b32_e32 v7, 0x10000000, v7
	v_or3_b32 v3, v3, v6, v7
	v_and_b32_e32 v6, 0x1f00, v5
	v_lshlrev_b16_e32 v5, 8, v5
	v_add_u16_e32 v6, 0xf000, v6
	v_add_u16_e32 v5, 0xf000, v5
	v_perm_b32 v5, v5, v6, s28
	v_and_b32_sdwa v6, v3, s27 dst_sel:DWORD dst_unused:UNUSED_PAD src0_sel:WORD_1 src1_sel:DWORD
	v_lshlrev_b16_sdwa v3, v145, v3 dst_sel:DWORD dst_unused:UNUSED_PAD src0_sel:DWORD src1_sel:WORD_1
	v_add_u16_e32 v6, 0xf000, v6
	v_add_u16_e32 v3, 0xf000, v3
	v_perm_b32 v3, v3, v6, s28
	v_lshl_or_b32 v3, v3, 16, v5
	v_lshrrev_b32_e32 v5, 12, v2
	v_lshrrev_b32_e32 v6, 5, v2
	v_and_b32_e32 v4, 0xf0f0f0f, v4
	v_and_b32_e32 v5, 16, v5
	v_and_b32_e32 v6, 0x1000, v6
	v_or3_b32 v5, v5, v4, v6
	v_lshlrev_b32_e32 v6, 2, v2
	v_lshlrev_b32_e32 v2, 9, v2
	v_and_b32_e32 v6, 0x100000, v6
	v_and_b32_e32 v2, 0x10000000, v2
	v_or3_b32 v2, v4, v6, v2
	v_and_b32_sdwa v4, v2, s27 dst_sel:DWORD dst_unused:UNUSED_PAD src0_sel:WORD_1 src1_sel:DWORD
	v_lshlrev_b16_sdwa v2, v145, v2 dst_sel:DWORD dst_unused:UNUSED_PAD src0_sel:DWORD src1_sel:WORD_1
	v_add_u16_e32 v4, 0xf000, v4
	v_add_u16_e32 v2, 0xf000, v2
	v_perm_b32 v2, v2, v4, s28
	v_lshlrev_b16_e32 v4, 8, v5
	v_add_u16_e32 v4, 0xf000, v4
	v_lshrrev_b16_e32 v4, 8, v4
	v_bitop3_b16 v4, v5, v4, s27 bitop3:0xec
	v_add_u16_e32 v4, 0xf000, v4
	v_lshl_or_b32 v2, v2, 16, v4
	ds_write2_b32 v112, v3, v2 offset1:1
	v_lshl_add_u64 v[2:3], v[34:35], 0, s[16:17]
	global_load_dword v4, v[2:3], off
	v_lshl_add_u64 v[2:3], v[36:37], 0, s[16:17]
	global_load_dword v2, v[2:3], off
	s_waitcnt vmcnt(1)
	v_and_b32_e32 v3, 0xf0f0f0f, v4
	v_lshrrev_b32_e32 v4, 4, v4
	s_waitcnt vmcnt(0)
	v_ashrrev_i32_e32 v2, v24, v2
	v_lshlrev_b32_e32 v5, 4, v2
	v_lshlrev_b32_e32 v6, 11, v2
	v_and_b32_e32 v5, 16, v5
	v_and_b32_e32 v6, 0x1000, v6
	v_or3_b32 v5, v5, v3, v6
	v_lshlrev_b32_e32 v6, 18, v2
	v_lshlrev_b32_e32 v7, 25, v2
	v_and_b32_e32 v6, 0x100000, v6
	v_and_b32_e32 v7, 0x10000000, v7
	v_or3_b32 v3, v3, v6, v7
	v_and_b32_e32 v6, 0x1f00, v5
	v_lshlrev_b16_e32 v5, 8, v5
	v_add_u16_e32 v6, 0xf000, v6
	v_add_u16_e32 v5, 0xf000, v5
	v_perm_b32 v5, v5, v6, s28
	v_and_b32_sdwa v6, v3, s27 dst_sel:DWORD dst_unused:UNUSED_PAD src0_sel:WORD_1 src1_sel:DWORD
	v_lshlrev_b16_sdwa v3, v145, v3 dst_sel:DWORD dst_unused:UNUSED_PAD src0_sel:DWORD src1_sel:WORD_1
	v_add_u16_e32 v6, 0xf000, v6
	v_add_u16_e32 v3, 0xf000, v3
	v_perm_b32 v3, v3, v6, s28
	v_lshl_or_b32 v3, v3, 16, v5
	v_lshrrev_b32_e32 v5, 12, v2
	v_lshrrev_b32_e32 v6, 5, v2
	v_and_b32_e32 v4, 0xf0f0f0f, v4
	v_and_b32_e32 v5, 16, v5
	v_and_b32_e32 v6, 0x1000, v6
	v_or3_b32 v5, v5, v4, v6
	v_lshlrev_b32_e32 v6, 2, v2
	v_lshlrev_b32_e32 v2, 9, v2
	v_and_b32_e32 v6, 0x100000, v6
	v_and_b32_e32 v2, 0x10000000, v2
	v_or3_b32 v2, v4, v6, v2
	v_and_b32_sdwa v4, v2, s27 dst_sel:DWORD dst_unused:UNUSED_PAD src0_sel:WORD_1 src1_sel:DWORD
	v_lshlrev_b16_sdwa v2, v145, v2 dst_sel:DWORD dst_unused:UNUSED_PAD src0_sel:DWORD src1_sel:WORD_1
	v_add_u16_e32 v4, 0xf000, v4
	v_add_u16_e32 v2, 0xf000, v2
	v_perm_b32 v2, v2, v4, s28
	v_lshlrev_b16_e32 v4, 8, v5
	v_add_u16_e32 v4, 0xf000, v4
	v_lshrrev_b16_e32 v4, 8, v4
	v_bitop3_b16 v4, v5, v4, s27 bitop3:0xec
	v_add_u16_e32 v4, 0xf000, v4
	v_lshl_or_b32 v2, v2, 16, v4
	ds_write2_b32 v113, v3, v2 offset1:1
	v_lshl_add_u64 v[2:3], v[38:39], 0, s[16:17]
	global_load_dword v4, v[2:3], off
	v_lshl_add_u64 v[2:3], v[40:41], 0, s[16:17]
	global_load_dword v2, v[2:3], off
	;; [unrolled: 53-line block ×15, first 2 shown]
	s_waitcnt vmcnt(1)
	v_and_b32_e32 v3, 0xf0f0f0f, v4
	v_lshrrev_b32_e32 v4, 4, v4
	s_waitcnt vmcnt(0)
	v_ashrrev_i32_e32 v2, v24, v2
	v_lshlrev_b32_e32 v5, 4, v2
	v_lshlrev_b32_e32 v6, 11, v2
	v_and_b32_e32 v5, 16, v5
	v_and_b32_e32 v6, 0x1000, v6
	v_or3_b32 v5, v5, v3, v6
	v_lshlrev_b32_e32 v6, 18, v2
	v_lshlrev_b32_e32 v7, 25, v2
	v_and_b32_e32 v6, 0x100000, v6
	v_and_b32_e32 v7, 0x10000000, v7
	v_or3_b32 v3, v3, v6, v7
	v_and_b32_e32 v6, 0x1f00, v5
	v_lshlrev_b16_e32 v5, 8, v5
	v_add_u16_e32 v6, 0xf000, v6
	v_add_u16_e32 v5, 0xf000, v5
	v_perm_b32 v5, v5, v6, s28
	v_and_b32_sdwa v6, v3, s27 dst_sel:DWORD dst_unused:UNUSED_PAD src0_sel:WORD_1 src1_sel:DWORD
	v_lshlrev_b16_sdwa v3, v145, v3 dst_sel:DWORD dst_unused:UNUSED_PAD src0_sel:DWORD src1_sel:WORD_1
	v_add_u16_e32 v6, 0xf000, v6
	v_add_u16_e32 v3, 0xf000, v3
	v_perm_b32 v3, v3, v6, s28
	v_lshl_or_b32 v3, v3, 16, v5
	v_lshrrev_b32_e32 v5, 12, v2
	v_lshrrev_b32_e32 v6, 5, v2
	v_and_b32_e32 v4, 0xf0f0f0f, v4
	v_and_b32_e32 v5, 16, v5
	;; [unrolled: 1-line block ×3, first 2 shown]
	v_or3_b32 v5, v5, v4, v6
	v_lshlrev_b32_e32 v6, 2, v2
	v_lshlrev_b32_e32 v2, 9, v2
	v_and_b32_e32 v6, 0x100000, v6
	v_and_b32_e32 v2, 0x10000000, v2
	v_or3_b32 v2, v4, v6, v2
	v_and_b32_sdwa v4, v2, s27 dst_sel:DWORD dst_unused:UNUSED_PAD src0_sel:WORD_1 src1_sel:DWORD
	v_lshlrev_b16_sdwa v2, v145, v2 dst_sel:DWORD dst_unused:UNUSED_PAD src0_sel:DWORD src1_sel:WORD_1
	v_add_u16_e32 v4, 0xf000, v4
	v_add_u16_e32 v2, 0xf000, v2
	v_perm_b32 v2, v2, v4, s28
	v_lshlrev_b16_e32 v4, 8, v5
	v_add_u16_e32 v4, 0xf000, v4
	v_lshrrev_b16_e32 v4, 8, v4
	v_bitop3_b16 v4, v5, v4, s27 bitop3:0xec
	v_add_u16_e32 v4, 0xf000, v4
	v_lshl_or_b32 v2, v2, 16, v4
	ds_write2_b32 v127, v3, v2 offset1:1
	v_lshl_add_u64 v[2:3], v[96:97], 0, s[16:17]
	global_load_ushort v2, v[2:3], off
	s_waitcnt vmcnt(0)
	v_cvt_f32_f16_e32 v2, v2
	ds_write_b32 v141, v2
	v_lshl_add_u64 v[2:3], v[98:99], 0, s[16:17]
	global_load_ushort v2, v[2:3], off
	s_waitcnt vmcnt(0)
	v_cvt_f32_f16_e32 v2, v2
	ds_write_b32 v142, v2
	;; [unrolled: 5-line block ×4, first 2 shown]
	s_cbranch_scc0 .LBB201_5
; %bb.7:                                ;   in Loop: Header=BB201_6 Depth=1
	v_add_u32_e32 v2, s14, v128
	v_cmp_gt_i32_e64 s[2:3], s5, v2
	s_and_b64 s[22:23], s[0:1], s[2:3]
	s_and_saveexec_b64 s[2:3], s[22:23]
	s_cbranch_execz .LBB201_9
; %bb.8:                                ;   in Loop: Header=BB201_6 Depth=1
	v_add_u32_e32 v2, s14, v140
	v_mad_i64_i32 v[2:3], s[22:23], v2, 36, v[26:27]
	global_load_dword v2, v[2:3], off offset:4
	s_waitcnt vmcnt(0)
	ds_write_b32 v130, v2
.LBB201_9:                              ;   in Loop: Header=BB201_6 Depth=1
	s_or_b64 exec, exec, s[2:3]
	v_add_u32_e32 v25, s14, v22
	v_cmp_gt_i32_e64 s[2:3], s5, v25
	s_and_b64 s[22:23], s[18:19], s[2:3]
	s_and_saveexec_b64 s[2:3], s[22:23]
	s_cbranch_execz .LBB201_11
; %bb.10:                               ;   in Loop: Header=BB201_6 Depth=1
	v_add_u32_e32 v2, s14, v23
	v_mad_i64_i32 v[2:3], s[22:23], v2, 36, s[10:11]
	global_load_dword v2, v[2:3], off
	s_waitcnt vmcnt(0)
	v_cvt_f32_f16_e32 v2, v2
	ds_write_b32 v132, v2
.LBB201_11:                             ;   in Loop: Header=BB201_6 Depth=1
	s_or_b64 exec, exec, s[2:3]
	s_waitcnt lgkmcnt(0)
	s_barrier
	ds_read_b128 v[14:17], v129
	ds_read_b128 v[18:21], v129 offset:16
	ds_read2_b32 v[106:107], v133 offset1:1
	ds_read_b128 v[2:5], v129 offset:32
	ds_read_b128 v[6:9], v129 offset:48
	ds_read_b128 v[10:13], v131
	ds_read2_b32 v[110:111], v133 offset0:2 offset1:3
	v_mov_b32_e32 v146, 0
	s_waitcnt lgkmcnt(4)
	v_dot4c_i32_i8_e32 v146, v106, v14
	v_dot4c_i32_i8_e32 v146, v107, v18
	ds_read2_b32 v[106:107], v133 offset0:4 offset1:5
	ds_read2_b32 v[148:149], v133 offset0:6 offset1:7
	;; [unrolled: 1-line block ×3, first 2 shown]
	s_waitcnt lgkmcnt(3)
	v_dot4c_i32_i8_e32 v146, v110, v15
	v_dot4c_i32_i8_e32 v146, v111, v19
	s_waitcnt lgkmcnt(2)
	v_dot4c_i32_i8_e32 v146, v106, v16
	v_add_u32_e32 v106, 0x2080, v133
	v_dot4c_i32_i8_e32 v146, v107, v20
	ds_read2_b32 v[150:151], v106 offset1:1
	s_waitcnt lgkmcnt(2)
	v_dot4c_i32_i8_e32 v146, v148, v17
	v_add_u32_e32 v148, 0x2088, v133
	v_dot4c_i32_i8_e32 v146, v149, v21
	ds_read2_b32 v[106:107], v137 offset1:1
	ds_read2_b32 v[110:111], v137 offset0:2 offset1:3
	ds_read2_b32 v[148:149], v148 offset1:1
	v_mov_b32_e32 v147, 0
	s_waitcnt lgkmcnt(3)
	v_dot4c_i32_i8_e32 v147, v150, v14
	v_add_u32_e32 v150, 0x2090, v133
	v_add_u32_e32 v152, 0x2098, v133
	;; [unrolled: 1-line block ×3, first 2 shown]
	v_dot4c_i32_i8_e32 v147, v151, v18
	ds_read2_b32 v[150:151], v150 offset1:1
	ds_read2_b32 v[152:153], v152 offset1:1
	;; [unrolled: 1-line block ×3, first 2 shown]
	s_waitcnt lgkmcnt(3)
	v_dot4c_i32_i8_e32 v147, v148, v15
	v_dot4c_i32_i8_e32 v147, v149, v19
	s_waitcnt lgkmcnt(2)
	v_dot4c_i32_i8_e32 v147, v150, v16
	v_dot4c_i32_i8_e32 v147, v151, v20
	v_mov_b32_e32 v158, 0
	s_waitcnt lgkmcnt(1)
	v_dot4c_i32_i8_e32 v147, v152, v17
	s_waitcnt lgkmcnt(0)
	v_dot4c_i32_i8_e32 v158, v154, v14
	v_add_u32_e32 v150, 0x4108, v133
	v_add_u32_e32 v152, 0x4110, v133
	;; [unrolled: 1-line block ×4, first 2 shown]
	v_dot4c_i32_i8_e32 v147, v153, v21
	ds_read2_b32 v[148:149], v136 offset1:1
	ds_read2_b32 v[150:151], v150 offset1:1
	v_dot4c_i32_i8_e32 v158, v155, v18
	ds_read2_b32 v[152:153], v152 offset1:1
	ds_read2_b32 v[154:155], v154 offset1:1
	;; [unrolled: 1-line block ×3, first 2 shown]
	v_mov_b32_e32 v159, 0
	v_mov_b32_e32 v160, 0
	s_waitcnt lgkmcnt(3)
	v_dot4c_i32_i8_e32 v158, v150, v15
	v_dot4c_i32_i8_e32 v158, v151, v19
	s_waitcnt lgkmcnt(0)
	v_dot4c_i32_i8_e32 v159, v156, v14
	v_add_u32_e32 v14, 0x6188, v133
	ds_read2_b32 v[150:151], v14 offset1:1
	v_dot4c_i32_i8_e32 v158, v152, v16
	v_dot4c_i32_i8_e32 v158, v153, v20
	;; [unrolled: 1-line block ×3, first 2 shown]
	v_add_u32_e32 v14, 0x6190, v133
	v_add_u32_e32 v156, 0x20a0, v133
	v_dot4c_i32_i8_e32 v158, v155, v21
	v_dot4c_i32_i8_e32 v159, v157, v18
	v_add_u32_e32 v18, 0x6198, v133
	ds_read2_b32 v[152:153], v14 offset1:1
	ds_read2_b32 v[154:155], v18 offset1:1
	;; [unrolled: 1-line block ×3, first 2 shown]
	s_waitcnt lgkmcnt(3)
	v_dot4c_i32_i8_e32 v159, v150, v15
	v_dot4c_i32_i8_e32 v159, v151, v19
	ds_read2_b32 v[14:15], v133 offset0:10 offset1:11
	s_waitcnt lgkmcnt(3)
	v_dot4c_i32_i8_e32 v159, v152, v16
	v_dot4c_i32_i8_e32 v159, v153, v20
	s_waitcnt lgkmcnt(2)
	v_dot4c_i32_i8_e32 v159, v154, v17
	v_dot4c_i32_i8_e32 v160, v108, v2
	v_dot4c_i32_i8_e32 v159, v155, v21
	v_dot4c_i32_i8_e32 v160, v109, v6
	ds_read2_b32 v[16:17], v133 offset0:12 offset1:13
	ds_read2_b32 v[18:19], v133 offset0:14 offset1:15
	;; [unrolled: 1-line block ×3, first 2 shown]
	s_waitcnt lgkmcnt(3)
	v_dot4c_i32_i8_e32 v160, v14, v3
	v_add_u32_e32 v14, 0x20a8, v133
	v_dot4c_i32_i8_e32 v160, v15, v7
	ds_read2_b32 v[14:15], v14 offset1:1
	s_waitcnt lgkmcnt(3)
	v_dot4c_i32_i8_e32 v160, v16, v4
	v_dot4c_i32_i8_e32 v160, v17, v8
	v_mov_b32_e32 v161, 0
	s_waitcnt lgkmcnt(2)
	v_dot4c_i32_i8_e32 v160, v18, v5
	v_dot4c_i32_i8_e32 v161, v156, v2
	v_add_u32_e32 v16, 0x20b0, v133
	v_add_u32_e32 v18, 0x20b8, v133
	v_add_u32_e32 v108, 0x4120, v133
	v_dot4c_i32_i8_e32 v160, v19, v9
	v_dot4c_i32_i8_e32 v161, v157, v6
	ds_read2_b32 v[16:17], v16 offset1:1
	ds_read2_b32 v[18:19], v18 offset1:1
	;; [unrolled: 1-line block ×3, first 2 shown]
	s_waitcnt lgkmcnt(3)
	v_dot4c_i32_i8_e32 v161, v14, v3
	v_add_u32_e32 v14, 0x4128, v133
	v_dot4c_i32_i8_e32 v161, v15, v7
	ds_read2_b32 v[14:15], v14 offset1:1
	s_waitcnt lgkmcnt(3)
	v_dot4c_i32_i8_e32 v161, v16, v4
	v_dot4c_i32_i8_e32 v161, v17, v8
	v_mov_b32_e32 v150, 0
	s_waitcnt lgkmcnt(2)
	v_dot4c_i32_i8_e32 v161, v18, v5
	s_waitcnt lgkmcnt(1)
	v_dot4c_i32_i8_e32 v150, v108, v2
	v_add_u32_e32 v16, 0x4130, v133
	v_add_u32_e32 v18, 0x4138, v133
	;; [unrolled: 1-line block ×3, first 2 shown]
	v_dot4c_i32_i8_e32 v161, v19, v9
	v_dot4c_i32_i8_e32 v150, v109, v6
	ds_read2_b32 v[16:17], v16 offset1:1
	ds_read2_b32 v[18:19], v18 offset1:1
	;; [unrolled: 1-line block ×3, first 2 shown]
	s_waitcnt lgkmcnt(3)
	v_dot4c_i32_i8_e32 v150, v14, v3
	v_dot4c_i32_i8_e32 v150, v15, v7
	s_waitcnt lgkmcnt(2)
	v_dot4c_i32_i8_e32 v150, v16, v4
	v_dot4c_i32_i8_e32 v150, v17, v8
	;; [unrolled: 3-line block ×3, first 2 shown]
	v_cvt_f32_i32_e32 v158, v158
	v_mov_b32_e32 v167, 0
	s_cmp_ge_i32 s26, s15
	v_cvt_f32_i32_e32 v152, v150
	v_mov_b32_e32 v150, 0
	s_waitcnt lgkmcnt(0)
	v_dot4c_i32_i8_e32 v150, v108, v2
	v_add_u32_e32 v2, 0x61a8, v133
	ds_read2_b32 v[14:15], v2 offset1:1
	v_add_u32_e32 v2, 0x61b0, v133
	v_add_u32_e32 v108, 0x20c0, v133
	v_dot4c_i32_i8_e32 v150, v109, v6
	v_add_u32_e32 v6, 0x61b8, v133
	ds_read2_b32 v[16:17], v2 offset1:1
	ds_read2_b32 v[18:19], v6 offset1:1
	;; [unrolled: 1-line block ×3, first 2 shown]
	s_waitcnt lgkmcnt(3)
	v_dot4c_i32_i8_e32 v150, v14, v3
	v_dot4c_i32_i8_e32 v150, v15, v7
	s_waitcnt lgkmcnt(2)
	v_dot4c_i32_i8_e32 v150, v16, v4
	v_dot4c_i32_i8_e32 v150, v17, v8
	;; [unrolled: 3-line block ×3, first 2 shown]
	v_cvt_f32_i32_e32 v2, v159
	v_mul_f32_e32 v4, v10, v148
	v_mul_f32_e32 v18, v4, v158
	v_cvt_f32_i32_e32 v3, v150
	v_pk_mul_f32 v[4:5], v[10:11], v[106:107]
	ds_read2_b32 v[14:15], v135 offset1:1
	ds_read2_b32 v[16:17], v135 offset0:2 offset1:3
	v_mul_f32_e32 v19, v11, v149
	v_pk_mul_f32 v[106:107], v[4:5], v[2:3]
	ds_read_b128 v[2:5], v129 offset:64
	ds_read_b128 v[6:9], v129 offset:80
	ds_read2_b32 v[150:151], v136 offset0:2 offset1:3
	v_mul_f32_e32 v148, v19, v152
	ds_read2_b32 v[152:153], v133 offset0:18 offset1:19
	v_mov_b32_e32 v19, 0
	s_waitcnt lgkmcnt(3)
	v_dot4c_i32_i8_e32 v19, v20, v2
	s_waitcnt lgkmcnt(2)
	v_dot4c_i32_i8_e32 v19, v21, v6
	ds_read2_b32 v[20:21], v133 offset0:20 offset1:21
	ds_read2_b32 v[154:155], v133 offset0:22 offset1:23
	;; [unrolled: 1-line block ×3, first 2 shown]
	s_waitcnt lgkmcnt(3)
	v_dot4c_i32_i8_e32 v19, v152, v3
	v_dot4c_i32_i8_e32 v19, v153, v7
	s_waitcnt lgkmcnt(2)
	v_dot4c_i32_i8_e32 v19, v20, v4
	v_add_u32_e32 v20, 0x20c8, v133
	v_dot4c_i32_i8_e32 v19, v21, v8
	ds_read2_b32 v[20:21], v20 offset1:1
	v_mov_b32_e32 v149, 0
	s_waitcnt lgkmcnt(2)
	v_dot4c_i32_i8_e32 v19, v154, v5
	v_dot4c_i32_i8_e32 v149, v108, v2
	v_add_u32_e32 v108, 0x20d0, v133
	v_add_u32_e32 v152, 0x20d8, v133
	;; [unrolled: 1-line block ×3, first 2 shown]
	v_dot4c_i32_i8_e32 v19, v155, v9
	v_dot4c_i32_i8_e32 v149, v109, v6
	ds_read2_b32 v[108:109], v108 offset1:1
	ds_read2_b32 v[152:153], v152 offset1:1
	;; [unrolled: 1-line block ×3, first 2 shown]
	s_waitcnt lgkmcnt(3)
	v_dot4c_i32_i8_e32 v149, v20, v3
	v_dot4c_i32_i8_e32 v149, v21, v7
	s_waitcnt lgkmcnt(2)
	v_dot4c_i32_i8_e32 v149, v108, v4
	v_dot4c_i32_i8_e32 v149, v109, v8
	v_mov_b32_e32 v158, 0
	s_waitcnt lgkmcnt(1)
	v_dot4c_i32_i8_e32 v149, v152, v5
	s_waitcnt lgkmcnt(0)
	v_dot4c_i32_i8_e32 v158, v154, v2
	v_add_u32_e32 v20, 0x4148, v133
	v_add_u32_e32 v108, 0x4150, v133
	;; [unrolled: 1-line block ×4, first 2 shown]
	v_dot4c_i32_i8_e32 v149, v153, v9
	v_dot4c_i32_i8_e32 v158, v155, v6
	ds_read2_b32 v[20:21], v20 offset1:1
	ds_read2_b32 v[108:109], v108 offset1:1
	;; [unrolled: 1-line block ×4, first 2 shown]
	v_mov_b32_e32 v163, v14
	s_waitcnt lgkmcnt(3)
	v_dot4c_i32_i8_e32 v158, v20, v3
	s_waitcnt lgkmcnt(0)
	v_dot4c_i32_i8_e32 v167, v154, v2
	v_add_u32_e32 v2, 0x61c8, v133
	v_dot4c_i32_i8_e32 v158, v21, v7
	ds_read2_b32 v[20:21], v2 offset1:1
	v_dot4c_i32_i8_e32 v158, v108, v4
	v_dot4c_i32_i8_e32 v158, v109, v8
	;; [unrolled: 1-line block ×3, first 2 shown]
	v_add_u32_e32 v2, 0x61d0, v133
	v_add_u32_e32 v154, 0x20e0, v133
	v_dot4c_i32_i8_e32 v158, v153, v9
	v_dot4c_i32_i8_e32 v167, v155, v6
	v_add_u32_e32 v6, 0x61d8, v133
	ds_read2_b32 v[108:109], v2 offset1:1
	ds_read2_b32 v[152:153], v6 offset1:1
	;; [unrolled: 1-line block ×3, first 2 shown]
	s_waitcnt lgkmcnt(3)
	v_dot4c_i32_i8_e32 v167, v20, v3
	v_dot4c_i32_i8_e32 v167, v21, v7
	s_waitcnt lgkmcnt(2)
	v_dot4c_i32_i8_e32 v167, v108, v4
	v_dot4c_i32_i8_e32 v167, v109, v8
	;; [unrolled: 3-line block ×3, first 2 shown]
	ds_read_b128 v[2:5], v129 offset:96
	ds_read_b128 v[6:9], v129 offset:112
	ds_read2_b32 v[108:109], v134 offset1:1
	v_cvt_f32_i32_e32 v21, v147
	v_cvt_f32_i32_e32 v20, v146
	;; [unrolled: 1-line block ×4, first 2 shown]
	s_waitcnt lgkmcnt(0)
	v_mov_b32_e32 v162, v108
	v_pk_mul_f32 v[162:163], v[10:11], v[162:163] op_sel_hi:[0,1]
	v_mov_b32_e32 v14, v109
	v_pk_fma_f32 v[20:21], v[162:163], v[20:21], v[104:105]
	v_pk_mul_f32 v[10:11], v[10:11], v[14:15] op_sel:[1,0]
	v_cvt_f32_i32_e32 v166, v158
	v_pk_fma_f32 v[10:11], v[10:11], v[146:147], v[20:21]
	v_add_u32_e32 v20, 0x20e8, v133
	ds_read2_b32 v[152:153], v133 offset0:26 offset1:27
	ds_read2_b32 v[158:159], v133 offset0:28 offset1:29
	;; [unrolled: 1-line block ×4, first 2 shown]
	ds_read2_b32 v[20:21], v20 offset1:1
	v_cvt_f32_i32_e32 v14, v19
	v_mov_b32_e32 v19, 0
	v_dot4c_i32_i8_e32 v19, v156, v2
	v_cvt_f32_i32_e32 v15, v149
	v_dot4c_i32_i8_e32 v19, v157, v6
	v_mov_b32_e32 v149, 0
	s_waitcnt lgkmcnt(4)
	v_dot4c_i32_i8_e32 v19, v152, v3
	v_dot4c_i32_i8_e32 v149, v154, v2
	v_add_u32_e32 v104, 0x20f0, v133
	v_add_u32_e32 v108, 0x20f8, v133
	;; [unrolled: 1-line block ×3, first 2 shown]
	v_dot4c_i32_i8_e32 v19, v153, v7
	v_dot4c_i32_i8_e32 v149, v155, v6
	ds_read2_b32 v[104:105], v104 offset1:1
	ds_read2_b32 v[108:109], v108 offset1:1
	;; [unrolled: 1-line block ×3, first 2 shown]
	s_waitcnt lgkmcnt(6)
	v_dot4c_i32_i8_e32 v19, v158, v4
	s_waitcnt lgkmcnt(3)
	v_dot4c_i32_i8_e32 v149, v20, v3
	v_dot4c_i32_i8_e32 v19, v159, v8
	;; [unrolled: 1-line block ×4, first 2 shown]
	s_waitcnt lgkmcnt(2)
	v_dot4c_i32_i8_e32 v149, v104, v4
	v_dot4c_i32_i8_e32 v19, v161, v9
	v_dot4c_i32_i8_e32 v149, v105, v8
	s_waitcnt lgkmcnt(1)
	v_dot4c_i32_i8_e32 v149, v108, v5
	v_dot4c_i32_i8_e32 v149, v109, v9
	v_cvt_f32_i32_e32 v20, v19
	v_mov_b32_e32 v19, 0
	s_waitcnt lgkmcnt(0)
	v_dot4c_i32_i8_e32 v19, v146, v2
	v_add_u32_e32 v104, 0x4168, v133
	v_add_u32_e32 v108, 0x4170, v133
	;; [unrolled: 1-line block ×3, first 2 shown]
	v_cvt_f32_i32_e32 v21, v149
	v_dot4c_i32_i8_e32 v19, v147, v6
	ds_read2_b32 v[104:105], v104 offset1:1
	v_add_u32_e32 v149, 0x61e0, v133
	ds_read2_b32 v[108:109], v108 offset1:1
	ds_read2_b32 v[146:147], v146 offset1:1
	;; [unrolled: 1-line block ×3, first 2 shown]
	v_mov_b32_e32 v149, 0
	s_waitcnt lgkmcnt(3)
	v_dot4c_i32_i8_e32 v19, v104, v3
	v_dot4c_i32_i8_e32 v19, v105, v7
	s_waitcnt lgkmcnt(0)
	v_dot4c_i32_i8_e32 v149, v152, v2
	v_add_u32_e32 v2, 0x61e8, v133
	ds_read2_b32 v[104:105], v2 offset1:1
	v_dot4c_i32_i8_e32 v19, v108, v4
	v_add_u32_e32 v2, 0x61f0, v133
	v_dot4c_i32_i8_e32 v19, v109, v8
	ds_read2_b32 v[108:109], v2 offset1:1
	v_dot4c_i32_i8_e32 v19, v146, v5
	v_add_u32_e32 v2, 0x61f8, v133
	v_dot4c_i32_i8_e32 v19, v147, v9
	v_dot4c_i32_i8_e32 v149, v153, v6
	ds_read2_b32 v[146:147], v2 offset1:1
	s_waitcnt lgkmcnt(2)
	v_dot4c_i32_i8_e32 v149, v104, v3
	v_dot4c_i32_i8_e32 v149, v105, v7
	s_waitcnt lgkmcnt(1)
	v_dot4c_i32_i8_e32 v149, v108, v4
	v_dot4c_i32_i8_e32 v149, v109, v8
	;; [unrolled: 3-line block ×3, first 2 shown]
	v_cvt_f32_i32_e32 v4, v167
	v_cvt_f32_i32_e32 v19, v19
	v_mov_b32_e32 v2, v164
	v_cvt_f32_i32_e32 v5, v149
	v_mov_b32_e32 v3, v16
	v_pk_mul_f32 v[8:9], v[12:13], v[110:111]
	v_pk_mul_f32 v[2:3], v[12:13], v[2:3] op_sel_hi:[0,1]
	v_pk_mul_f32 v[4:5], v[8:9], v[4:5]
	v_mov_b32_e32 v8, v13
	v_mov_b32_e32 v16, v165
	v_pk_fma_f32 v[2:3], v[2:3], v[14:15], v[10:11]
	v_pk_mul_f32 v[8:9], v[8:9], v[16:17] op_sel_hi:[0,1]
	v_pk_fma_f32 v[104:105], v[8:9], v[20:21], v[2:3]
	v_mul_f32_e32 v2, v13, v151
	v_mul_f32_e32 v2, v2, v19
	v_mov_b32_e32 v19, v106
	v_mul_f32_e32 v6, v12, v150
	v_pk_add_f32 v[8:9], v[78:79], v[18:19]
	v_mov_b32_e32 v149, v107
	v_mul_f32_e32 v6, v6, v166
	v_pk_add_f32 v[8:9], v[8:9], v[148:149]
	v_mov_b32_e32 v7, v4
	v_pk_add_f32 v[6:7], v[8:9], v[6:7]
	v_mov_b32_e32 v3, v5
	v_pk_add_f32 v[78:79], v[6:7], v[2:3]
	s_barrier
	s_cbranch_scc1 .LBB201_5
; %bb.12:                               ;   in Loop: Header=BB201_6 Depth=1
	v_add_u32_e32 v2, s14, v138
	v_cmp_gt_i32_e64 s[2:3], s5, v2
	s_and_b64 s[22:23], s[0:1], s[2:3]
	s_and_saveexec_b64 s[2:3], s[22:23]
	s_cbranch_execz .LBB201_14
; %bb.13:                               ;   in Loop: Header=BB201_6 Depth=1
	v_add_u32_e32 v2, s14, v139
	v_mad_i64_i32 v[2:3], s[22:23], v2, 36, v[26:27]
	global_load_dword v2, v[2:3], off offset:4
	s_waitcnt vmcnt(0)
	ds_write_b32 v130, v2
.LBB201_14:                             ;   in Loop: Header=BB201_6 Depth=1
	s_or_b64 exec, exec, s[2:3]
	s_and_saveexec_b64 s[22:23], vcc
	s_cbranch_execz .LBB201_4
; %bb.15:                               ;   in Loop: Header=BB201_6 Depth=1
	v_add_u32_e32 v2, 4, v25
	v_cmp_gt_i32_e64 s[2:3], s5, v2
	s_and_b64 s[2:3], s[0:1], s[2:3]
	s_and_b64 exec, exec, s[2:3]
	s_cbranch_execz .LBB201_4
; %bb.16:                               ;   in Loop: Header=BB201_6 Depth=1
	global_load_dword v2, v[28:29], off
	s_waitcnt vmcnt(0)
	v_cvt_f32_f16_e32 v2, v2
	ds_write_b32 v132, v2
	s_branch .LBB201_4
.LBB201_17:
	s_mul_i32 s0, s7, s4
	s_waitcnt vmcnt(0)
	v_cmp_gt_i32_e32 vcc, s0, v1
	s_and_saveexec_b64 s[0:1], vcc
	s_cbranch_execz .LBB201_26
; %bb.18:
	v_and_b32_e32 v0, 0x3ff, v0
	v_add_u32_e32 v2, s24, v0
	v_mul_lo_u32 v0, v1, s6
	v_cmp_gt_u32_e32 vcc, s6, v2
	s_and_saveexec_b64 s[0:1], vcc
	s_cbranch_execz .LBB201_20
; %bb.19:
	v_cvt_f16_f32_e32 v1, v104
	v_add_u32_e32 v4, v0, v2
	v_mov_b32_e32 v5, 0
	v_lshl_add_u64 v[4:5], v[4:5], 1, s[12:13]
	global_store_short v[4:5], v1, off
.LBB201_20:
	s_or_b64 exec, exec, s[0:1]
	v_add_u32_e32 v1, 32, v2
	v_cmp_gt_u32_e32 vcc, s6, v1
	s_and_saveexec_b64 s[0:1], vcc
	s_cbranch_execz .LBB201_22
; %bb.21:
	v_cvt_f16_f32_e32 v3, v105
	v_add_u32_e32 v4, v0, v1
	v_mov_b32_e32 v5, 0
	v_lshl_add_u64 v[4:5], v[4:5], 1, s[12:13]
	global_store_short v[4:5], v3, off
.LBB201_22:
	s_or_b64 exec, exec, s[0:1]
	v_add_u32_e32 v1, 64, v2
	;; [unrolled: 12-line block ×3, first 2 shown]
	v_cmp_gt_u32_e32 vcc, s6, v1
	s_and_b64 exec, exec, vcc
	s_cbranch_execz .LBB201_26
; %bb.25:
	v_cvt_f16_f32_e32 v2, v79
	v_add_u32_e32 v0, v0, v1
	v_mov_b32_e32 v1, 0
	v_lshl_add_u64 v[0:1], v[0:1], 1, s[12:13]
	global_store_short v[0:1], v2, off
.LBB201_26:
	s_endpgm
	.section	.rodata,"a",@progbits
	.p2align	6, 0x0
	.amdhsa_kernel _ZL8moe_q5_0IN3c104HalfELb0EEvPKvS3_PT_PKiS7_S7_iiiiiii
		.amdhsa_group_segment_fixed_size 38656
		.amdhsa_private_segment_fixed_size 0
		.amdhsa_kernarg_size 76
		.amdhsa_user_sgpr_count 2
		.amdhsa_user_sgpr_dispatch_ptr 0
		.amdhsa_user_sgpr_queue_ptr 0
		.amdhsa_user_sgpr_kernarg_segment_ptr 1
		.amdhsa_user_sgpr_dispatch_id 0
		.amdhsa_user_sgpr_kernarg_preload_length 0
		.amdhsa_user_sgpr_kernarg_preload_offset 0
		.amdhsa_user_sgpr_private_segment_size 0
		.amdhsa_uses_dynamic_stack 0
		.amdhsa_enable_private_segment 0
		.amdhsa_system_sgpr_workgroup_id_x 1
		.amdhsa_system_sgpr_workgroup_id_y 1
		.amdhsa_system_sgpr_workgroup_id_z 0
		.amdhsa_system_sgpr_workgroup_info 0
		.amdhsa_system_vgpr_workitem_id 1
		.amdhsa_next_free_vgpr 168
		.amdhsa_next_free_sgpr 96
		.amdhsa_accum_offset 168
		.amdhsa_reserve_vcc 1
		.amdhsa_float_round_mode_32 0
		.amdhsa_float_round_mode_16_64 0
		.amdhsa_float_denorm_mode_32 3
		.amdhsa_float_denorm_mode_16_64 3
		.amdhsa_dx10_clamp 1
		.amdhsa_ieee_mode 1
		.amdhsa_fp16_overflow 0
		.amdhsa_tg_split 0
		.amdhsa_exception_fp_ieee_invalid_op 0
		.amdhsa_exception_fp_denorm_src 0
		.amdhsa_exception_fp_ieee_div_zero 0
		.amdhsa_exception_fp_ieee_overflow 0
		.amdhsa_exception_fp_ieee_underflow 0
		.amdhsa_exception_fp_ieee_inexact 0
		.amdhsa_exception_int_div_zero 0
	.end_amdhsa_kernel
	.section	.text._ZL8moe_q5_0IN3c104HalfELb0EEvPKvS3_PT_PKiS7_S7_iiiiiii,"axG",@progbits,_ZL8moe_q5_0IN3c104HalfELb0EEvPKvS3_PT_PKiS7_S7_iiiiiii,comdat
.Lfunc_end201:
	.size	_ZL8moe_q5_0IN3c104HalfELb0EEvPKvS3_PT_PKiS7_S7_iiiiiii, .Lfunc_end201-_ZL8moe_q5_0IN3c104HalfELb0EEvPKvS3_PT_PKiS7_S7_iiiiiii
                                        ; -- End function
	.set _ZL8moe_q5_0IN3c104HalfELb0EEvPKvS3_PT_PKiS7_S7_iiiiiii.num_vgpr, 168
	.set _ZL8moe_q5_0IN3c104HalfELb0EEvPKvS3_PT_PKiS7_S7_iiiiiii.num_agpr, 0
	.set _ZL8moe_q5_0IN3c104HalfELb0EEvPKvS3_PT_PKiS7_S7_iiiiiii.numbered_sgpr, 29
	.set _ZL8moe_q5_0IN3c104HalfELb0EEvPKvS3_PT_PKiS7_S7_iiiiiii.num_named_barrier, 0
	.set _ZL8moe_q5_0IN3c104HalfELb0EEvPKvS3_PT_PKiS7_S7_iiiiiii.private_seg_size, 0
	.set _ZL8moe_q5_0IN3c104HalfELb0EEvPKvS3_PT_PKiS7_S7_iiiiiii.uses_vcc, 1
	.set _ZL8moe_q5_0IN3c104HalfELb0EEvPKvS3_PT_PKiS7_S7_iiiiiii.uses_flat_scratch, 0
	.set _ZL8moe_q5_0IN3c104HalfELb0EEvPKvS3_PT_PKiS7_S7_iiiiiii.has_dyn_sized_stack, 0
	.set _ZL8moe_q5_0IN3c104HalfELb0EEvPKvS3_PT_PKiS7_S7_iiiiiii.has_recursion, 0
	.set _ZL8moe_q5_0IN3c104HalfELb0EEvPKvS3_PT_PKiS7_S7_iiiiiii.has_indirect_call, 0
	.section	.AMDGPU.csdata,"",@progbits
; Kernel info:
; codeLenInByte = 12868
; TotalNumSgprs: 35
; NumVgprs: 168
; NumAgprs: 0
; TotalNumVgprs: 168
; ScratchSize: 0
; MemoryBound: 0
; FloatMode: 240
; IeeeMode: 1
; LDSByteSize: 38656 bytes/workgroup (compile time only)
; SGPRBlocks: 12
; VGPRBlocks: 20
; NumSGPRsForWavesPerEU: 102
; NumVGPRsForWavesPerEU: 168
; AccumOffset: 168
; Occupancy: 3
; WaveLimiterHint : 1
; COMPUTE_PGM_RSRC2:SCRATCH_EN: 0
; COMPUTE_PGM_RSRC2:USER_SGPR: 2
; COMPUTE_PGM_RSRC2:TRAP_HANDLER: 0
; COMPUTE_PGM_RSRC2:TGID_X_EN: 1
; COMPUTE_PGM_RSRC2:TGID_Y_EN: 1
; COMPUTE_PGM_RSRC2:TGID_Z_EN: 0
; COMPUTE_PGM_RSRC2:TIDIG_COMP_CNT: 1
; COMPUTE_PGM_RSRC3_GFX90A:ACCUM_OFFSET: 41
; COMPUTE_PGM_RSRC3_GFX90A:TG_SPLIT: 0
	.section	.text._ZL8moe_q5_0IN3c104HalfELb1EEvPKvS3_PT_PKiS7_S7_iiiiiii,"axG",@progbits,_ZL8moe_q5_0IN3c104HalfELb1EEvPKvS3_PT_PKiS7_S7_iiiiiii,comdat
	.globl	_ZL8moe_q5_0IN3c104HalfELb1EEvPKvS3_PT_PKiS7_S7_iiiiiii ; -- Begin function _ZL8moe_q5_0IN3c104HalfELb1EEvPKvS3_PT_PKiS7_S7_iiiiiii
	.p2align	8
	.type	_ZL8moe_q5_0IN3c104HalfELb1EEvPKvS3_PT_PKiS7_S7_iiiiiii,@function
_ZL8moe_q5_0IN3c104HalfELb1EEvPKvS3_PT_PKiS7_S7_iiiiiii: ; @_ZL8moe_q5_0IN3c104HalfELb1EEvPKvS3_PT_PKiS7_S7_iiiiiii
; %bb.0:
	s_load_dwordx4 s[4:7], s[0:1], 0x18
	s_mov_b32 s8, s3
	s_mov_b32 s9, 0
	s_lshl_b64 s[10:11], s[8:9], 2
	s_waitcnt lgkmcnt(0)
	s_add_u32 s6, s6, s10
	s_addc_u32 s7, s7, s11
	s_load_dword s3, s[6:7], 0x0
	s_waitcnt lgkmcnt(0)
	s_cmpk_gt_u32 s3, 0xff
	s_cbranch_scc1 .LBB202_26
; %bb.1:
	s_load_dwordx2 s[6:7], s[0:1], 0x28
	s_waitcnt lgkmcnt(0)
	s_load_dword s7, s[6:7], 0x0
	s_lshl_b32 s6, s8, 3
	s_waitcnt lgkmcnt(0)
	s_cmp_gt_u32 s6, s7
	s_cbranch_scc1 .LBB202_26
; %bb.2:
	v_bfe_u32 v2, v0, 10, 10
	v_mov_b32_e32 v4, s4
	v_mov_b32_e32 v5, s5
	v_add_u32_e32 v102, s6, v2
	v_mov_b32_e32 v103, 0
	v_lshl_add_u64 v[4:5], v[102:103], 2, v[4:5]
	global_load_dword v1, v[4:5], off
	s_load_dwordx8 s[4:11], s[0:1], 0x30
	s_load_dwordx2 s[16:17], s[0:1], 0x10
	s_waitcnt lgkmcnt(0)
	s_lshl_b32 s11, s2, 7
	v_mov_b32_e32 v102, v103
	v_mov_b32_e32 v137, v103
	s_cmp_lt_i32 s5, 32
	v_mov_b32_e32 v136, v103
	s_cbranch_scc1 .LBB202_17
; %bb.3:
	s_load_dwordx4 s[12:15], s[0:1], 0x0
	s_ashr_i32 s0, s5, 31
	s_lshr_b32 s0, s0, 27
	s_add_i32 s0, s5, s0
	s_ashr_i32 s26, s0, 5
	s_ashr_i32 s0, s8, 31
	s_lshr_b32 s0, s0, 27
	s_add_i32 s0, s8, s0
	s_ashr_i32 s8, s0, 5
	s_not_b32 s0, s11
	s_mul_i32 s18, s3, s4
	s_add_i32 s3, s6, s0
	v_and_b32_e32 v22, 0x3ff, v0
	v_min_i32_e32 v5, s3, v2
	v_lshlrev_b32_e32 v4, 3, v22
	s_movk_i32 s4, 0x104
	v_mul_lo_u32 v9, v5, s26
	v_mad_u64_u32 v[26:27], s[0:1], v5, s4, v[4:5]
	v_add_u32_e32 v5, 8, v2
	v_min_i32_e32 v5, s3, v5
	v_mul_lo_u32 v10, v5, s26
	v_mad_u64_u32 v[28:29], s[0:1], v5, s4, v[4:5]
	v_add_u32_e32 v5, 16, v2
	v_min_i32_e32 v5, s3, v5
	v_mul_lo_u32 v11, v5, s26
	v_mad_u64_u32 v[30:31], s[0:1], v5, s4, v[4:5]
	v_add_u32_e32 v5, 24, v2
	v_min_i32_e32 v5, s3, v5
	v_mul_lo_u32 v12, v5, s26
	v_mad_u64_u32 v[32:33], s[0:1], v5, s4, v[4:5]
	v_add_u32_e32 v5, 32, v2
	v_min_i32_e32 v5, s3, v5
	v_mul_lo_u32 v13, v5, s26
	v_mad_u64_u32 v[34:35], s[0:1], v5, s4, v[4:5]
	v_add_u32_e32 v5, 40, v2
	v_min_i32_e32 v5, s3, v5
	v_mul_lo_u32 v14, v5, s26
	v_mad_u64_u32 v[36:37], s[0:1], v5, s4, v[4:5]
	v_add_u32_e32 v5, 48, v2
	v_min_i32_e32 v5, s3, v5
	v_mul_lo_u32 v15, v5, s26
	v_mad_u64_u32 v[38:39], s[0:1], v5, s4, v[4:5]
	v_add_u32_e32 v5, 56, v2
	v_min_i32_e32 v5, s3, v5
	v_mul_lo_u32 v16, v5, s26
	v_mad_u64_u32 v[40:41], s[0:1], v5, s4, v[4:5]
	v_add_u32_e32 v5, 64, v2
	v_min_i32_e32 v5, s3, v5
	v_mul_lo_u32 v17, v5, s26
	v_mad_u64_u32 v[42:43], s[0:1], v5, s4, v[4:5]
	v_add_u32_e32 v5, 0x48, v2
	v_min_i32_e32 v5, s3, v5
	v_mul_lo_u32 v18, v5, s26
	v_mad_u64_u32 v[44:45], s[0:1], v5, s4, v[4:5]
	v_add_u32_e32 v5, 0x50, v2
	v_min_i32_e32 v5, s3, v5
	v_mul_lo_u32 v19, v5, s26
	v_mad_u64_u32 v[46:47], s[0:1], v5, s4, v[4:5]
	v_add_u32_e32 v5, 0x58, v2
	v_min_i32_e32 v5, s3, v5
	v_mul_lo_u32 v20, v5, s26
	v_mad_u64_u32 v[48:49], s[0:1], v5, s4, v[4:5]
	v_add_u32_e32 v5, 0x60, v2
	v_min_i32_e32 v5, s3, v5
	v_mul_lo_u32 v21, v5, s26
	v_mad_u64_u32 v[50:51], s[0:1], v5, s4, v[4:5]
	v_add_u32_e32 v5, 0x68, v2
	v_min_i32_e32 v5, s3, v5
	v_mul_lo_u32 v51, v5, s26
	v_mad_u64_u32 v[52:53], s[0:1], v5, s4, v[4:5]
	v_add_u32_e32 v5, 0x70, v2
	v_min_i32_e32 v5, s3, v5
	v_mul_lo_u32 v53, v5, s26
	v_mad_u64_u32 v[54:55], s[0:1], v5, s4, v[4:5]
	v_add_u32_e32 v5, 0x78, v2
	v_min_i32_e32 v5, s3, v5
	v_bfe_u32 v27, v0, 3, 7
	v_mad_u64_u32 v[56:57], s[0:1], v5, s4, v[4:5]
	v_lshl_add_u32 v4, v2, 2, v27
	v_mul_lo_u32 v55, v5, s26
	v_min_i32_e32 v5, s3, v4
	v_ashrrev_i32_e32 v6, 31, v5
	v_lshrrev_b32_e32 v6, 30, v6
	v_and_b32_e32 v57, 7, v0
	v_mul_lo_u32 v102, v5, s26
	v_add_u32_e32 v6, v5, v6
	v_lshlrev_b32_e32 v104, 5, v5
	v_add_u32_e32 v5, 32, v4
	v_and_b32_e32 v6, -4, v6
	v_lshlrev_b32_e32 v7, 2, v57
	s_mov_b32 s0, 0x8200
	v_min_i32_e32 v5, s3, v5
	v_add3_u32 v103, v6, v7, s0
	v_ashrrev_i32_e32 v6, 31, v5
	v_lshrrev_b32_e32 v6, 30, v6
	v_mul_lo_u32 v105, v5, s26
	v_add_u32_e32 v6, v5, v6
	v_lshlrev_b32_e32 v109, 5, v5
	v_add_u32_e32 v5, 64, v4
	v_and_b32_e32 v6, -4, v6
	v_min_i32_e32 v5, s3, v5
	v_add3_u32 v108, v6, v7, s0
	v_ashrrev_i32_e32 v6, 31, v5
	v_add_u32_e32 v4, 0x60, v4
	v_lshrrev_b32_e32 v6, 30, v6
	v_min_i32_e32 v4, s3, v4
	v_mul_lo_u32 v106, v5, s26
	v_add_u32_e32 v6, v5, v6
	v_lshlrev_b32_e32 v111, 5, v5
	v_ashrrev_i32_e32 v5, 31, v4
	v_lshrrev_b32_e32 v5, 30, v5
	v_add_u32_e32 v5, v4, v5
	v_and_b32_e32 v6, -4, v6
	v_and_b32_e32 v5, -4, v5
	v_add3_u32 v110, v6, v7, s0
	v_add3_u32 v112, v5, v7, s0
	v_mov_b32_e32 v7, 0x9280
	v_and_b32_e32 v6, 31, v0
	v_lshl_add_u32 v29, v2, 7, v7
	s_abs_i32 s3, s10
	v_lshl_or_b32 v31, v6, 2, v29
	v_mov_b32_e32 v6, 0x9680
	v_cvt_f32_u32_e32 v7, s3
	v_lshlrev_b32_e32 v3, 2, v22
	v_lshl_add_u32 v33, v2, 4, v6
	v_and_b32_e32 v24, 12, v3
	v_mul_lo_u32 v107, v4, s26
	v_lshlrev_b32_e32 v113, 5, v4
	v_and_b32_e32 v4, 28, v3
	v_add_u32_e32 v35, v33, v3
	v_and_b32_e32 v2, 0xfc, v0
	v_lshlrev_b32_e32 v3, 5, v22
	v_add3_u32 v37, v3, v2, s0
	v_add_u32_e32 v2, 32, v22
	v_and_b32_e32 v3, 0x1fc, v2
	v_lshlrev_b32_e32 v6, 5, v2
	v_lshrrev_b32_e32 v45, 3, v2
	v_rcp_iflag_f32_e32 v2, v7
	v_add3_u32 v39, v6, v3, s0
	v_add_u32_e32 v3, 64, v22
	v_and_b32_e32 v6, 0x1fc, v3
	v_mul_f32_e32 v2, 0x4f7ffffe, v2
	v_lshlrev_b32_e32 v3, 5, v3
	v_cvt_u32_f32_e32 v2, v2
	v_add3_u32 v41, v3, v6, s0
	v_add_u32_e32 v3, 0x60, v22
	v_and_b32_e32 v6, 0x1fc, v3
	v_lshlrev_b32_e32 v3, 5, v3
	v_add3_u32 v43, v3, v6, s0
	s_sub_i32 s0, 0, s3
	v_mul_lo_u32 v7, s0, v2
	s_waitcnt vmcnt(0)
	v_sub_u32_e32 v6, 0, v1
	v_mul_hi_u32 v7, v2, v7
	v_max_i32_e32 v6, v1, v6
	v_add_u32_e32 v2, v2, v7
	v_mul_hi_u32 v2, v6, v2
	v_mul_lo_u32 v7, v2, s3
	v_sub_u32_e32 v6, v6, v7
	v_add_u32_e32 v7, 1, v2
	v_cmp_le_u32_e64 s[0:1], s3, v6
	v_xor_b32_e32 v3, s10, v1
	v_ashrrev_i32_e32 v3, 31, v3
	v_cndmask_b32_e64 v2, v2, v7, s[0:1]
	v_subrev_u32_e32 v7, s3, v6
	v_cndmask_b32_e64 v6, v6, v7, s[0:1]
	v_add_u32_e32 v7, 1, v2
	v_cmp_le_u32_e64 s[0:1], s3, v6
	v_mov_b32_e32 v25, 0
	v_mov_b32_e32 v5, v25
	v_cndmask_b32_e64 v2, v2, v7, s[0:1]
	v_xor_b32_e32 v2, v2, v3
	v_sub_u32_e32 v2, v2, v3
	v_cmp_gt_i32_e64 s[0:1], s7, v2
	v_mul_lo_u32 v2, v2, s8
	v_ashrrev_i32_e32 v3, 31, v2
	v_mov_b32_e32 v23, v25
	s_mul_i32 s2, s26, s11
	s_waitcnt lgkmcnt(0)
	v_lshl_add_u64 v[58:59], s[14:15], 0, v[4:5]
	v_lshl_add_u64 v[4:5], v[2:3], 0, v[22:23]
	v_mad_u64_u32 v[6:7], s[22:23], v4, 36, s[14:15]
	s_mul_hi_i32 s3, s2, 22
	s_mul_i32 s6, s2, 22
	v_bfe_u32 v8, v0, 2, 8
	v_add_u32_e32 v47, v45, v2
	v_add_u32_e32 v49, v27, v2
	v_mad_i32_i24 v7, v5, 36, v7
	s_mov_b64 s[22:23], 0x90
	v_add_u32_e32 v23, v22, v2
	v_mov_b32_e32 v2, s6
	v_mov_b32_e32 v3, s3
	v_lshl_add_u64 v[60:61], v[6:7], 0, s[22:23]
	v_mad_u64_u32 v[2:3], s[22:23], v8, 22, v[2:3]
	v_mad_i64_i32 v[4:5], s[22:23], v9, 22, v[2:3]
	v_lshl_add_u64 v[6:7], v[4:5], 0, v[24:25]
	v_lshl_add_u64 v[6:7], s[12:13], 0, v[6:7]
	v_lshl_add_u64 v[64:65], s[12:13], 0, v[4:5]
	v_mad_i64_i32 v[4:5], s[22:23], v10, 22, v[2:3]
	v_lshl_add_u64 v[62:63], v[6:7], 0, 6
	v_lshl_add_u64 v[6:7], v[4:5], 0, v[24:25]
	v_lshl_add_u64 v[4:5], s[12:13], 0, v[4:5]
	v_lshl_add_u64 v[6:7], s[12:13], 0, v[6:7]
	v_lshl_add_u64 v[68:69], v[4:5], 0, 2
	v_mad_i64_i32 v[4:5], s[22:23], v11, 22, v[2:3]
	v_lshl_add_u64 v[66:67], v[6:7], 0, 6
	v_lshl_add_u64 v[6:7], v[4:5], 0, v[24:25]
	;; [unrolled: 6-line block ×9, first 2 shown]
	v_lshl_add_u64 v[4:5], s[12:13], 0, v[4:5]
	v_lshl_add_u64 v[6:7], s[12:13], 0, v[6:7]
	;; [unrolled: 1-line block ×3, first 2 shown]
	v_mad_i64_i32 v[4:5], s[22:23], v19, 22, v[2:3]
	v_lshl_add_u64 v[98:99], v[6:7], 0, 6
	v_mad_i64_i32 v[6:7], s[22:23], v20, 22, v[2:3]
	v_mad_i64_i32 v[10:11], s[22:23], v51, 22, v[2:3]
	;; [unrolled: 1-line block ×3, first 2 shown]
	v_add_u32_e32 v51, v103, v104
	v_lshl_add_u64 v[102:103], v[4:5], 0, v[24:25]
	v_lshl_add_u64 v[4:5], s[12:13], 0, v[4:5]
	v_mad_i64_i32 v[8:9], s[22:23], v21, 22, v[2:3]
	v_mad_i64_i32 v[18:19], s[22:23], v106, 22, 0
	;; [unrolled: 1-line block ×3, first 2 shown]
	v_lshl_add_u64 v[106:107], v[4:5], 0, 2
	v_lshl_add_u64 v[4:5], v[6:7], 0, v[24:25]
	;; [unrolled: 1-line block ×3, first 2 shown]
	v_mad_i64_i32 v[12:13], s[22:23], v53, 22, v[2:3]
	v_add_u32_e32 v53, v108, v109
	v_lshl_add_u64 v[108:109], v[4:5], 0, 6
	v_lshl_add_u64 v[4:5], s[12:13], 0, v[6:7]
	v_mad_i64_i32 v[2:3], s[22:23], v55, 22, v[2:3]
	v_mad_i64_i32 v[16:17], s[22:23], v105, 22, 0
	v_add_u32_e32 v55, v110, v111
	v_lshl_add_u64 v[110:111], v[4:5], 0, 2
	v_lshl_add_u64 v[4:5], v[8:9], 0, v[24:25]
	v_mad_i64_i32 v[14:15], s[22:23], s2, 22, v[14:15]
	v_mad_i64_i32 v[16:17], s[22:23], s2, 22, v[16:17]
	;; [unrolled: 1-line block ×4, first 2 shown]
	v_lshl_add_u64 v[4:5], s[12:13], 0, v[4:5]
	v_mad_u64_u32 v[14:15], s[22:23], v57, 22, v[14:15]
	v_mad_u64_u32 v[16:17], s[22:23], v57, 22, v[16:17]
	;; [unrolled: 1-line block ×4, first 2 shown]
	v_add_u32_e32 v57, v112, v113
	v_lshl_add_u64 v[112:113], v[4:5], 0, 6
	v_lshl_add_u64 v[4:5], s[12:13], 0, v[8:9]
	;; [unrolled: 1-line block ×14, first 2 shown]
	v_cmp_gt_u32_e32 vcc, 4, v22
	v_lshl_add_u64 v[102:103], s[12:13], 0, v[102:103]
	v_lshl_add_u64 v[4:5], s[12:13], 0, v[4:5]
	;; [unrolled: 1-line block ×3, first 2 shown]
	s_ashr_i32 s19, s18, 31
	s_mov_b32 s4, 0
	s_and_b64 s[20:21], vcc, s[0:1]
	v_lshl_add_u64 v[104:105], v[102:103], 0, 6
	v_lshl_add_u64 v[124:125], v[4:5], 0, 6
	;; [unrolled: 1-line block ×7, first 2 shown]
	s_movk_i32 s6, 0x80
	s_movk_i32 s27, 0x1f00
	s_mov_b32 s28, 0xc0c0105
	s_mov_b64 s[12:13], 0x120
	s_mov_b64 s[22:23], 0xb0
	v_mov_b32_e32 v136, v25
	v_mov_b32_e32 v137, v25
	;; [unrolled: 1-line block ×4, first 2 shown]
	v_mul_u32_u24_e32 v25, 0x104, v22
	v_mov_b32_e32 v144, 8
	s_branch .LBB202_6
.LBB202_4:                              ;   in Loop: Header=BB202_6 Depth=1
	s_or_b64 exec, exec, s[24:25]
	s_waitcnt lgkmcnt(0)
	s_barrier
	ds_read_b128 v[14:17], v29
	ds_read_b128 v[18:21], v29 offset:16
	ds_read2_b32 v[138:139], v25 offset0:32 offset1:33
	ds_read_b128 v[2:5], v29 offset:32
	ds_read_b128 v[6:9], v29 offset:48
	ds_read_b128 v[10:13], v33
	ds_read2_b32 v[142:143], v25 offset0:34 offset1:35
	v_mov_b32_e32 v145, 0
	s_waitcnt lgkmcnt(4)
	v_dot4c_i32_i8_e32 v145, v138, v14
	v_dot4c_i32_i8_e32 v145, v139, v18
	ds_read2_b32 v[138:139], v25 offset0:36 offset1:37
	ds_read2_b32 v[146:147], v25 offset0:38 offset1:39
	;; [unrolled: 1-line block ×3, first 2 shown]
	s_waitcnt lgkmcnt(3)
	v_dot4c_i32_i8_e32 v145, v142, v15
	v_dot4c_i32_i8_e32 v145, v143, v19
	s_waitcnt lgkmcnt(2)
	v_dot4c_i32_i8_e32 v145, v138, v16
	v_add_u32_e32 v138, 0x2100, v25
	v_dot4c_i32_i8_e32 v145, v139, v20
	ds_read2_b32 v[148:149], v138 offset1:1
	s_waitcnt lgkmcnt(2)
	v_dot4c_i32_i8_e32 v145, v146, v17
	v_add_u32_e32 v146, 0x2108, v25
	v_dot4c_i32_i8_e32 v145, v147, v21
	ds_read2_b32 v[138:139], v43 offset0:4 offset1:5
	ds_read2_b32 v[142:143], v43 offset0:6 offset1:7
	ds_read2_b32 v[146:147], v146 offset1:1
	v_mov_b32_e32 v156, 0
	s_waitcnt lgkmcnt(3)
	v_dot4c_i32_i8_e32 v156, v148, v14
	v_add_u32_e32 v148, 0x2110, v25
	v_add_u32_e32 v150, 0x2118, v25
	;; [unrolled: 1-line block ×3, first 2 shown]
	v_dot4c_i32_i8_e32 v156, v149, v18
	ds_read2_b32 v[148:149], v148 offset1:1
	ds_read2_b32 v[150:151], v150 offset1:1
	;; [unrolled: 1-line block ×3, first 2 shown]
	s_waitcnt lgkmcnt(3)
	v_dot4c_i32_i8_e32 v156, v146, v15
	v_dot4c_i32_i8_e32 v156, v147, v19
	s_waitcnt lgkmcnt(2)
	v_dot4c_i32_i8_e32 v156, v148, v16
	v_dot4c_i32_i8_e32 v156, v149, v20
	v_mov_b32_e32 v157, 0
	s_waitcnt lgkmcnt(1)
	v_dot4c_i32_i8_e32 v156, v150, v17
	s_waitcnt lgkmcnt(0)
	v_dot4c_i32_i8_e32 v157, v152, v14
	v_add_u32_e32 v148, 0x4188, v25
	v_add_u32_e32 v150, 0x4190, v25
	;; [unrolled: 1-line block ×4, first 2 shown]
	v_dot4c_i32_i8_e32 v156, v151, v21
	ds_read2_b32 v[146:147], v41 offset0:4 offset1:5
	ds_read2_b32 v[148:149], v148 offset1:1
	v_dot4c_i32_i8_e32 v157, v153, v18
	ds_read2_b32 v[150:151], v150 offset1:1
	ds_read2_b32 v[152:153], v152 offset1:1
	;; [unrolled: 1-line block ×3, first 2 shown]
	v_mov_b32_e32 v158, 0
	v_mov_b32_e32 v159, 0
	s_waitcnt lgkmcnt(3)
	v_dot4c_i32_i8_e32 v157, v148, v15
	v_dot4c_i32_i8_e32 v157, v149, v19
	s_waitcnt lgkmcnt(0)
	v_dot4c_i32_i8_e32 v158, v154, v14
	v_add_u32_e32 v14, 0x6208, v25
	ds_read2_b32 v[148:149], v14 offset1:1
	v_dot4c_i32_i8_e32 v157, v150, v16
	v_dot4c_i32_i8_e32 v157, v151, v20
	v_dot4c_i32_i8_e32 v157, v152, v17
	v_add_u32_e32 v14, 0x6210, v25
	v_add_u32_e32 v154, 0x2120, v25
	v_dot4c_i32_i8_e32 v157, v153, v21
	v_dot4c_i32_i8_e32 v158, v155, v18
	v_add_u32_e32 v18, 0x6218, v25
	ds_read2_b32 v[150:151], v14 offset1:1
	ds_read2_b32 v[152:153], v18 offset1:1
	;; [unrolled: 1-line block ×3, first 2 shown]
	s_waitcnt lgkmcnt(3)
	v_dot4c_i32_i8_e32 v158, v148, v15
	v_dot4c_i32_i8_e32 v158, v149, v19
	ds_read2_b32 v[14:15], v25 offset0:42 offset1:43
	s_waitcnt lgkmcnt(3)
	v_dot4c_i32_i8_e32 v158, v150, v16
	v_dot4c_i32_i8_e32 v158, v151, v20
	s_waitcnt lgkmcnt(2)
	v_dot4c_i32_i8_e32 v158, v152, v17
	v_dot4c_i32_i8_e32 v159, v140, v2
	;; [unrolled: 1-line block ×4, first 2 shown]
	ds_read2_b32 v[16:17], v25 offset0:44 offset1:45
	ds_read2_b32 v[18:19], v25 offset0:46 offset1:47
	;; [unrolled: 1-line block ×3, first 2 shown]
	s_waitcnt lgkmcnt(3)
	v_dot4c_i32_i8_e32 v159, v14, v3
	v_add_u32_e32 v14, 0x2128, v25
	v_dot4c_i32_i8_e32 v159, v15, v7
	ds_read2_b32 v[14:15], v14 offset1:1
	s_waitcnt lgkmcnt(3)
	v_dot4c_i32_i8_e32 v159, v16, v4
	v_dot4c_i32_i8_e32 v159, v17, v8
	v_mov_b32_e32 v160, 0
	s_waitcnt lgkmcnt(2)
	v_dot4c_i32_i8_e32 v159, v18, v5
	v_dot4c_i32_i8_e32 v160, v154, v2
	v_add_u32_e32 v16, 0x2130, v25
	v_add_u32_e32 v18, 0x2138, v25
	;; [unrolled: 1-line block ×3, first 2 shown]
	v_dot4c_i32_i8_e32 v159, v19, v9
	v_dot4c_i32_i8_e32 v160, v155, v6
	ds_read2_b32 v[16:17], v16 offset1:1
	ds_read2_b32 v[18:19], v18 offset1:1
	;; [unrolled: 1-line block ×3, first 2 shown]
	s_waitcnt lgkmcnt(3)
	v_dot4c_i32_i8_e32 v160, v14, v3
	v_add_u32_e32 v14, 0x41a8, v25
	v_dot4c_i32_i8_e32 v160, v15, v7
	ds_read2_b32 v[14:15], v14 offset1:1
	s_waitcnt lgkmcnt(3)
	v_dot4c_i32_i8_e32 v160, v16, v4
	v_dot4c_i32_i8_e32 v160, v17, v8
	v_mov_b32_e32 v148, 0
	s_waitcnt lgkmcnt(2)
	v_dot4c_i32_i8_e32 v160, v18, v5
	s_waitcnt lgkmcnt(1)
	v_dot4c_i32_i8_e32 v148, v140, v2
	v_add_u32_e32 v16, 0x41b0, v25
	v_add_u32_e32 v18, 0x41b8, v25
	v_add_u32_e32 v140, 0x6220, v25
	v_dot4c_i32_i8_e32 v160, v19, v9
	v_dot4c_i32_i8_e32 v148, v141, v6
	ds_read2_b32 v[16:17], v16 offset1:1
	ds_read2_b32 v[18:19], v18 offset1:1
	;; [unrolled: 1-line block ×3, first 2 shown]
	s_waitcnt lgkmcnt(3)
	v_dot4c_i32_i8_e32 v148, v14, v3
	v_dot4c_i32_i8_e32 v148, v15, v7
	s_waitcnt lgkmcnt(2)
	v_dot4c_i32_i8_e32 v148, v16, v4
	v_dot4c_i32_i8_e32 v148, v17, v8
	;; [unrolled: 3-line block ×3, first 2 shown]
	v_cvt_f32_i32_e32 v157, v157
	v_mov_b32_e32 v167, 0
	s_nop 0
	v_cvt_f32_i32_e32 v150, v148
	v_mov_b32_e32 v148, 0
	s_waitcnt lgkmcnt(0)
	v_dot4c_i32_i8_e32 v148, v140, v2
	v_add_u32_e32 v2, 0x6228, v25
	ds_read2_b32 v[14:15], v2 offset1:1
	v_add_u32_e32 v2, 0x6230, v25
	v_add_u32_e32 v140, 0x2140, v25
	v_dot4c_i32_i8_e32 v148, v141, v6
	v_add_u32_e32 v6, 0x6238, v25
	ds_read2_b32 v[16:17], v2 offset1:1
	ds_read2_b32 v[18:19], v6 offset1:1
	;; [unrolled: 1-line block ×3, first 2 shown]
	s_waitcnt lgkmcnt(3)
	v_dot4c_i32_i8_e32 v148, v14, v3
	v_dot4c_i32_i8_e32 v148, v15, v7
	s_waitcnt lgkmcnt(2)
	v_dot4c_i32_i8_e32 v148, v16, v4
	v_dot4c_i32_i8_e32 v148, v17, v8
	;; [unrolled: 3-line block ×3, first 2 shown]
	v_cvt_f32_i32_e32 v2, v158
	v_mul_f32_e32 v4, v10, v146
	v_mul_f32_e32 v18, v4, v157
	v_cvt_f32_i32_e32 v3, v148
	v_pk_mul_f32 v[4:5], v[10:11], v[138:139]
	ds_read2_b32 v[14:15], v39 offset0:4 offset1:5
	ds_read2_b32 v[16:17], v39 offset0:6 offset1:7
	;; [unrolled: 1-line block ×3, first 2 shown]
	ds_read_b128 v[6:9], v29 offset:80
	v_pk_mul_f32 v[138:139], v[4:5], v[2:3]
	ds_read_b128 v[2:5], v29 offset:64
	v_mul_f32_e32 v19, v11, v147
	v_mul_f32_e32 v146, v19, v150
	ds_read2_b32 v[150:151], v25 offset0:50 offset1:51
	v_mov_b32_e32 v19, 0
	s_waitcnt lgkmcnt(1)
	v_dot4c_i32_i8_e32 v19, v20, v2
	v_dot4c_i32_i8_e32 v19, v21, v6
	ds_read2_b32 v[20:21], v25 offset0:52 offset1:53
	ds_read2_b32 v[152:153], v25 offset0:54 offset1:55
	;; [unrolled: 1-line block ×3, first 2 shown]
	s_waitcnt lgkmcnt(3)
	v_dot4c_i32_i8_e32 v19, v150, v3
	v_dot4c_i32_i8_e32 v19, v151, v7
	s_waitcnt lgkmcnt(2)
	v_dot4c_i32_i8_e32 v19, v20, v4
	v_add_u32_e32 v20, 0x2148, v25
	v_dot4c_i32_i8_e32 v19, v21, v8
	ds_read2_b32 v[20:21], v20 offset1:1
	v_mov_b32_e32 v147, 0
	s_waitcnt lgkmcnt(2)
	v_dot4c_i32_i8_e32 v19, v152, v5
	v_dot4c_i32_i8_e32 v147, v140, v2
	v_add_u32_e32 v140, 0x2150, v25
	v_add_u32_e32 v150, 0x2158, v25
	v_add_u32_e32 v152, 0x41c0, v25
	v_dot4c_i32_i8_e32 v19, v153, v9
	v_dot4c_i32_i8_e32 v147, v141, v6
	ds_read2_b32 v[140:141], v140 offset1:1
	ds_read2_b32 v[150:151], v150 offset1:1
	;; [unrolled: 1-line block ×3, first 2 shown]
	s_waitcnt lgkmcnt(3)
	v_dot4c_i32_i8_e32 v147, v20, v3
	v_dot4c_i32_i8_e32 v147, v21, v7
	s_waitcnt lgkmcnt(2)
	v_dot4c_i32_i8_e32 v147, v140, v4
	v_dot4c_i32_i8_e32 v147, v141, v8
	v_mov_b32_e32 v157, 0
	s_waitcnt lgkmcnt(1)
	v_dot4c_i32_i8_e32 v147, v150, v5
	s_waitcnt lgkmcnt(0)
	v_dot4c_i32_i8_e32 v157, v152, v2
	v_add_u32_e32 v20, 0x41c8, v25
	v_add_u32_e32 v140, 0x41d0, v25
	;; [unrolled: 1-line block ×4, first 2 shown]
	v_dot4c_i32_i8_e32 v147, v151, v9
	v_dot4c_i32_i8_e32 v157, v153, v6
	ds_read2_b32 v[20:21], v20 offset1:1
	ds_read2_b32 v[140:141], v140 offset1:1
	;; [unrolled: 1-line block ×4, first 2 shown]
	v_mov_b32_e32 v163, v14
	s_waitcnt lgkmcnt(3)
	v_dot4c_i32_i8_e32 v157, v20, v3
	s_waitcnt lgkmcnt(0)
	v_dot4c_i32_i8_e32 v167, v152, v2
	v_add_u32_e32 v2, 0x6248, v25
	v_dot4c_i32_i8_e32 v157, v21, v7
	ds_read2_b32 v[20:21], v2 offset1:1
	v_dot4c_i32_i8_e32 v157, v140, v4
	v_dot4c_i32_i8_e32 v157, v141, v8
	;; [unrolled: 1-line block ×3, first 2 shown]
	v_add_u32_e32 v2, 0x6250, v25
	v_add_u32_e32 v152, 0x2160, v25
	v_dot4c_i32_i8_e32 v157, v151, v9
	v_dot4c_i32_i8_e32 v167, v153, v6
	v_add_u32_e32 v6, 0x6258, v25
	ds_read2_b32 v[140:141], v2 offset1:1
	ds_read2_b32 v[150:151], v6 offset1:1
	;; [unrolled: 1-line block ×3, first 2 shown]
	s_waitcnt lgkmcnt(3)
	v_dot4c_i32_i8_e32 v167, v20, v3
	v_dot4c_i32_i8_e32 v167, v21, v7
	s_waitcnt lgkmcnt(2)
	v_dot4c_i32_i8_e32 v167, v140, v4
	v_dot4c_i32_i8_e32 v167, v141, v8
	;; [unrolled: 3-line block ×3, first 2 shown]
	ds_read_b128 v[2:5], v29 offset:96
	ds_read_b128 v[6:9], v29 offset:112
	ds_read2_b32 v[140:141], v37 offset0:4 offset1:5
	v_cvt_f32_i32_e32 v166, v157
	v_cvt_f32_i32_e32 v21, v156
	;; [unrolled: 1-line block ×4, first 2 shown]
	s_waitcnt lgkmcnt(0)
	v_mov_b32_e32 v162, v140
	v_mov_b32_e32 v14, v141
	v_add_u32_e32 v140, 0x2168, v25
	ds_read2_b32 v[156:157], v25 offset0:58 offset1:59
	ds_read2_b32 v[158:159], v25 offset0:60 offset1:61
	;; [unrolled: 1-line block ×4, first 2 shown]
	ds_read2_b32 v[140:141], v140 offset1:1
	v_pk_mul_f32 v[162:163], v[10:11], v[162:163] op_sel_hi:[0,1]
	v_pk_mul_f32 v[10:11], v[10:11], v[14:15] op_sel:[1,0]
	v_cvt_f32_i32_e32 v14, v19
	v_mov_b32_e32 v19, 0
	v_dot4c_i32_i8_e32 v19, v154, v2
	v_cvt_f32_i32_e32 v20, v145
	v_dot4c_i32_i8_e32 v19, v155, v6
	v_mov_b32_e32 v145, 0
	v_cvt_f32_i32_e32 v15, v147
	s_waitcnt lgkmcnt(4)
	v_dot4c_i32_i8_e32 v19, v156, v3
	v_dot4c_i32_i8_e32 v145, v152, v2
	v_add_u32_e32 v147, 0x2170, v25
	v_add_u32_e32 v154, 0x2178, v25
	;; [unrolled: 1-line block ×3, first 2 shown]
	v_dot4c_i32_i8_e32 v19, v157, v7
	v_dot4c_i32_i8_e32 v145, v153, v6
	ds_read2_b32 v[152:153], v147 offset1:1
	ds_read2_b32 v[154:155], v154 offset1:1
	;; [unrolled: 1-line block ×3, first 2 shown]
	s_waitcnt lgkmcnt(3)
	v_dot4c_i32_i8_e32 v145, v140, v3
	v_dot4c_i32_i8_e32 v145, v141, v7
	;; [unrolled: 1-line block ×3, first 2 shown]
	s_waitcnt lgkmcnt(2)
	v_dot4c_i32_i8_e32 v145, v152, v4
	v_dot4c_i32_i8_e32 v19, v159, v8
	;; [unrolled: 1-line block ×4, first 2 shown]
	s_waitcnt lgkmcnt(1)
	v_dot4c_i32_i8_e32 v145, v154, v5
	v_dot4c_i32_i8_e32 v19, v161, v9
	;; [unrolled: 1-line block ×3, first 2 shown]
	v_add_u32_e32 v158, 0x6260, v25
	v_add_u32_e32 v147, 0x41f8, v25
	v_cvt_f32_i32_e32 v140, v19
	v_cvt_f32_i32_e32 v141, v145
	v_mov_b32_e32 v19, 0
	v_add_u32_e32 v145, 0x41e8, v25
	s_waitcnt lgkmcnt(0)
	v_dot4c_i32_i8_e32 v19, v156, v2
	ds_read2_b32 v[152:153], v145 offset1:1
	v_add_u32_e32 v145, 0x41f0, v25
	v_dot4c_i32_i8_e32 v19, v157, v6
	ds_read2_b32 v[154:155], v145 offset1:1
	ds_read2_b32 v[156:157], v147 offset1:1
	ds_read2_b32 v[158:159], v158 offset1:1
	v_mov_b32_e32 v145, 0
	s_waitcnt lgkmcnt(3)
	v_dot4c_i32_i8_e32 v19, v152, v3
	v_dot4c_i32_i8_e32 v19, v153, v7
	s_waitcnt lgkmcnt(2)
	v_dot4c_i32_i8_e32 v19, v154, v4
	s_waitcnt lgkmcnt(0)
	v_dot4c_i32_i8_e32 v145, v158, v2
	v_add_u32_e32 v2, 0x6268, v25
	ds_read2_b32 v[152:153], v2 offset1:1
	v_add_u32_e32 v2, 0x6270, v25
	v_dot4c_i32_i8_e32 v19, v155, v8
	ds_read2_b32 v[154:155], v2 offset1:1
	v_dot4c_i32_i8_e32 v19, v156, v5
	v_add_u32_e32 v2, 0x6278, v25
	v_dot4c_i32_i8_e32 v19, v157, v9
	v_dot4c_i32_i8_e32 v145, v159, v6
	ds_read2_b32 v[156:157], v2 offset1:1
	s_waitcnt lgkmcnt(2)
	v_dot4c_i32_i8_e32 v145, v152, v3
	v_dot4c_i32_i8_e32 v145, v153, v7
	s_waitcnt lgkmcnt(1)
	v_dot4c_i32_i8_e32 v145, v154, v4
	v_dot4c_i32_i8_e32 v145, v155, v8
	;; [unrolled: 3-line block ×3, first 2 shown]
	v_cvt_f32_i32_e32 v19, v19
	v_cvt_f32_i32_e32 v4, v167
	v_mov_b32_e32 v2, v164
	v_cvt_f32_i32_e32 v5, v145
	v_mov_b32_e32 v3, v16
	v_pk_mul_f32 v[8:9], v[12:13], v[142:143]
	v_mul_f32_e32 v7, v13, v149
	v_pk_mul_f32 v[2:3], v[12:13], v[2:3] op_sel_hi:[0,1]
	v_mul_f32_e32 v6, v12, v148
	v_pk_mul_f32 v[4:5], v[8:9], v[4:5]
	v_mov_b32_e32 v8, v13
	v_mov_b32_e32 v16, v165
	v_mul_f32_e32 v12, v7, v19
	v_mov_b32_e32 v19, v138
	v_pk_mul_f32 v[8:9], v[8:9], v[16:17] op_sel_hi:[0,1]
	v_mov_b32_e32 v147, v139
	v_mov_b32_e32 v7, v4
	;; [unrolled: 1-line block ×3, first 2 shown]
	v_pk_fma_f32 v[4:5], v[162:163], v[20:21], v[136:137]
	v_pk_add_f32 v[16:17], v[102:103], v[18:19]
	v_mul_f32_e32 v6, v6, v166
	v_pk_fma_f32 v[4:5], v[10:11], v[150:151], v[4:5]
	v_pk_add_f32 v[10:11], v[16:17], v[146:147]
	v_pk_fma_f32 v[2:3], v[2:3], v[14:15], v[4:5]
	v_pk_add_f32 v[4:5], v[10:11], v[6:7]
	;; [unrolled: 2-line block ×3, first 2 shown]
	s_barrier
.LBB202_5:                              ;   in Loop: Header=BB202_6 Depth=1
	s_add_i32 s4, s4, 8
	s_addk_i32 s6, 0x100
	v_lshl_add_u64 v[60:61], v[60:61], 0, s[12:13]
	v_lshl_add_u64 v[62:63], v[62:63], 0, s[22:23]
	;; [unrolled: 1-line block ×36, first 2 shown]
	s_cmp_ge_i32 s4, s26
	v_lshl_add_u64 v[134:135], v[134:135], 0, s[22:23]
	s_cbranch_scc1 .LBB202_17
.LBB202_6:                              ; =>This Inner Loop Header: Depth=1
	v_lshl_add_u64 v[2:3], v[62:63], 0, s[18:19]
	global_load_dword v10, v[2:3], off
	v_lshl_add_u64 v[2:3], v[64:65], 0, s[18:19]
	global_load_dword v11, v[2:3], off offset:2
	v_lshl_add_u64 v[4:5], v[68:69], 0, s[18:19]
	v_lshl_add_u64 v[2:3], v[66:67], 0, s[18:19]
	global_load_dword v12, v[4:5], off
	global_load_dword v13, v[2:3], off
	v_lshl_add_u64 v[2:3], v[70:71], 0, s[18:19]
	v_lshl_add_u64 v[6:7], v[74:75], 0, s[18:19]
	;; [unrolled: 1-line block ×4, first 2 shown]
	global_load_dword v14, v[2:3], off
	s_nop 0
	global_load_dword v2, v[4:5], off
	s_nop 0
	;; [unrolled: 2-line block ×3, first 2 shown]
	global_load_dword v7, v[8:9], off
	s_add_i32 s2, s6, 0xffffff80
	s_cmp_lt_i32 s2, s5
	s_waitcnt vmcnt(7)
	v_and_b32_e32 v4, 0xf0f0f0f, v10
	v_lshrrev_b32_e32 v5, 4, v10
	s_waitcnt vmcnt(6)
	v_ashrrev_i32_e32 v3, v24, v11
	v_lshlrev_b32_e32 v11, 4, v3
	s_waitcnt vmcnt(5)
	v_ashrrev_i32_e32 v8, v24, v12
	s_waitcnt vmcnt(4)
	v_and_b32_e32 v9, 0xf0f0f0f, v13
	v_lshrrev_b32_e32 v10, 4, v13
	v_lshlrev_b32_e32 v12, 11, v3
	v_lshlrev_b32_e32 v13, 18, v3
	v_lshlrev_b32_e32 v15, 25, v3
	v_lshrrev_b32_e32 v16, 12, v3
	v_lshrrev_b32_e32 v17, 5, v3
	v_and_b32_e32 v5, 0xf0f0f0f, v5
	v_lshlrev_b32_e32 v18, 2, v3
	v_lshlrev_b32_e32 v3, 9, v3
	;; [unrolled: 1-line block ×6, first 2 shown]
	v_and_b32_e32 v11, 16, v11
	v_and_b32_e32 v12, 0x1000, v12
	v_and_b32_e32 v13, 0x100000, v13
	v_and_b32_e32 v15, 0x10000000, v15
	v_and_b32_e32 v16, 16, v16
	v_and_b32_e32 v17, 0x1000, v17
	v_and_b32_e32 v18, 0x100000, v18
	v_and_b32_e32 v3, 0x10000000, v3
	v_and_b32_e32 v19, 16, v19
	v_and_b32_e32 v20, 0x1000, v20
	v_and_b32_e32 v21, 0x100000, v21
	v_and_b32_e32 v138, 0x10000000, v138
	v_or3_b32 v11, v11, v4, v12
	v_or3_b32 v4, v4, v13, v15
	;; [unrolled: 1-line block ×6, first 2 shown]
	v_and_b32_e32 v13, 0x1f00, v11
	v_lshlrev_b16_e32 v11, 8, v11
	v_and_b32_sdwa v15, v4, s27 dst_sel:DWORD dst_unused:UNUSED_PAD src0_sel:WORD_1 src1_sel:DWORD
	v_lshlrev_b16_sdwa v4, v144, v4 dst_sel:DWORD dst_unused:UNUSED_PAD src0_sel:DWORD src1_sel:WORD_1
	v_lshlrev_b16_e32 v17, 8, v12
	v_and_b32_e32 v18, 0x1f00, v5
	v_lshlrev_b16_e32 v5, 8, v5
	v_and_b32_sdwa v19, v9, s27 dst_sel:DWORD dst_unused:UNUSED_PAD src0_sel:WORD_1 src1_sel:DWORD
	v_lshlrev_b16_sdwa v9, v144, v9 dst_sel:DWORD dst_unused:UNUSED_PAD src0_sel:DWORD src1_sel:WORD_1
	v_add_u16_e32 v13, 0xf000, v13
	v_add_u16_e32 v11, 0xf000, v11
	;; [unrolled: 1-line block ×5, first 2 shown]
	v_and_b32_sdwa v16, v3, s27 dst_sel:DWORD dst_unused:UNUSED_PAD src0_sel:WORD_1 src1_sel:DWORD
	v_lshlrev_b16_sdwa v3, v144, v3 dst_sel:DWORD dst_unused:UNUSED_PAD src0_sel:DWORD src1_sel:WORD_1
	v_add_u16_e32 v18, 0xf000, v18
	v_add_u16_e32 v5, 0xf000, v5
	v_add_u16_e32 v19, 0xf000, v19
	v_add_u16_e32 v9, 0xf000, v9
	v_perm_b32 v11, v11, v13, s28
	v_perm_b32 v4, v4, v15, s28
	v_lshrrev_b16_e32 v13, 8, v17
	v_add_u16_e32 v16, 0xf000, v16
	v_add_u16_e32 v3, 0xf000, v3
	v_perm_b32 v5, v5, v18, s28
	v_perm_b32 v9, v9, v19, s28
	v_lshl_or_b32 v4, v4, 16, v11
	v_bitop3_b16 v11, v12, v13, s27 bitop3:0xec
	v_perm_b32 v3, v3, v16, s28
	v_lshl_or_b32 v5, v9, 16, v5
	v_add_u16_e32 v9, 0xf000, v11
	v_lshl_or_b32 v3, v3, 16, v9
	v_lshrrev_b32_e32 v139, 12, v8
	v_lshrrev_b32_e32 v140, 5, v8
	ds_write2_b32 v26, v4, v3 offset1:1
	v_lshlrev_b32_e32 v4, 2, v8
	v_lshlrev_b32_e32 v8, 9, v8
	v_and_b32_e32 v10, 0xf0f0f0f, v10
	v_and_b32_e32 v4, 0x100000, v4
	v_and_b32_e32 v8, 0x10000000, v8
	v_or3_b32 v4, v10, v4, v8
	v_and_b32_e32 v139, 16, v139
	v_and_b32_e32 v140, 0x1000, v140
	v_and_b32_sdwa v8, v4, s27 dst_sel:DWORD dst_unused:UNUSED_PAD src0_sel:WORD_1 src1_sel:DWORD
	v_lshlrev_b16_sdwa v4, v144, v4 dst_sel:DWORD dst_unused:UNUSED_PAD src0_sel:DWORD src1_sel:WORD_1
	v_or3_b32 v3, v139, v10, v140
	v_add_u16_e32 v8, 0xf000, v8
	v_add_u16_e32 v4, 0xf000, v4
	v_perm_b32 v4, v4, v8, s28
	v_lshlrev_b16_e32 v8, 8, v3
	v_add_u16_e32 v8, 0xf000, v8
	v_lshrrev_b16_e32 v8, 8, v8
	v_bitop3_b16 v3, v3, v8, s27 bitop3:0xec
	v_add_u16_e32 v3, 0xf000, v3
	v_lshl_or_b32 v3, v4, 16, v3
	s_waitcnt vmcnt(2)
	v_ashrrev_i32_e32 v8, v24, v2
	ds_write2_b32 v28, v5, v3 offset1:1
	v_lshlrev_b32_e32 v3, 4, v8
	v_lshlrev_b32_e32 v4, 11, v8
	v_and_b32_e32 v2, 0xf0f0f0f, v14
	v_and_b32_e32 v3, 16, v3
	;; [unrolled: 1-line block ×3, first 2 shown]
	v_or3_b32 v3, v3, v2, v4
	v_lshlrev_b32_e32 v4, 18, v8
	v_lshlrev_b32_e32 v5, 25, v8
	v_and_b32_e32 v4, 0x100000, v4
	v_and_b32_e32 v5, 0x10000000, v5
	v_or3_b32 v2, v2, v4, v5
	v_and_b32_e32 v4, 0x1f00, v3
	v_lshlrev_b16_e32 v3, 8, v3
	v_add_u16_e32 v4, 0xf000, v4
	v_add_u16_e32 v3, 0xf000, v3
	v_perm_b32 v9, v3, v4, s28
	v_and_b32_sdwa v3, v2, s27 dst_sel:DWORD dst_unused:UNUSED_PAD src0_sel:WORD_1 src1_sel:DWORD
	v_lshl_add_u64 v[4:5], v[80:81], 0, s[18:19]
	v_add_u16_e32 v10, 0xf000, v3
	v_lshlrev_b16_sdwa v11, v144, v2 dst_sel:DWORD dst_unused:UNUSED_PAD src0_sel:DWORD src1_sel:WORD_1
	v_lshl_add_u64 v[2:3], v[78:79], 0, s[18:19]
	global_load_dword v12, v[4:5], off
	global_load_dword v13, v[2:3], off
	v_lshrrev_b32_e32 v3, 4, v14
	v_lshrrev_b32_e32 v4, 12, v8
	;; [unrolled: 1-line block ×3, first 2 shown]
	v_and_b32_e32 v3, 0xf0f0f0f, v3
	v_and_b32_e32 v4, 16, v4
	;; [unrolled: 1-line block ×3, first 2 shown]
	v_or3_b32 v4, v4, v3, v5
	v_lshlrev_b32_e32 v5, 2, v8
	v_lshlrev_b32_e32 v8, 9, v8
	v_and_b32_e32 v5, 0x100000, v5
	v_and_b32_e32 v8, 0x10000000, v8
	v_or3_b32 v3, v3, v5, v8
	v_and_b32_sdwa v5, v3, s27 dst_sel:DWORD dst_unused:UNUSED_PAD src0_sel:WORD_1 src1_sel:DWORD
	v_lshlrev_b16_sdwa v3, v144, v3 dst_sel:DWORD dst_unused:UNUSED_PAD src0_sel:DWORD src1_sel:WORD_1
	v_add_u16_e32 v5, 0xf000, v5
	v_add_u16_e32 v3, 0xf000, v3
	v_perm_b32 v3, v3, v5, s28
	v_lshlrev_b16_e32 v5, 8, v4
	v_add_u16_e32 v5, 0xf000, v5
	v_lshrrev_b16_e32 v5, 8, v5
	v_add_u16_e32 v2, 0xf000, v11
	v_bitop3_b16 v4, v4, v5, s27 bitop3:0xec
	v_perm_b32 v2, v2, v10, s28
	v_add_u16_e32 v4, 0xf000, v4
	v_lshl_or_b32 v2, v2, 16, v9
	v_lshl_or_b32 v3, v3, 16, v4
	s_waitcnt vmcnt(2)
	v_ashrrev_i32_e32 v7, v24, v7
	ds_write2_b32 v30, v2, v3 offset1:1
	v_lshlrev_b32_e32 v3, 4, v7
	v_lshlrev_b32_e32 v4, 11, v7
	v_and_b32_e32 v2, 0xf0f0f0f, v6
	v_and_b32_e32 v3, 16, v3
	v_and_b32_e32 v4, 0x1000, v4
	v_or3_b32 v3, v3, v2, v4
	v_lshlrev_b32_e32 v4, 18, v7
	v_lshlrev_b32_e32 v5, 25, v7
	v_and_b32_e32 v4, 0x100000, v4
	v_and_b32_e32 v5, 0x10000000, v5
	v_or3_b32 v2, v2, v4, v5
	v_and_b32_e32 v4, 0x1f00, v3
	v_lshlrev_b16_e32 v3, 8, v3
	v_add_u16_e32 v4, 0xf000, v4
	v_add_u16_e32 v3, 0xf000, v3
	v_perm_b32 v8, v3, v4, s28
	v_and_b32_sdwa v3, v2, s27 dst_sel:DWORD dst_unused:UNUSED_PAD src0_sel:WORD_1 src1_sel:DWORD
	v_lshl_add_u64 v[4:5], v[84:85], 0, s[18:19]
	v_add_u16_e32 v9, 0xf000, v3
	v_lshlrev_b16_sdwa v10, v144, v2 dst_sel:DWORD dst_unused:UNUSED_PAD src0_sel:DWORD src1_sel:WORD_1
	v_lshl_add_u64 v[2:3], v[82:83], 0, s[18:19]
	global_load_dword v11, v[4:5], off
	global_load_dword v14, v[2:3], off
	v_lshrrev_b32_e32 v3, 4, v6
	v_lshrrev_b32_e32 v4, 12, v7
	v_lshrrev_b32_e32 v5, 5, v7
	v_and_b32_e32 v3, 0xf0f0f0f, v3
	v_and_b32_e32 v4, 16, v4
	v_and_b32_e32 v5, 0x1000, v5
	v_or3_b32 v4, v4, v3, v5
	v_lshlrev_b32_e32 v5, 2, v7
	v_lshlrev_b32_e32 v6, 9, v7
	v_and_b32_e32 v5, 0x100000, v5
	v_and_b32_e32 v6, 0x10000000, v6
	v_or3_b32 v3, v3, v5, v6
	v_and_b32_sdwa v5, v3, s27 dst_sel:DWORD dst_unused:UNUSED_PAD src0_sel:WORD_1 src1_sel:DWORD
	v_lshlrev_b16_sdwa v3, v144, v3 dst_sel:DWORD dst_unused:UNUSED_PAD src0_sel:DWORD src1_sel:WORD_1
	v_add_u16_e32 v5, 0xf000, v5
	v_add_u16_e32 v3, 0xf000, v3
	v_perm_b32 v3, v3, v5, s28
	v_lshlrev_b16_e32 v5, 8, v4
	v_add_u16_e32 v5, 0xf000, v5
	v_lshrrev_b16_e32 v5, 8, v5
	v_add_u16_e32 v2, 0xf000, v10
	v_bitop3_b16 v4, v4, v5, s27 bitop3:0xec
	v_perm_b32 v2, v2, v9, s28
	v_add_u16_e32 v4, 0xf000, v4
	v_lshl_or_b32 v2, v2, 16, v8
	v_lshl_or_b32 v3, v3, 16, v4
	ds_write2_b32 v32, v2, v3 offset1:1
	s_waitcnt vmcnt(3)
	v_ashrrev_i32_e32 v6, v24, v12
	v_lshlrev_b32_e32 v3, 4, v6
	v_lshlrev_b32_e32 v4, 11, v6
	s_waitcnt vmcnt(2)
	v_and_b32_e32 v2, 0xf0f0f0f, v13
	v_and_b32_e32 v3, 16, v3
	v_and_b32_e32 v4, 0x1000, v4
	v_or3_b32 v3, v3, v2, v4
	v_lshlrev_b32_e32 v4, 18, v6
	v_lshlrev_b32_e32 v5, 25, v6
	v_and_b32_e32 v4, 0x100000, v4
	v_and_b32_e32 v5, 0x10000000, v5
	v_or3_b32 v2, v2, v4, v5
	v_and_b32_e32 v4, 0x1f00, v3
	v_lshlrev_b16_e32 v3, 8, v3
	v_add_u16_e32 v4, 0xf000, v4
	v_add_u16_e32 v3, 0xf000, v3
	v_perm_b32 v7, v3, v4, s28
	v_and_b32_sdwa v3, v2, s27 dst_sel:DWORD dst_unused:UNUSED_PAD src0_sel:WORD_1 src1_sel:DWORD
	v_lshl_add_u64 v[4:5], v[88:89], 0, s[18:19]
	v_add_u16_e32 v8, 0xf000, v3
	v_lshlrev_b16_sdwa v9, v144, v2 dst_sel:DWORD dst_unused:UNUSED_PAD src0_sel:DWORD src1_sel:WORD_1
	v_lshl_add_u64 v[2:3], v[86:87], 0, s[18:19]
	global_load_dword v10, v[4:5], off
	global_load_dword v12, v[2:3], off
	v_lshrrev_b32_e32 v3, 4, v13
	v_lshrrev_b32_e32 v4, 12, v6
	v_lshrrev_b32_e32 v5, 5, v6
	v_and_b32_e32 v3, 0xf0f0f0f, v3
	v_and_b32_e32 v4, 16, v4
	v_and_b32_e32 v5, 0x1000, v5
	v_or3_b32 v4, v4, v3, v5
	v_lshlrev_b32_e32 v5, 2, v6
	v_lshlrev_b32_e32 v6, 9, v6
	v_and_b32_e32 v5, 0x100000, v5
	v_and_b32_e32 v6, 0x10000000, v6
	v_or3_b32 v3, v3, v5, v6
	v_and_b32_sdwa v5, v3, s27 dst_sel:DWORD dst_unused:UNUSED_PAD src0_sel:WORD_1 src1_sel:DWORD
	v_lshlrev_b16_sdwa v3, v144, v3 dst_sel:DWORD dst_unused:UNUSED_PAD src0_sel:DWORD src1_sel:WORD_1
	v_add_u16_e32 v5, 0xf000, v5
	v_add_u16_e32 v3, 0xf000, v3
	v_perm_b32 v3, v3, v5, s28
	v_lshlrev_b16_e32 v5, 8, v4
	v_add_u16_e32 v5, 0xf000, v5
	v_lshrrev_b16_e32 v5, 8, v5
	v_add_u16_e32 v2, 0xf000, v9
	v_bitop3_b16 v4, v4, v5, s27 bitop3:0xec
	v_perm_b32 v2, v2, v8, s28
	v_add_u16_e32 v4, 0xf000, v4
	v_lshl_or_b32 v2, v2, 16, v7
	v_lshl_or_b32 v3, v3, 16, v4
	ds_write2_b32 v34, v2, v3 offset1:1
	s_waitcnt vmcnt(3)
	v_ashrrev_i32_e32 v6, v24, v11
	v_lshlrev_b32_e32 v3, 4, v6
	v_lshlrev_b32_e32 v4, 11, v6
	s_waitcnt vmcnt(2)
	;; [unrolled: 53-line block ×10, first 2 shown]
	v_and_b32_e32 v2, 0xf0f0f0f, v13
	v_and_b32_e32 v3, 16, v3
	;; [unrolled: 1-line block ×3, first 2 shown]
	v_or3_b32 v3, v3, v2, v4
	v_lshlrev_b32_e32 v4, 18, v6
	v_lshlrev_b32_e32 v5, 25, v6
	v_and_b32_e32 v4, 0x100000, v4
	v_and_b32_e32 v5, 0x10000000, v5
	v_or3_b32 v2, v2, v4, v5
	v_and_b32_e32 v4, 0x1f00, v3
	v_lshlrev_b16_e32 v3, 8, v3
	v_add_u16_e32 v4, 0xf000, v4
	v_add_u16_e32 v3, 0xf000, v3
	v_perm_b32 v3, v3, v4, s28
	v_and_b32_sdwa v4, v2, s27 dst_sel:DWORD dst_unused:UNUSED_PAD src0_sel:WORD_1 src1_sel:DWORD
	v_lshlrev_b16_sdwa v2, v144, v2 dst_sel:DWORD dst_unused:UNUSED_PAD src0_sel:DWORD src1_sel:WORD_1
	v_add_u16_e32 v4, 0xf000, v4
	v_add_u16_e32 v2, 0xf000, v2
	v_perm_b32 v2, v2, v4, s28
	v_lshl_or_b32 v7, v2, 16, v3
	v_lshrrev_b32_e32 v8, 4, v13
	v_lshl_add_u64 v[2:3], v[124:125], 0, s[18:19]
	v_lshl_add_u64 v[4:5], v[126:127], 0, s[18:19]
	global_load_dword v4, v[4:5], off
	s_nop 0
	global_load_dword v5, v[2:3], off
	v_and_b32_e32 v2, 0xf0f0f0f, v8
	v_lshrrev_b32_e32 v3, 12, v6
	v_lshrrev_b32_e32 v8, 5, v6
	v_and_b32_e32 v3, 16, v3
	v_and_b32_e32 v8, 0x1000, v8
	v_or3_b32 v3, v3, v2, v8
	v_lshlrev_b32_e32 v8, 2, v6
	v_lshlrev_b32_e32 v6, 9, v6
	v_and_b32_e32 v8, 0x100000, v8
	v_and_b32_e32 v6, 0x10000000, v6
	v_or3_b32 v2, v2, v8, v6
	v_and_b32_sdwa v6, v2, s27 dst_sel:DWORD dst_unused:UNUSED_PAD src0_sel:WORD_1 src1_sel:DWORD
	v_lshlrev_b16_sdwa v2, v144, v2 dst_sel:DWORD dst_unused:UNUSED_PAD src0_sel:DWORD src1_sel:WORD_1
	v_add_u16_e32 v6, 0xf000, v6
	v_add_u16_e32 v2, 0xf000, v2
	v_perm_b32 v2, v2, v6, s28
	v_lshlrev_b16_e32 v6, 8, v3
	v_add_u16_e32 v6, 0xf000, v6
	v_lshrrev_b16_e32 v6, 8, v6
	v_bitop3_b16 v3, v3, v6, s27 bitop3:0xec
	v_add_u16_e32 v3, 0xf000, v3
	v_lshl_or_b32 v2, v2, 16, v3
	ds_write2_b32 v52, v7, v2 offset1:1
	s_waitcnt vmcnt(3)
	v_ashrrev_i32_e32 v6, v24, v10
	v_lshlrev_b32_e32 v3, 4, v6
	v_lshlrev_b32_e32 v7, 11, v6
	s_waitcnt vmcnt(2)
	v_and_b32_e32 v2, 0xf0f0f0f, v14
	v_and_b32_e32 v3, 16, v3
	;; [unrolled: 1-line block ×3, first 2 shown]
	v_or3_b32 v3, v3, v2, v7
	v_lshlrev_b32_e32 v7, 18, v6
	v_lshlrev_b32_e32 v8, 25, v6
	v_and_b32_e32 v7, 0x100000, v7
	v_and_b32_e32 v8, 0x10000000, v8
	v_or3_b32 v7, v2, v7, v8
	v_and_b32_e32 v2, 0x1f00, v3
	v_lshlrev_b16_e32 v3, 8, v3
	v_add_u16_e32 v2, 0xf000, v2
	v_add_u16_e32 v3, 0xf000, v3
	v_perm_b32 v8, v3, v2, s28
	v_and_b32_sdwa v2, v7, s27 dst_sel:DWORD dst_unused:UNUSED_PAD src0_sel:WORD_1 src1_sel:DWORD
	v_add_u16_e32 v9, 0xf000, v2
	v_lshl_add_u64 v[2:3], v[128:129], 0, s[18:19]
	global_load_ushort v10, v[2:3], off
	v_lshl_add_u64 v[2:3], v[130:131], 0, s[18:19]
	global_load_ushort v11, v[2:3], off
	;; [unrolled: 2-line block ×4, first 2 shown]
	v_lshlrev_b16_sdwa v7, v144, v7 dst_sel:DWORD dst_unused:UNUSED_PAD src0_sel:DWORD src1_sel:WORD_1
	v_add_u16_e32 v3, 0xf000, v7
	v_perm_b32 v3, v3, v9, s28
	v_lshl_or_b32 v3, v3, 16, v8
	v_lshrrev_b32_e32 v7, 4, v14
	v_lshrrev_b32_e32 v8, 12, v6
	;; [unrolled: 1-line block ×3, first 2 shown]
	v_and_b32_e32 v7, 0xf0f0f0f, v7
	v_and_b32_e32 v8, 16, v8
	;; [unrolled: 1-line block ×3, first 2 shown]
	v_or3_b32 v8, v8, v7, v9
	v_lshlrev_b32_e32 v9, 2, v6
	v_lshlrev_b32_e32 v6, 9, v6
	v_and_b32_e32 v9, 0x100000, v9
	v_and_b32_e32 v6, 0x10000000, v6
	v_or3_b32 v6, v7, v9, v6
	v_and_b32_sdwa v7, v6, s27 dst_sel:DWORD dst_unused:UNUSED_PAD src0_sel:WORD_1 src1_sel:DWORD
	v_lshlrev_b16_sdwa v6, v144, v6 dst_sel:DWORD dst_unused:UNUSED_PAD src0_sel:DWORD src1_sel:WORD_1
	v_add_u16_e32 v7, 0xf000, v7
	v_add_u16_e32 v6, 0xf000, v6
	v_perm_b32 v6, v6, v7, s28
	v_lshlrev_b16_e32 v7, 8, v8
	v_add_u16_e32 v7, 0xf000, v7
	v_lshrrev_b16_e32 v7, 8, v7
	v_bitop3_b16 v7, v8, v7, s27 bitop3:0xec
	v_add_u16_e32 v7, 0xf000, v7
	v_lshl_or_b32 v6, v6, 16, v7
	ds_write2_b32 v54, v3, v6 offset1:1
	s_waitcnt vmcnt(5)
	v_ashrrev_i32_e32 v3, v24, v4
	v_lshlrev_b32_e32 v6, 4, v3
	v_lshlrev_b32_e32 v7, 11, v3
	s_waitcnt vmcnt(4)
	v_and_b32_e32 v4, 0xf0f0f0f, v5
	v_and_b32_e32 v6, 16, v6
	;; [unrolled: 1-line block ×3, first 2 shown]
	v_or3_b32 v6, v6, v4, v7
	v_lshlrev_b32_e32 v7, 18, v3
	v_lshlrev_b32_e32 v8, 25, v3
	v_and_b32_e32 v7, 0x100000, v7
	v_and_b32_e32 v8, 0x10000000, v8
	v_or3_b32 v4, v4, v7, v8
	v_and_b32_e32 v7, 0x1f00, v6
	v_lshlrev_b16_e32 v6, 8, v6
	v_add_u16_e32 v7, 0xf000, v7
	v_add_u16_e32 v6, 0xf000, v6
	v_perm_b32 v6, v6, v7, s28
	v_and_b32_sdwa v7, v4, s27 dst_sel:DWORD dst_unused:UNUSED_PAD src0_sel:WORD_1 src1_sel:DWORD
	v_lshlrev_b16_sdwa v4, v144, v4 dst_sel:DWORD dst_unused:UNUSED_PAD src0_sel:DWORD src1_sel:WORD_1
	v_add_u16_e32 v7, 0xf000, v7
	v_add_u16_e32 v4, 0xf000, v4
	v_perm_b32 v4, v4, v7, s28
	v_lshl_or_b32 v4, v4, 16, v6
	v_lshrrev_b32_e32 v5, 4, v5
	v_lshrrev_b32_e32 v6, 12, v3
	;; [unrolled: 1-line block ×3, first 2 shown]
	v_and_b32_e32 v5, 0xf0f0f0f, v5
	v_and_b32_e32 v6, 16, v6
	;; [unrolled: 1-line block ×3, first 2 shown]
	v_or3_b32 v6, v6, v5, v7
	v_lshlrev_b32_e32 v7, 2, v3
	v_lshlrev_b32_e32 v3, 9, v3
	v_and_b32_e32 v7, 0x100000, v7
	v_and_b32_e32 v3, 0x10000000, v3
	v_or3_b32 v3, v5, v7, v3
	v_and_b32_sdwa v5, v3, s27 dst_sel:DWORD dst_unused:UNUSED_PAD src0_sel:WORD_1 src1_sel:DWORD
	v_lshlrev_b16_sdwa v3, v144, v3 dst_sel:DWORD dst_unused:UNUSED_PAD src0_sel:DWORD src1_sel:WORD_1
	v_add_u16_e32 v5, 0xf000, v5
	v_add_u16_e32 v3, 0xf000, v3
	v_perm_b32 v3, v3, v5, s28
	v_lshlrev_b16_e32 v5, 8, v6
	v_add_u16_e32 v5, 0xf000, v5
	v_lshrrev_b16_e32 v5, 8, v5
	v_bitop3_b16 v5, v6, v5, s27 bitop3:0xec
	v_add_u16_e32 v5, 0xf000, v5
	v_lshl_or_b32 v3, v3, 16, v5
	s_waitcnt vmcnt(3)
	v_cvt_f32_f16_e32 v5, v10
	ds_write2_b32 v56, v4, v3 offset1:1
	s_waitcnt vmcnt(2)
	v_cvt_f32_f16_e32 v6, v11
	s_waitcnt vmcnt(1)
	v_cvt_f32_f16_e32 v3, v12
	ds_write_b32 v51, v5
	ds_write_b32 v53, v6
	s_waitcnt vmcnt(0)
	v_cvt_f32_f16_e32 v2, v2
	ds_write_b32 v55, v3
	ds_write_b32 v57, v2
	s_cbranch_scc0 .LBB202_5
; %bb.7:                                ;   in Loop: Header=BB202_6 Depth=1
	v_add_u32_e32 v2, s4, v27
	v_cmp_gt_i32_e64 s[2:3], s8, v2
	s_and_b64 s[24:25], s[0:1], s[2:3]
	s_and_saveexec_b64 s[2:3], s[24:25]
	s_cbranch_execz .LBB202_9
; %bb.8:                                ;   in Loop: Header=BB202_6 Depth=1
	v_add_u32_e32 v2, s4, v49
	v_mad_i64_i32 v[2:3], s[24:25], v2, 36, v[58:59]
	global_load_dword v2, v[2:3], off offset:4
	s_waitcnt vmcnt(0)
	ds_write_b32 v31, v2
.LBB202_9:                              ;   in Loop: Header=BB202_6 Depth=1
	s_or_b64 exec, exec, s[2:3]
	v_add_u32_e32 v145, s4, v22
	v_cmp_gt_i32_e64 s[2:3], s8, v145
	s_and_b64 s[24:25], s[20:21], s[2:3]
	s_and_saveexec_b64 s[2:3], s[24:25]
	s_cbranch_execz .LBB202_11
; %bb.10:                               ;   in Loop: Header=BB202_6 Depth=1
	v_add_u32_e32 v2, s4, v23
	v_mad_i64_i32 v[2:3], s[24:25], v2, 36, s[14:15]
	global_load_dword v2, v[2:3], off
	s_waitcnt vmcnt(0)
	v_cvt_f32_f16_e32 v2, v2
	ds_write_b32 v35, v2
.LBB202_11:                             ;   in Loop: Header=BB202_6 Depth=1
	s_or_b64 exec, exec, s[2:3]
	s_waitcnt lgkmcnt(0)
	s_barrier
	ds_read_b128 v[14:17], v29
	ds_read_b128 v[18:21], v29 offset:16
	ds_read2_b32 v[138:139], v25 offset1:1
	ds_read_b128 v[2:5], v29 offset:32
	ds_read_b128 v[6:9], v29 offset:48
	ds_read_b128 v[10:13], v33
	ds_read2_b32 v[142:143], v25 offset0:2 offset1:3
	v_mov_b32_e32 v146, 0
	s_waitcnt lgkmcnt(4)
	v_dot4c_i32_i8_e32 v146, v138, v14
	v_dot4c_i32_i8_e32 v146, v139, v18
	ds_read2_b32 v[138:139], v25 offset0:4 offset1:5
	ds_read2_b32 v[148:149], v25 offset0:6 offset1:7
	;; [unrolled: 1-line block ×3, first 2 shown]
	s_waitcnt lgkmcnt(3)
	v_dot4c_i32_i8_e32 v146, v142, v15
	v_dot4c_i32_i8_e32 v146, v143, v19
	s_waitcnt lgkmcnt(2)
	v_dot4c_i32_i8_e32 v146, v138, v16
	v_add_u32_e32 v138, 0x2080, v25
	v_dot4c_i32_i8_e32 v146, v139, v20
	ds_read2_b32 v[150:151], v138 offset1:1
	s_waitcnt lgkmcnt(2)
	v_dot4c_i32_i8_e32 v146, v148, v17
	v_add_u32_e32 v148, 0x2088, v25
	v_dot4c_i32_i8_e32 v146, v149, v21
	ds_read2_b32 v[138:139], v43 offset1:1
	ds_read2_b32 v[142:143], v43 offset0:2 offset1:3
	ds_read2_b32 v[148:149], v148 offset1:1
	v_mov_b32_e32 v147, 0
	s_waitcnt lgkmcnt(3)
	v_dot4c_i32_i8_e32 v147, v150, v14
	v_add_u32_e32 v150, 0x2090, v25
	v_add_u32_e32 v152, 0x2098, v25
	;; [unrolled: 1-line block ×3, first 2 shown]
	v_dot4c_i32_i8_e32 v147, v151, v18
	ds_read2_b32 v[150:151], v150 offset1:1
	ds_read2_b32 v[152:153], v152 offset1:1
	ds_read2_b32 v[154:155], v154 offset1:1
	s_waitcnt lgkmcnt(3)
	v_dot4c_i32_i8_e32 v147, v148, v15
	v_dot4c_i32_i8_e32 v147, v149, v19
	s_waitcnt lgkmcnt(2)
	v_dot4c_i32_i8_e32 v147, v150, v16
	v_dot4c_i32_i8_e32 v147, v151, v20
	v_mov_b32_e32 v158, 0
	s_waitcnt lgkmcnt(1)
	v_dot4c_i32_i8_e32 v147, v152, v17
	s_waitcnt lgkmcnt(0)
	v_dot4c_i32_i8_e32 v158, v154, v14
	v_add_u32_e32 v150, 0x4108, v25
	v_add_u32_e32 v152, 0x4110, v25
	;; [unrolled: 1-line block ×4, first 2 shown]
	v_dot4c_i32_i8_e32 v147, v153, v21
	ds_read2_b32 v[148:149], v41 offset1:1
	ds_read2_b32 v[150:151], v150 offset1:1
	v_dot4c_i32_i8_e32 v158, v155, v18
	ds_read2_b32 v[152:153], v152 offset1:1
	ds_read2_b32 v[154:155], v154 offset1:1
	;; [unrolled: 1-line block ×3, first 2 shown]
	v_mov_b32_e32 v159, 0
	v_mov_b32_e32 v160, 0
	s_waitcnt lgkmcnt(3)
	v_dot4c_i32_i8_e32 v158, v150, v15
	v_dot4c_i32_i8_e32 v158, v151, v19
	s_waitcnt lgkmcnt(0)
	v_dot4c_i32_i8_e32 v159, v156, v14
	v_add_u32_e32 v14, 0x6188, v25
	ds_read2_b32 v[150:151], v14 offset1:1
	v_dot4c_i32_i8_e32 v158, v152, v16
	v_dot4c_i32_i8_e32 v158, v153, v20
	;; [unrolled: 1-line block ×3, first 2 shown]
	v_add_u32_e32 v14, 0x6190, v25
	v_add_u32_e32 v156, 0x20a0, v25
	v_dot4c_i32_i8_e32 v158, v155, v21
	v_dot4c_i32_i8_e32 v159, v157, v18
	v_add_u32_e32 v18, 0x6198, v25
	ds_read2_b32 v[152:153], v14 offset1:1
	ds_read2_b32 v[154:155], v18 offset1:1
	;; [unrolled: 1-line block ×3, first 2 shown]
	s_waitcnt lgkmcnt(3)
	v_dot4c_i32_i8_e32 v159, v150, v15
	v_dot4c_i32_i8_e32 v159, v151, v19
	ds_read2_b32 v[14:15], v25 offset0:10 offset1:11
	s_waitcnt lgkmcnt(3)
	v_dot4c_i32_i8_e32 v159, v152, v16
	v_dot4c_i32_i8_e32 v159, v153, v20
	s_waitcnt lgkmcnt(2)
	v_dot4c_i32_i8_e32 v159, v154, v17
	v_dot4c_i32_i8_e32 v160, v140, v2
	;; [unrolled: 1-line block ×4, first 2 shown]
	ds_read2_b32 v[16:17], v25 offset0:12 offset1:13
	ds_read2_b32 v[18:19], v25 offset0:14 offset1:15
	;; [unrolled: 1-line block ×3, first 2 shown]
	s_waitcnt lgkmcnt(3)
	v_dot4c_i32_i8_e32 v160, v14, v3
	v_add_u32_e32 v14, 0x20a8, v25
	v_dot4c_i32_i8_e32 v160, v15, v7
	ds_read2_b32 v[14:15], v14 offset1:1
	s_waitcnt lgkmcnt(3)
	v_dot4c_i32_i8_e32 v160, v16, v4
	v_dot4c_i32_i8_e32 v160, v17, v8
	v_mov_b32_e32 v161, 0
	s_waitcnt lgkmcnt(2)
	v_dot4c_i32_i8_e32 v160, v18, v5
	v_dot4c_i32_i8_e32 v161, v156, v2
	v_add_u32_e32 v16, 0x20b0, v25
	v_add_u32_e32 v18, 0x20b8, v25
	;; [unrolled: 1-line block ×3, first 2 shown]
	v_dot4c_i32_i8_e32 v160, v19, v9
	v_dot4c_i32_i8_e32 v161, v157, v6
	ds_read2_b32 v[16:17], v16 offset1:1
	ds_read2_b32 v[18:19], v18 offset1:1
	ds_read2_b32 v[140:141], v140 offset1:1
	s_waitcnt lgkmcnt(3)
	v_dot4c_i32_i8_e32 v161, v14, v3
	v_add_u32_e32 v14, 0x4128, v25
	v_dot4c_i32_i8_e32 v161, v15, v7
	ds_read2_b32 v[14:15], v14 offset1:1
	s_waitcnt lgkmcnt(3)
	v_dot4c_i32_i8_e32 v161, v16, v4
	v_dot4c_i32_i8_e32 v161, v17, v8
	v_mov_b32_e32 v150, 0
	s_waitcnt lgkmcnt(2)
	v_dot4c_i32_i8_e32 v161, v18, v5
	s_waitcnt lgkmcnt(1)
	v_dot4c_i32_i8_e32 v150, v140, v2
	v_add_u32_e32 v16, 0x4130, v25
	v_add_u32_e32 v18, 0x4138, v25
	;; [unrolled: 1-line block ×3, first 2 shown]
	v_dot4c_i32_i8_e32 v161, v19, v9
	v_dot4c_i32_i8_e32 v150, v141, v6
	ds_read2_b32 v[16:17], v16 offset1:1
	ds_read2_b32 v[18:19], v18 offset1:1
	;; [unrolled: 1-line block ×3, first 2 shown]
	s_waitcnt lgkmcnt(3)
	v_dot4c_i32_i8_e32 v150, v14, v3
	v_dot4c_i32_i8_e32 v150, v15, v7
	s_waitcnt lgkmcnt(2)
	v_dot4c_i32_i8_e32 v150, v16, v4
	v_dot4c_i32_i8_e32 v150, v17, v8
	;; [unrolled: 3-line block ×3, first 2 shown]
	v_cvt_f32_i32_e32 v158, v158
	v_mov_b32_e32 v167, 0
	s_cmp_ge_i32 s6, s5
	v_cvt_f32_i32_e32 v152, v150
	v_mov_b32_e32 v150, 0
	s_waitcnt lgkmcnt(0)
	v_dot4c_i32_i8_e32 v150, v140, v2
	v_add_u32_e32 v2, 0x61a8, v25
	ds_read2_b32 v[14:15], v2 offset1:1
	v_add_u32_e32 v2, 0x61b0, v25
	v_add_u32_e32 v140, 0x20c0, v25
	v_dot4c_i32_i8_e32 v150, v141, v6
	v_add_u32_e32 v6, 0x61b8, v25
	ds_read2_b32 v[16:17], v2 offset1:1
	ds_read2_b32 v[18:19], v6 offset1:1
	ds_read2_b32 v[140:141], v140 offset1:1
	s_waitcnt lgkmcnt(3)
	v_dot4c_i32_i8_e32 v150, v14, v3
	v_dot4c_i32_i8_e32 v150, v15, v7
	s_waitcnt lgkmcnt(2)
	v_dot4c_i32_i8_e32 v150, v16, v4
	v_dot4c_i32_i8_e32 v150, v17, v8
	s_waitcnt lgkmcnt(1)
	v_dot4c_i32_i8_e32 v150, v18, v5
	v_dot4c_i32_i8_e32 v150, v19, v9
	v_cvt_f32_i32_e32 v2, v159
	v_mul_f32_e32 v4, v10, v148
	v_mul_f32_e32 v18, v4, v158
	v_cvt_f32_i32_e32 v3, v150
	v_pk_mul_f32 v[4:5], v[10:11], v[138:139]
	ds_read2_b32 v[14:15], v39 offset1:1
	ds_read2_b32 v[16:17], v39 offset0:2 offset1:3
	ds_read2_b32 v[150:151], v41 offset0:2 offset1:3
	ds_read_b128 v[6:9], v29 offset:80
	v_pk_mul_f32 v[138:139], v[4:5], v[2:3]
	ds_read_b128 v[2:5], v29 offset:64
	v_mul_f32_e32 v19, v11, v149
	v_mul_f32_e32 v148, v19, v152
	ds_read2_b32 v[152:153], v25 offset0:18 offset1:19
	v_mov_b32_e32 v19, 0
	s_waitcnt lgkmcnt(1)
	v_dot4c_i32_i8_e32 v19, v20, v2
	v_dot4c_i32_i8_e32 v19, v21, v6
	ds_read2_b32 v[20:21], v25 offset0:20 offset1:21
	ds_read2_b32 v[154:155], v25 offset0:22 offset1:23
	ds_read2_b32 v[156:157], v25 offset0:24 offset1:25
	s_waitcnt lgkmcnt(3)
	v_dot4c_i32_i8_e32 v19, v152, v3
	v_dot4c_i32_i8_e32 v19, v153, v7
	s_waitcnt lgkmcnt(2)
	v_dot4c_i32_i8_e32 v19, v20, v4
	v_add_u32_e32 v20, 0x20c8, v25
	v_dot4c_i32_i8_e32 v19, v21, v8
	ds_read2_b32 v[20:21], v20 offset1:1
	v_mov_b32_e32 v149, 0
	s_waitcnt lgkmcnt(2)
	v_dot4c_i32_i8_e32 v19, v154, v5
	v_dot4c_i32_i8_e32 v149, v140, v2
	v_add_u32_e32 v140, 0x20d0, v25
	v_add_u32_e32 v152, 0x20d8, v25
	;; [unrolled: 1-line block ×3, first 2 shown]
	v_dot4c_i32_i8_e32 v19, v155, v9
	v_dot4c_i32_i8_e32 v149, v141, v6
	ds_read2_b32 v[140:141], v140 offset1:1
	ds_read2_b32 v[152:153], v152 offset1:1
	;; [unrolled: 1-line block ×3, first 2 shown]
	s_waitcnt lgkmcnt(3)
	v_dot4c_i32_i8_e32 v149, v20, v3
	v_dot4c_i32_i8_e32 v149, v21, v7
	s_waitcnt lgkmcnt(2)
	v_dot4c_i32_i8_e32 v149, v140, v4
	v_dot4c_i32_i8_e32 v149, v141, v8
	v_mov_b32_e32 v158, 0
	s_waitcnt lgkmcnt(1)
	v_dot4c_i32_i8_e32 v149, v152, v5
	s_waitcnt lgkmcnt(0)
	v_dot4c_i32_i8_e32 v158, v154, v2
	v_add_u32_e32 v20, 0x4148, v25
	v_add_u32_e32 v140, 0x4150, v25
	;; [unrolled: 1-line block ×4, first 2 shown]
	v_dot4c_i32_i8_e32 v149, v153, v9
	v_dot4c_i32_i8_e32 v158, v155, v6
	ds_read2_b32 v[20:21], v20 offset1:1
	ds_read2_b32 v[140:141], v140 offset1:1
	;; [unrolled: 1-line block ×4, first 2 shown]
	v_mov_b32_e32 v163, v14
	s_waitcnt lgkmcnt(3)
	v_dot4c_i32_i8_e32 v158, v20, v3
	s_waitcnt lgkmcnt(0)
	v_dot4c_i32_i8_e32 v167, v154, v2
	v_add_u32_e32 v2, 0x61c8, v25
	v_dot4c_i32_i8_e32 v158, v21, v7
	ds_read2_b32 v[20:21], v2 offset1:1
	v_dot4c_i32_i8_e32 v158, v140, v4
	v_dot4c_i32_i8_e32 v158, v141, v8
	;; [unrolled: 1-line block ×3, first 2 shown]
	v_add_u32_e32 v2, 0x61d0, v25
	v_add_u32_e32 v154, 0x20e0, v25
	v_dot4c_i32_i8_e32 v158, v153, v9
	v_dot4c_i32_i8_e32 v167, v155, v6
	v_add_u32_e32 v6, 0x61d8, v25
	ds_read2_b32 v[140:141], v2 offset1:1
	ds_read2_b32 v[152:153], v6 offset1:1
	;; [unrolled: 1-line block ×3, first 2 shown]
	s_waitcnt lgkmcnt(3)
	v_dot4c_i32_i8_e32 v167, v20, v3
	v_dot4c_i32_i8_e32 v167, v21, v7
	s_waitcnt lgkmcnt(2)
	v_dot4c_i32_i8_e32 v167, v140, v4
	v_dot4c_i32_i8_e32 v167, v141, v8
	;; [unrolled: 3-line block ×3, first 2 shown]
	ds_read_b128 v[2:5], v29 offset:96
	ds_read_b128 v[6:9], v29 offset:112
	ds_read2_b32 v[140:141], v37 offset1:1
	v_cvt_f32_i32_e32 v21, v147
	v_cvt_f32_i32_e32 v20, v146
	;; [unrolled: 1-line block ×4, first 2 shown]
	s_waitcnt lgkmcnt(0)
	v_mov_b32_e32 v162, v140
	v_pk_mul_f32 v[162:163], v[10:11], v[162:163] op_sel_hi:[0,1]
	v_mov_b32_e32 v14, v141
	v_pk_fma_f32 v[20:21], v[162:163], v[20:21], v[136:137]
	v_pk_mul_f32 v[10:11], v[10:11], v[14:15] op_sel:[1,0]
	v_cvt_f32_i32_e32 v166, v158
	v_pk_fma_f32 v[10:11], v[10:11], v[146:147], v[20:21]
	v_add_u32_e32 v20, 0x20e8, v25
	ds_read2_b32 v[152:153], v25 offset0:26 offset1:27
	ds_read2_b32 v[158:159], v25 offset0:28 offset1:29
	;; [unrolled: 1-line block ×4, first 2 shown]
	ds_read2_b32 v[20:21], v20 offset1:1
	v_cvt_f32_i32_e32 v14, v19
	v_mov_b32_e32 v19, 0
	v_dot4c_i32_i8_e32 v19, v156, v2
	v_cvt_f32_i32_e32 v15, v149
	v_dot4c_i32_i8_e32 v19, v157, v6
	v_mov_b32_e32 v149, 0
	s_waitcnt lgkmcnt(4)
	v_dot4c_i32_i8_e32 v19, v152, v3
	v_dot4c_i32_i8_e32 v149, v154, v2
	v_add_u32_e32 v136, 0x20f0, v25
	v_add_u32_e32 v140, 0x20f8, v25
	;; [unrolled: 1-line block ×3, first 2 shown]
	v_dot4c_i32_i8_e32 v19, v153, v7
	v_dot4c_i32_i8_e32 v149, v155, v6
	ds_read2_b32 v[136:137], v136 offset1:1
	ds_read2_b32 v[140:141], v140 offset1:1
	;; [unrolled: 1-line block ×3, first 2 shown]
	s_waitcnt lgkmcnt(6)
	v_dot4c_i32_i8_e32 v19, v158, v4
	s_waitcnt lgkmcnt(3)
	v_dot4c_i32_i8_e32 v149, v20, v3
	v_dot4c_i32_i8_e32 v19, v159, v8
	;; [unrolled: 1-line block ×4, first 2 shown]
	s_waitcnt lgkmcnt(2)
	v_dot4c_i32_i8_e32 v149, v136, v4
	v_dot4c_i32_i8_e32 v19, v161, v9
	;; [unrolled: 1-line block ×3, first 2 shown]
	s_waitcnt lgkmcnt(1)
	v_dot4c_i32_i8_e32 v149, v140, v5
	v_dot4c_i32_i8_e32 v149, v141, v9
	v_cvt_f32_i32_e32 v20, v19
	v_mov_b32_e32 v19, 0
	s_waitcnt lgkmcnt(0)
	v_dot4c_i32_i8_e32 v19, v146, v2
	v_add_u32_e32 v136, 0x4168, v25
	v_add_u32_e32 v140, 0x4170, v25
	;; [unrolled: 1-line block ×3, first 2 shown]
	v_cvt_f32_i32_e32 v21, v149
	v_dot4c_i32_i8_e32 v19, v147, v6
	ds_read2_b32 v[136:137], v136 offset1:1
	v_add_u32_e32 v149, 0x61e0, v25
	ds_read2_b32 v[140:141], v140 offset1:1
	ds_read2_b32 v[146:147], v146 offset1:1
	;; [unrolled: 1-line block ×3, first 2 shown]
	v_mov_b32_e32 v149, 0
	s_waitcnt lgkmcnt(3)
	v_dot4c_i32_i8_e32 v19, v136, v3
	v_dot4c_i32_i8_e32 v19, v137, v7
	s_waitcnt lgkmcnt(0)
	v_dot4c_i32_i8_e32 v149, v152, v2
	v_add_u32_e32 v2, 0x61e8, v25
	ds_read2_b32 v[136:137], v2 offset1:1
	v_dot4c_i32_i8_e32 v19, v140, v4
	v_add_u32_e32 v2, 0x61f0, v25
	v_dot4c_i32_i8_e32 v19, v141, v8
	ds_read2_b32 v[140:141], v2 offset1:1
	v_dot4c_i32_i8_e32 v19, v146, v5
	v_add_u32_e32 v2, 0x61f8, v25
	v_dot4c_i32_i8_e32 v19, v147, v9
	v_dot4c_i32_i8_e32 v149, v153, v6
	ds_read2_b32 v[146:147], v2 offset1:1
	s_waitcnt lgkmcnt(2)
	v_dot4c_i32_i8_e32 v149, v136, v3
	v_dot4c_i32_i8_e32 v149, v137, v7
	s_waitcnt lgkmcnt(1)
	v_dot4c_i32_i8_e32 v149, v140, v4
	v_dot4c_i32_i8_e32 v149, v141, v8
	;; [unrolled: 3-line block ×3, first 2 shown]
	v_cvt_f32_i32_e32 v4, v167
	v_cvt_f32_i32_e32 v19, v19
	v_mov_b32_e32 v2, v164
	v_cvt_f32_i32_e32 v5, v149
	v_mov_b32_e32 v3, v16
	v_pk_mul_f32 v[8:9], v[12:13], v[142:143]
	v_pk_mul_f32 v[2:3], v[12:13], v[2:3] op_sel_hi:[0,1]
	v_pk_mul_f32 v[4:5], v[8:9], v[4:5]
	v_mov_b32_e32 v8, v13
	v_mov_b32_e32 v16, v165
	v_pk_fma_f32 v[2:3], v[2:3], v[14:15], v[10:11]
	v_pk_mul_f32 v[8:9], v[8:9], v[16:17] op_sel_hi:[0,1]
	v_pk_fma_f32 v[136:137], v[8:9], v[20:21], v[2:3]
	v_mul_f32_e32 v2, v13, v151
	v_mul_f32_e32 v2, v2, v19
	v_mov_b32_e32 v19, v138
	v_mul_f32_e32 v6, v12, v150
	v_pk_add_f32 v[8:9], v[102:103], v[18:19]
	v_mov_b32_e32 v149, v139
	v_mul_f32_e32 v6, v6, v166
	v_pk_add_f32 v[8:9], v[8:9], v[148:149]
	v_mov_b32_e32 v7, v4
	v_pk_add_f32 v[6:7], v[8:9], v[6:7]
	v_mov_b32_e32 v3, v5
	v_pk_add_f32 v[102:103], v[6:7], v[2:3]
	s_barrier
	s_cbranch_scc1 .LBB202_5
; %bb.12:                               ;   in Loop: Header=BB202_6 Depth=1
	v_add_u32_e32 v2, s4, v45
	v_cmp_gt_i32_e64 s[2:3], s8, v2
	s_and_b64 s[24:25], s[0:1], s[2:3]
	s_and_saveexec_b64 s[2:3], s[24:25]
	s_cbranch_execz .LBB202_14
; %bb.13:                               ;   in Loop: Header=BB202_6 Depth=1
	v_add_u32_e32 v2, s4, v47
	v_mad_i64_i32 v[2:3], s[24:25], v2, 36, v[58:59]
	global_load_dword v2, v[2:3], off offset:4
	s_waitcnt vmcnt(0)
	ds_write_b32 v31, v2
.LBB202_14:                             ;   in Loop: Header=BB202_6 Depth=1
	s_or_b64 exec, exec, s[2:3]
	s_and_saveexec_b64 s[24:25], vcc
	s_cbranch_execz .LBB202_4
; %bb.15:                               ;   in Loop: Header=BB202_6 Depth=1
	v_add_u32_e32 v2, 4, v145
	v_cmp_gt_i32_e64 s[2:3], s8, v2
	s_and_b64 s[2:3], s[0:1], s[2:3]
	s_and_b64 exec, exec, s[2:3]
	s_cbranch_execz .LBB202_4
; %bb.16:                               ;   in Loop: Header=BB202_6 Depth=1
	global_load_dword v2, v[60:61], off
	s_waitcnt vmcnt(0)
	v_cvt_f32_f16_e32 v2, v2
	ds_write_b32 v35, v2
	s_branch .LBB202_4
.LBB202_17:
	s_mul_i32 s0, s10, s7
	s_waitcnt vmcnt(0)
	v_cmp_gt_i32_e32 vcc, s0, v1
	s_and_saveexec_b64 s[0:1], vcc
	s_cbranch_execz .LBB202_26
; %bb.18:
	v_and_b32_e32 v0, 0x3ff, v0
	v_add_u32_e32 v2, s11, v0
	v_mul_lo_u32 v0, v1, s9
	v_cmp_gt_u32_e32 vcc, s9, v2
	s_and_saveexec_b64 s[0:1], vcc
	s_cbranch_execz .LBB202_20
; %bb.19:
	v_cvt_f16_f32_e32 v1, v136
	v_add_u32_e32 v4, v0, v2
	v_mov_b32_e32 v5, 0
	v_lshl_add_u64 v[4:5], v[4:5], 1, s[16:17]
	global_store_short v[4:5], v1, off
.LBB202_20:
	s_or_b64 exec, exec, s[0:1]
	v_add_u32_e32 v1, 32, v2
	v_cmp_gt_u32_e32 vcc, s9, v1
	s_and_saveexec_b64 s[0:1], vcc
	s_cbranch_execz .LBB202_22
; %bb.21:
	v_cvt_f16_f32_e32 v3, v137
	v_add_u32_e32 v4, v0, v1
	v_mov_b32_e32 v5, 0
	v_lshl_add_u64 v[4:5], v[4:5], 1, s[16:17]
	global_store_short v[4:5], v3, off
.LBB202_22:
	s_or_b64 exec, exec, s[0:1]
	v_add_u32_e32 v1, 64, v2
	;; [unrolled: 12-line block ×3, first 2 shown]
	v_cmp_gt_u32_e32 vcc, s9, v1
	s_and_b64 exec, exec, vcc
	s_cbranch_execz .LBB202_26
; %bb.25:
	v_cvt_f16_f32_e32 v2, v103
	v_add_u32_e32 v0, v0, v1
	v_mov_b32_e32 v1, 0
	v_lshl_add_u64 v[0:1], v[0:1], 1, s[16:17]
	global_store_short v[0:1], v2, off
.LBB202_26:
	s_endpgm
	.section	.rodata,"a",@progbits
	.p2align	6, 0x0
	.amdhsa_kernel _ZL8moe_q5_0IN3c104HalfELb1EEvPKvS3_PT_PKiS7_S7_iiiiiii
		.amdhsa_group_segment_fixed_size 38656
		.amdhsa_private_segment_fixed_size 0
		.amdhsa_kernarg_size 76
		.amdhsa_user_sgpr_count 2
		.amdhsa_user_sgpr_dispatch_ptr 0
		.amdhsa_user_sgpr_queue_ptr 0
		.amdhsa_user_sgpr_kernarg_segment_ptr 1
		.amdhsa_user_sgpr_dispatch_id 0
		.amdhsa_user_sgpr_kernarg_preload_length 0
		.amdhsa_user_sgpr_kernarg_preload_offset 0
		.amdhsa_user_sgpr_private_segment_size 0
		.amdhsa_uses_dynamic_stack 0
		.amdhsa_enable_private_segment 0
		.amdhsa_system_sgpr_workgroup_id_x 1
		.amdhsa_system_sgpr_workgroup_id_y 1
		.amdhsa_system_sgpr_workgroup_id_z 0
		.amdhsa_system_sgpr_workgroup_info 0
		.amdhsa_system_vgpr_workitem_id 1
		.amdhsa_next_free_vgpr 168
		.amdhsa_next_free_sgpr 96
		.amdhsa_accum_offset 168
		.amdhsa_reserve_vcc 1
		.amdhsa_float_round_mode_32 0
		.amdhsa_float_round_mode_16_64 0
		.amdhsa_float_denorm_mode_32 3
		.amdhsa_float_denorm_mode_16_64 3
		.amdhsa_dx10_clamp 1
		.amdhsa_ieee_mode 1
		.amdhsa_fp16_overflow 0
		.amdhsa_tg_split 0
		.amdhsa_exception_fp_ieee_invalid_op 0
		.amdhsa_exception_fp_denorm_src 0
		.amdhsa_exception_fp_ieee_div_zero 0
		.amdhsa_exception_fp_ieee_overflow 0
		.amdhsa_exception_fp_ieee_underflow 0
		.amdhsa_exception_fp_ieee_inexact 0
		.amdhsa_exception_int_div_zero 0
	.end_amdhsa_kernel
	.section	.text._ZL8moe_q5_0IN3c104HalfELb1EEvPKvS3_PT_PKiS7_S7_iiiiiii,"axG",@progbits,_ZL8moe_q5_0IN3c104HalfELb1EEvPKvS3_PT_PKiS7_S7_iiiiiii,comdat
.Lfunc_end202:
	.size	_ZL8moe_q5_0IN3c104HalfELb1EEvPKvS3_PT_PKiS7_S7_iiiiiii, .Lfunc_end202-_ZL8moe_q5_0IN3c104HalfELb1EEvPKvS3_PT_PKiS7_S7_iiiiiii
                                        ; -- End function
	.set _ZL8moe_q5_0IN3c104HalfELb1EEvPKvS3_PT_PKiS7_S7_iiiiiii.num_vgpr, 168
	.set _ZL8moe_q5_0IN3c104HalfELb1EEvPKvS3_PT_PKiS7_S7_iiiiiii.num_agpr, 0
	.set _ZL8moe_q5_0IN3c104HalfELb1EEvPKvS3_PT_PKiS7_S7_iiiiiii.numbered_sgpr, 29
	.set _ZL8moe_q5_0IN3c104HalfELb1EEvPKvS3_PT_PKiS7_S7_iiiiiii.num_named_barrier, 0
	.set _ZL8moe_q5_0IN3c104HalfELb1EEvPKvS3_PT_PKiS7_S7_iiiiiii.private_seg_size, 0
	.set _ZL8moe_q5_0IN3c104HalfELb1EEvPKvS3_PT_PKiS7_S7_iiiiiii.uses_vcc, 1
	.set _ZL8moe_q5_0IN3c104HalfELb1EEvPKvS3_PT_PKiS7_S7_iiiiiii.uses_flat_scratch, 0
	.set _ZL8moe_q5_0IN3c104HalfELb1EEvPKvS3_PT_PKiS7_S7_iiiiiii.has_dyn_sized_stack, 0
	.set _ZL8moe_q5_0IN3c104HalfELb1EEvPKvS3_PT_PKiS7_S7_iiiiiii.has_recursion, 0
	.set _ZL8moe_q5_0IN3c104HalfELb1EEvPKvS3_PT_PKiS7_S7_iiiiiii.has_indirect_call, 0
	.section	.AMDGPU.csdata,"",@progbits
; Kernel info:
; codeLenInByte = 13132
; TotalNumSgprs: 35
; NumVgprs: 168
; NumAgprs: 0
; TotalNumVgprs: 168
; ScratchSize: 0
; MemoryBound: 0
; FloatMode: 240
; IeeeMode: 1
; LDSByteSize: 38656 bytes/workgroup (compile time only)
; SGPRBlocks: 12
; VGPRBlocks: 20
; NumSGPRsForWavesPerEU: 102
; NumVGPRsForWavesPerEU: 168
; AccumOffset: 168
; Occupancy: 3
; WaveLimiterHint : 1
; COMPUTE_PGM_RSRC2:SCRATCH_EN: 0
; COMPUTE_PGM_RSRC2:USER_SGPR: 2
; COMPUTE_PGM_RSRC2:TRAP_HANDLER: 0
; COMPUTE_PGM_RSRC2:TGID_X_EN: 1
; COMPUTE_PGM_RSRC2:TGID_Y_EN: 1
; COMPUTE_PGM_RSRC2:TGID_Z_EN: 0
; COMPUTE_PGM_RSRC2:TIDIG_COMP_CNT: 1
; COMPUTE_PGM_RSRC3_GFX90A:ACCUM_OFFSET: 41
; COMPUTE_PGM_RSRC3_GFX90A:TG_SPLIT: 0
	.section	.text._ZL8moe_q5_1IN3c104HalfELb0EEvPKvS3_PT_PKiS7_S7_iiiiiii,"axG",@progbits,_ZL8moe_q5_1IN3c104HalfELb0EEvPKvS3_PT_PKiS7_S7_iiiiiii,comdat
	.globl	_ZL8moe_q5_1IN3c104HalfELb0EEvPKvS3_PT_PKiS7_S7_iiiiiii ; -- Begin function _ZL8moe_q5_1IN3c104HalfELb0EEvPKvS3_PT_PKiS7_S7_iiiiiii
	.p2align	8
	.type	_ZL8moe_q5_1IN3c104HalfELb0EEvPKvS3_PT_PKiS7_S7_iiiiiii,@function
_ZL8moe_q5_1IN3c104HalfELb0EEvPKvS3_PT_PKiS7_S7_iiiiiii: ; @_ZL8moe_q5_1IN3c104HalfELb0EEvPKvS3_PT_PKiS7_S7_iiiiiii
; %bb.0:
	s_load_dwordx4 s[4:7], s[0:1], 0x18
	s_mov_b32 s8, s3
	s_mov_b32 s9, 0
	s_lshl_b64 s[10:11], s[8:9], 2
	s_waitcnt lgkmcnt(0)
	s_add_u32 s6, s6, s10
	s_addc_u32 s7, s7, s11
	s_load_dword s3, s[6:7], 0x0
	s_waitcnt lgkmcnt(0)
	s_cmpk_gt_u32 s3, 0xff
	s_cbranch_scc1 .LBB203_31
; %bb.1:
	s_load_dwordx2 s[6:7], s[0:1], 0x28
	s_waitcnt lgkmcnt(0)
	s_load_dword s7, s[6:7], 0x0
	s_lshl_b32 s6, s8, 3
	s_waitcnt lgkmcnt(0)
	s_cmp_gt_u32 s6, s7
	s_cbranch_scc1 .LBB203_31
; %bb.2:
	v_bfe_u32 v4, v0, 10, 10
	v_mov_b32_e32 v6, s4
	v_mov_b32_e32 v7, s5
	v_add_u32_e32 v2, s6, v4
	v_mov_b32_e32 v3, 0
	v_lshl_add_u64 v[6:7], v[2:3], 2, v[6:7]
	global_load_dword v1, v[6:7], off
	s_load_dwordx2 s[14:15], s[0:1], 0x30
	s_load_dwordx2 s[12:13], s[0:1], 0x10
	s_load_dwordx4 s[4:7], s[0:1], 0x3c
	s_lshl_b32 s18, s2, 7
	s_mov_b32 s19, 0
	s_waitcnt lgkmcnt(0)
	s_cmp_lt_i32 s15, 32
	s_cbranch_scc1 .LBB203_21
; %bb.3:
	s_load_dwordx4 s[8:11], s[0:1], 0x0
	s_ashr_i32 s0, s15, 31
	s_ashr_i32 s1, s5, 31
	s_lshr_b32 s0, s0, 27
	s_lshr_b32 s1, s1, 27
	s_add_i32 s0, s15, s0
	s_add_i32 s1, s5, s1
	s_mul_i32 s3, s3, s14
	s_ashr_i32 s20, s0, 5
	s_ashr_i32 s5, s1, 5
	;; [unrolled: 1-line block ×3, first 2 shown]
	s_waitcnt lgkmcnt(0)
	s_add_u32 s2, s8, s3
	s_mul_i32 s3, s20, s18
	s_addc_u32 s1, s9, s1
	s_mul_hi_i32 s8, s3, 24
	s_mul_i32 s3, s3, 24
	s_add_u32 s14, s2, s3
	s_addc_u32 s21, s1, s8
	v_mul_lo_u32 v10, s20, v4
	s_lshl_b32 s1, s20, 3
	v_add_u32_e32 v12, s1, v10
	v_add_u32_e32 v14, s1, v12
	;; [unrolled: 1-line block ×11, first 2 shown]
	v_and_b32_e32 v9, 0x3ff, v0
	v_add_u32_e32 v34, s1, v32
	v_lshlrev_b32_e32 v6, 3, v9
	s_movk_i32 s2, 0x104
	v_add_u32_e32 v36, s1, v34
	v_bfe_u32 v43, v0, 3, 7
	v_mad_u32_u24 v11, v4, s2, v6
	v_add_u32_e32 v38, s1, v36
	v_and_b32_e32 v42, 7, v0
	v_lshl_add_u32 v6, v4, 2, v43
	v_add_u32_e32 v40, s1, v38
	v_and_b32_e32 v7, 0x1ffc, v6
	v_lshlrev_b32_e32 v45, 2, v42
	s_mov_b32 s1, 0x8200
	v_add3_u32 v56, v7, v45, s1
	v_add_u32_e32 v7, 32, v6
	v_mov_b32_e32 v49, 0x9680
	v_lshlrev_b32_e32 v5, 2, v9
	v_mul_lo_u32 v44, s20, v6
	v_lshlrev_b32_e32 v57, 5, v6
	v_and_b32_e32 v47, 0x3ffc, v7
	v_lshlrev_b32_e32 v71, 5, v7
	v_add_u32_e32 v7, 64, v6
	v_add_u32_e32 v6, 0x60, v6
	v_lshl_add_u32 v49, v4, 4, v49
	s_abs_i32 s3, s7
	v_and_b32_e32 v2, 12, v5
	v_add3_u32 v70, v47, v45, s1
	v_and_b32_e32 v47, 0x3ffc, v7
	v_lshlrev_b32_e32 v73, 5, v7
	v_and_b32_e32 v7, 0x3ffc, v6
	v_lshlrev_b32_e32 v75, 5, v6
	v_and_b32_e32 v6, 28, v5
	v_add_u32_e32 v51, v49, v5
	v_cvt_f32_u32_e32 v5, s3
	s_andn2_b32 s0, s0, 31
	v_add_u32_e32 v46, s0, v44
	v_add_u32_e32 v48, s0, v46
	v_rcp_iflag_f32_e32 v5, v5
	v_add_u32_e32 v50, s0, v48
	s_sub_i32 s0, 0, s3
	s_waitcnt vmcnt(0)
	v_sub_u32_e32 v53, 0, v1
	v_mul_f32_e32 v5, 0x4f7ffffe, v5
	v_cvt_u32_f32_e32 v5, v5
	v_max_i32_e32 v53, v1, v53
	v_add3_u32 v72, v47, v45, s1
	v_add3_u32 v74, v7, v45, s1
	v_mul_lo_u32 v54, s0, v5
	v_mul_hi_u32 v54, v5, v54
	v_add_u32_e32 v5, v5, v54
	v_mul_hi_u32 v5, v53, v5
	v_mul_lo_u32 v54, v5, s3
	v_sub_u32_e32 v53, v53, v54
	v_add_u32_e32 v54, 1, v5
	v_cmp_le_u32_e64 s[0:1], s3, v53
	v_xor_b32_e32 v52, s7, v1
	v_ashrrev_i32_e32 v52, 31, v52
	v_cndmask_b32_e64 v5, v5, v54, s[0:1]
	v_subrev_u32_e32 v54, s3, v53
	v_cndmask_b32_e64 v53, v53, v54, s[0:1]
	v_add_u32_e32 v54, 1, v5
	v_cmp_le_u32_e64 s[0:1], s3, v53
	v_mov_b32_e32 v45, 0x9280
	v_lshl_add_u32 v45, v4, 7, v45
	v_cndmask_b32_e64 v5, v5, v54, s[0:1]
	v_xor_b32_e32 v5, v5, v52
	v_add_u32_e32 v4, 32, v9
	v_sub_u32_e32 v5, v5, v52
	v_mov_b32_e32 v7, v3
	v_add_u32_e32 v61, 64, v9
	v_add_u32_e32 v60, 0x60, v9
	v_lshrrev_b32_e32 v59, 3, v4
	v_cmp_gt_i32_e64 s[0:1], s4, v5
	v_mul_lo_u32 v52, v5, s5
	v_lshlrev_b32_e32 v5, 5, v9
	v_and_b32_e32 v4, 0x1fc, v4
	v_lshl_add_u64 v[54:55], s[10:11], 0, v[6:7]
	v_and_b32_e32 v6, 0x1fc, v60
	v_and_b32_e32 v7, 0x1fc, v61
	v_add_u32_e32 v4, v5, v4
	v_and_b32_e32 v63, 0xfc, v0
	v_and_b32_e32 v47, 31, v0
	v_cmp_gt_u32_e32 vcc, 4, v9
	v_add_u32_e32 v6, v5, v6
	v_add_u32_e32 v7, v5, v7
	;; [unrolled: 1-line block ×5, first 2 shown]
	v_mov_b32_e32 v4, 0x80
	v_bfe_u32 v8, v0, 2, 8
	v_add_u32_e32 v13, 0x820, v11
	v_add_u32_e32 v15, 0x1040, v11
	;; [unrolled: 1-line block ×15, first 2 shown]
	v_lshl_or_b32 v47, v47, 2, v45
	v_mul_u32_u24_e32 v58, 0x104, v9
	s_and_b64 s[8:9], vcc, s[0:1]
	v_ashrrev_i32_e32 v53, 31, v52
	v_add_u32_e32 v60, 0x8e00, v6
	v_add_u32_e32 v61, 0x8a00, v7
	;; [unrolled: 1-line block ×6, first 2 shown]
	v_mad_u32_u24 v68, v9, s2, v4
	v_mov_b32_e32 v4, v3
	v_mov_b32_e32 v5, v3
	v_mov_b32_e32 v6, v3
	v_mov_b32_e32 v7, v3
	v_add_u32_e32 v69, v56, v57
	v_add_u32_e32 v70, v70, v71
	;; [unrolled: 1-line block ×4, first 2 shown]
	s_branch .LBB203_5
.LBB203_4:                              ;   in Loop: Header=BB203_5 Depth=1
	s_add_i32 s19, s19, 8
	s_cmp_ge_i32 s19, s20
	s_cbranch_scc1 .LBB203_22
.LBB203_5:                              ; =>This Loop Header: Depth=1
                                        ;     Child Loop BB203_11 Depth 2
                                        ;     Child Loop BB203_19 Depth 2
	s_mul_i32 s2, s19, 24
	s_mul_hi_u32 s3, s19, 24
	s_add_u32 s2, s14, s2
	s_addc_u32 s3, s21, s3
	v_mad_u64_u32 v[56:57], s[16:17], v8, 24, s[2:3]
	v_mad_u64_u32 v[74:75], s[16:17], v10, 24, v[56:57]
	;; [unrolled: 1-line block ×3, first 2 shown]
	v_lshl_add_u64 v[76:77], v[74:75], 0, v[2:3]
	v_mad_u64_u32 v[78:79], s[16:17], v12, 24, v[56:57]
	v_mad_u64_u32 v[80:81], s[16:17], v14, 24, v[56:57]
	global_load_dword v73, v[82:83], off offset:4
	global_load_dword v90, v[80:81], off offset:4
	;; [unrolled: 1-line block ×5, first 2 shown]
	v_lshl_add_u64 v[74:75], v[78:79], 0, v[2:3]
	global_load_dword v94, v[74:75], off offset:8
	v_lshl_add_u64 v[74:75], v[80:81], 0, v[2:3]
	v_lshl_add_u64 v[76:77], v[82:83], 0, v[2:3]
	global_load_dword v95, v[74:75], off offset:8
	global_load_dword v96, v[76:77], off offset:8
	v_mad_u64_u32 v[74:75], s[16:17], v18, 24, v[56:57]
	v_mad_u64_u32 v[76:77], s[16:17], v20, 24, v[56:57]
	;; [unrolled: 1-line block ×4, first 2 shown]
	v_lshl_add_u64 v[82:83], v[74:75], 0, v[2:3]
	v_lshl_add_u64 v[84:85], v[76:77], 0, v[2:3]
	;; [unrolled: 1-line block ×4, first 2 shown]
	global_load_dword v97, v[82:83], off offset:8
	global_load_dword v98, v[84:85], off offset:8
	;; [unrolled: 1-line block ×8, first 2 shown]
	s_waitcnt vmcnt(15)
	v_ashrrev_i32_e32 v73, v2, v73
	s_waitcnt vmcnt(13)
	v_ashrrev_i32_e32 v77, v2, v91
	;; [unrolled: 2-line block ×3, first 2 shown]
	s_waitcnt vmcnt(11)
	v_lshrrev_b32_e32 v75, 4, v93
	v_lshlrev_b32_e32 v80, 4, v74
	v_lshrrev_b32_e32 v82, 12, v74
	v_and_b32_e32 v76, 0xf0f0f0f, v93
	v_lshlrev_b32_e32 v81, 11, v74
	v_lshrrev_b32_e32 v83, 5, v74
	v_and_b32_e32 v75, 0xf0f0f0f, v75
	v_and_b32_e32 v82, 16, v82
	;; [unrolled: 1-line block ×3, first 2 shown]
	v_lshlrev_b32_e32 v84, 2, v74
	v_lshlrev_b32_e32 v85, 18, v74
	v_and_b32_e32 v83, 0x1000, v83
	v_and_b32_e32 v81, 0x1000, v81
	v_or_b32_e32 v75, v82, v75
	v_or_b32_e32 v76, v80, v76
	s_waitcnt vmcnt(10)
	v_lshrrev_b32_e32 v78, 4, v94
	v_lshlrev_b32_e32 v86, 9, v74
	v_lshlrev_b32_e32 v74, 25, v74
	;; [unrolled: 1-line block ×3, first 2 shown]
	v_lshrrev_b32_e32 v89, 12, v77
	v_and_b32_e32 v84, 0x100000, v84
	v_and_b32_e32 v85, 0x100000, v85
	v_or_b32_e32 v75, v75, v83
	v_or_b32_e32 v76, v76, v81
	v_and_b32_e32 v79, 0xf0f0f0f, v94
	v_lshlrev_b32_e32 v88, 11, v77
	v_lshrrev_b32_e32 v91, 5, v77
	v_and_b32_e32 v78, 0xf0f0f0f, v78
	v_and_b32_e32 v86, 0x10000000, v86
	;; [unrolled: 1-line block ×5, first 2 shown]
	v_or_b32_e32 v75, v75, v84
	v_or_b32_e32 v76, v76, v85
	v_lshlrev_b32_e32 v92, 2, v77
	v_lshlrev_b32_e32 v93, 18, v77
	v_and_b32_e32 v91, 0x1000, v91
	v_and_b32_e32 v88, 0x1000, v88
	v_or_b32_e32 v78, v89, v78
	v_or_b32_e32 v79, v87, v79
	;; [unrolled: 1-line block ×4, first 2 shown]
	v_and_b32_e32 v92, 0x100000, v92
	v_or_b32_e32 v78, v78, v91
	v_or_b32_e32 v79, v79, v88
	ds_write2_b32 v11, v74, v75 offset1:1
	v_and_b32_e32 v74, 0x100000, v93
	v_lshlrev_b32_e32 v76, 9, v77
	v_lshlrev_b32_e32 v77, 25, v77
	v_or_b32_e32 v75, v78, v92
	v_or_b32_e32 v74, v79, v74
	v_and_b32_e32 v76, 0x10000000, v76
	v_and_b32_e32 v77, 0x10000000, v77
	v_or_b32_e32 v75, v75, v76
	v_or_b32_e32 v74, v74, v77
	ds_write2_b32 v13, v74, v75 offset1:1
	v_ashrrev_i32_e32 v74, v2, v90
	v_lshlrev_b32_e32 v75, 4, v74
	v_lshlrev_b32_e32 v76, 11, v74
	s_waitcnt vmcnt(9)
	v_lshrrev_b32_e32 v77, 4, v95
	v_lshrrev_b32_e32 v78, 12, v74
	v_and_b32_e32 v80, 0xf0f0f0f, v95
	v_and_b32_e32 v75, 16, v75
	v_lshrrev_b32_e32 v79, 5, v74
	v_and_b32_e32 v77, 0xf0f0f0f, v77
	v_and_b32_e32 v78, 16, v78
	v_or_b32_e32 v75, v75, v80
	v_and_b32_e32 v76, 0x1000, v76
	v_or_b32_e32 v77, v78, v77
	;; [unrolled: 2-line block ×3, first 2 shown]
	v_lshlrev_b32_e32 v76, 2, v74
	v_or_b32_e32 v77, v77, v78
	v_lshlrev_b32_e32 v78, 18, v74
	v_and_b32_e32 v76, 0x100000, v76
	v_and_b32_e32 v78, 0x100000, v78
	v_or_b32_e32 v76, v77, v76
	v_lshlrev_b32_e32 v77, 9, v74
	v_lshlrev_b32_e32 v74, 25, v74
	v_or_b32_e32 v75, v75, v78
	v_and_b32_e32 v77, 0x10000000, v77
	v_and_b32_e32 v74, 0x10000000, v74
	v_or_b32_e32 v76, v76, v77
	v_or_b32_e32 v74, v75, v74
	ds_write2_b32 v15, v74, v76 offset1:1
	v_lshlrev_b32_e32 v74, 4, v73
	v_lshlrev_b32_e32 v75, 11, v73
	s_waitcnt vmcnt(8)
	v_lshrrev_b32_e32 v76, 4, v96
	v_lshrrev_b32_e32 v77, 12, v73
	v_and_b32_e32 v79, 0xf0f0f0f, v96
	v_and_b32_e32 v74, 16, v74
	v_lshrrev_b32_e32 v78, 5, v73
	v_and_b32_e32 v76, 0xf0f0f0f, v76
	v_and_b32_e32 v77, 16, v77
	v_or_b32_e32 v74, v74, v79
	v_and_b32_e32 v75, 0x1000, v75
	v_or_b32_e32 v76, v77, v76
	;; [unrolled: 2-line block ×3, first 2 shown]
	v_lshlrev_b32_e32 v75, 2, v73
	v_or_b32_e32 v76, v76, v77
	v_lshlrev_b32_e32 v77, 18, v73
	v_and_b32_e32 v75, 0x100000, v75
	v_and_b32_e32 v77, 0x100000, v77
	v_or_b32_e32 v75, v76, v75
	v_lshlrev_b32_e32 v76, 9, v73
	v_lshlrev_b32_e32 v73, 25, v73
	v_or_b32_e32 v74, v74, v77
	v_and_b32_e32 v76, 0x10000000, v76
	v_and_b32_e32 v73, 0x10000000, v73
	v_or_b32_e32 v75, v75, v76
	v_or_b32_e32 v73, v74, v73
	ds_write2_b32 v17, v73, v75 offset1:1
	s_waitcnt vmcnt(0)
	v_ashrrev_i32_e32 v73, v2, v104
	v_lshlrev_b32_e32 v74, 4, v73
	v_lshlrev_b32_e32 v75, 11, v73
	v_lshrrev_b32_e32 v76, 4, v97
	v_lshrrev_b32_e32 v77, 12, v73
	v_and_b32_e32 v79, 0xf0f0f0f, v97
	v_and_b32_e32 v74, 16, v74
	v_lshrrev_b32_e32 v78, 5, v73
	v_and_b32_e32 v76, 0xf0f0f0f, v76
	v_and_b32_e32 v77, 16, v77
	v_or_b32_e32 v74, v74, v79
	v_and_b32_e32 v75, 0x1000, v75
	v_or_b32_e32 v76, v77, v76
	;; [unrolled: 2-line block ×3, first 2 shown]
	v_lshlrev_b32_e32 v75, 2, v73
	v_or_b32_e32 v76, v76, v77
	v_lshlrev_b32_e32 v77, 18, v73
	v_and_b32_e32 v75, 0x100000, v75
	v_and_b32_e32 v77, 0x100000, v77
	v_or_b32_e32 v75, v76, v75
	v_lshlrev_b32_e32 v76, 9, v73
	v_lshlrev_b32_e32 v73, 25, v73
	v_or_b32_e32 v74, v74, v77
	v_and_b32_e32 v76, 0x10000000, v76
	v_and_b32_e32 v73, 0x10000000, v73
	v_or_b32_e32 v75, v75, v76
	v_or_b32_e32 v73, v74, v73
	v_lshrrev_b32_e32 v74, 4, v98
	ds_write2_b32 v19, v73, v75 offset1:1
	v_and_b32_e32 v94, 0xf0f0f0f, v74
	v_mad_u64_u32 v[74:75], s[16:17], v26, 24, v[56:57]
	v_lshl_add_u64 v[76:77], v[74:75], 0, v[2:3]
	v_mad_u64_u32 v[78:79], s[16:17], v28, 24, v[56:57]
	v_mad_u64_u32 v[82:83], s[16:17], v30, 24, v[56:57]
	;; [unrolled: 1-line block ×3, first 2 shown]
	v_ashrrev_i32_e32 v73, v2, v103
	v_and_b32_e32 v95, 0xf0f0f0f, v98
	v_lshl_add_u64 v[80:81], v[78:79], 0, v[2:3]
	v_lshl_add_u64 v[84:85], v[82:83], 0, v[2:3]
	;; [unrolled: 1-line block ×3, first 2 shown]
	global_load_dword v96, v[76:77], off offset:8
	global_load_dword v97, v[80:81], off offset:8
	;; [unrolled: 1-line block ×8, first 2 shown]
	v_lshrrev_b32_e32 v92, 12, v73
	v_lshlrev_b32_e32 v90, 4, v73
	v_lshrrev_b32_e32 v93, 5, v73
	v_and_b32_e32 v74, 16, v92
	v_lshlrev_b32_e32 v91, 11, v73
	v_and_b32_e32 v75, 16, v90
	v_or_b32_e32 v74, v74, v94
	v_and_b32_e32 v76, 0x1000, v93
	v_or_b32_e32 v75, v75, v95
	;; [unrolled: 2-line block ×3, first 2 shown]
	v_lshlrev_b32_e32 v76, 2, v73
	v_or_b32_e32 v75, v75, v77
	v_lshlrev_b32_e32 v77, 18, v73
	v_and_b32_e32 v76, 0x100000, v76
	v_and_b32_e32 v77, 0x100000, v77
	v_or_b32_e32 v74, v74, v76
	v_lshlrev_b32_e32 v76, 9, v73
	v_lshlrev_b32_e32 v73, 25, v73
	v_or_b32_e32 v75, v75, v77
	v_and_b32_e32 v76, 0x10000000, v76
	v_and_b32_e32 v73, 0x10000000, v73
	v_or_b32_e32 v74, v74, v76
	v_or_b32_e32 v73, v75, v73
	ds_write2_b32 v21, v73, v74 offset1:1
	v_ashrrev_i32_e32 v73, v2, v102
	v_lshlrev_b32_e32 v74, 4, v73
	v_lshlrev_b32_e32 v75, 11, v73
	v_lshrrev_b32_e32 v76, 4, v99
	v_lshrrev_b32_e32 v77, 12, v73
	v_and_b32_e32 v79, 0xf0f0f0f, v99
	v_and_b32_e32 v74, 16, v74
	v_lshrrev_b32_e32 v78, 5, v73
	v_and_b32_e32 v76, 0xf0f0f0f, v76
	v_and_b32_e32 v77, 16, v77
	v_or_b32_e32 v74, v74, v79
	v_and_b32_e32 v75, 0x1000, v75
	v_or_b32_e32 v76, v77, v76
	v_and_b32_e32 v77, 0x1000, v78
	v_or_b32_e32 v74, v74, v75
	v_lshlrev_b32_e32 v75, 2, v73
	v_or_b32_e32 v76, v76, v77
	v_lshlrev_b32_e32 v77, 18, v73
	v_and_b32_e32 v75, 0x100000, v75
	v_and_b32_e32 v77, 0x100000, v77
	v_or_b32_e32 v75, v76, v75
	v_lshlrev_b32_e32 v76, 9, v73
	v_lshlrev_b32_e32 v73, 25, v73
	v_or_b32_e32 v74, v74, v77
	v_and_b32_e32 v76, 0x10000000, v76
	v_and_b32_e32 v73, 0x10000000, v73
	v_or_b32_e32 v75, v75, v76
	v_or_b32_e32 v73, v74, v73
	ds_write2_b32 v23, v73, v75 offset1:1
	v_ashrrev_i32_e32 v73, v2, v101
	v_lshlrev_b32_e32 v74, 4, v73
	v_lshlrev_b32_e32 v75, 11, v73
	v_lshrrev_b32_e32 v76, 4, v100
	v_lshrrev_b32_e32 v77, 12, v73
	v_and_b32_e32 v79, 0xf0f0f0f, v100
	v_and_b32_e32 v74, 16, v74
	v_lshrrev_b32_e32 v78, 5, v73
	v_and_b32_e32 v76, 0xf0f0f0f, v76
	v_and_b32_e32 v77, 16, v77
	v_or_b32_e32 v74, v74, v79
	v_and_b32_e32 v75, 0x1000, v75
	v_or_b32_e32 v76, v77, v76
	;; [unrolled: 2-line block ×3, first 2 shown]
	v_lshlrev_b32_e32 v75, 2, v73
	v_or_b32_e32 v76, v76, v77
	v_lshlrev_b32_e32 v77, 18, v73
	v_and_b32_e32 v75, 0x100000, v75
	v_and_b32_e32 v77, 0x100000, v77
	v_or_b32_e32 v75, v76, v75
	v_lshlrev_b32_e32 v76, 9, v73
	v_lshlrev_b32_e32 v73, 25, v73
	v_or_b32_e32 v74, v74, v77
	v_and_b32_e32 v76, 0x10000000, v76
	v_and_b32_e32 v73, 0x10000000, v73
	v_or_b32_e32 v75, v75, v76
	v_or_b32_e32 v73, v74, v73
	ds_write2_b32 v25, v73, v75 offset1:1
	s_waitcnt vmcnt(0)
	v_ashrrev_i32_e32 v73, v2, v107
	v_lshlrev_b32_e32 v74, 4, v73
	v_lshlrev_b32_e32 v75, 11, v73
	v_lshrrev_b32_e32 v76, 4, v96
	v_lshrrev_b32_e32 v77, 12, v73
	v_and_b32_e32 v79, 0xf0f0f0f, v96
	v_and_b32_e32 v74, 16, v74
	v_lshrrev_b32_e32 v78, 5, v73
	v_and_b32_e32 v76, 0xf0f0f0f, v76
	v_and_b32_e32 v77, 16, v77
	v_or_b32_e32 v74, v74, v79
	v_and_b32_e32 v75, 0x1000, v75
	v_or_b32_e32 v76, v77, v76
	;; [unrolled: 2-line block ×3, first 2 shown]
	v_lshlrev_b32_e32 v75, 2, v73
	v_or_b32_e32 v76, v76, v77
	v_lshlrev_b32_e32 v77, 18, v73
	v_and_b32_e32 v75, 0x100000, v75
	v_and_b32_e32 v77, 0x100000, v77
	v_or_b32_e32 v75, v76, v75
	v_lshlrev_b32_e32 v76, 9, v73
	v_lshlrev_b32_e32 v73, 25, v73
	v_or_b32_e32 v74, v74, v77
	v_and_b32_e32 v76, 0x10000000, v76
	v_and_b32_e32 v73, 0x10000000, v73
	v_or_b32_e32 v75, v75, v76
	v_or_b32_e32 v73, v74, v73
	v_lshrrev_b32_e32 v74, 4, v97
	ds_write2_b32 v27, v73, v75 offset1:1
	v_and_b32_e32 v92, 0xf0f0f0f, v74
	v_mad_u64_u32 v[74:75], s[16:17], v34, 24, v[56:57]
	v_lshl_add_u64 v[76:77], v[74:75], 0, v[2:3]
	v_mad_u64_u32 v[78:79], s[16:17], v36, 24, v[56:57]
	v_mad_u64_u32 v[82:83], s[16:17], v38, 24, v[56:57]
	v_mad_u64_u32 v[56:57], s[16:17], v40, 24, v[56:57]
	v_and_b32_e32 v93, 0xf0f0f0f, v97
	v_lshl_add_u64 v[80:81], v[78:79], 0, v[2:3]
	v_lshl_add_u64 v[84:85], v[82:83], 0, v[2:3]
	;; [unrolled: 1-line block ×3, first 2 shown]
	global_load_dword v94, v[76:77], off offset:8
	global_load_dword v95, v[80:81], off offset:8
	;; [unrolled: 1-line block ×8, first 2 shown]
	v_ashrrev_i32_e32 v73, v2, v106
	v_lshrrev_b32_e32 v90, 12, v73
	v_lshlrev_b32_e32 v88, 4, v73
	v_lshrrev_b32_e32 v91, 5, v73
	v_and_b32_e32 v56, 16, v90
	v_lshlrev_b32_e32 v89, 11, v73
	v_and_b32_e32 v57, 16, v88
	v_or_b32_e32 v56, v56, v92
	v_and_b32_e32 v74, 0x1000, v91
	v_or_b32_e32 v57, v57, v93
	;; [unrolled: 2-line block ×3, first 2 shown]
	v_lshlrev_b32_e32 v74, 2, v73
	v_or_b32_e32 v57, v57, v75
	v_lshlrev_b32_e32 v75, 18, v73
	v_and_b32_e32 v74, 0x100000, v74
	v_and_b32_e32 v75, 0x100000, v75
	v_or_b32_e32 v56, v56, v74
	v_lshlrev_b32_e32 v74, 9, v73
	v_lshlrev_b32_e32 v73, 25, v73
	v_or_b32_e32 v57, v57, v75
	v_and_b32_e32 v74, 0x10000000, v74
	v_and_b32_e32 v73, 0x10000000, v73
	v_or_b32_e32 v56, v56, v74
	v_or_b32_e32 v57, v57, v73
	ds_write2_b32 v29, v57, v56 offset1:1
	v_ashrrev_i32_e32 v56, v2, v105
	v_lshlrev_b32_e32 v57, 4, v56
	v_lshlrev_b32_e32 v73, 11, v56
	v_lshrrev_b32_e32 v74, 4, v98
	v_lshrrev_b32_e32 v75, 12, v56
	v_and_b32_e32 v77, 0xf0f0f0f, v98
	v_and_b32_e32 v57, 16, v57
	v_lshrrev_b32_e32 v76, 5, v56
	v_and_b32_e32 v74, 0xf0f0f0f, v74
	v_and_b32_e32 v75, 16, v75
	v_or_b32_e32 v57, v57, v77
	v_and_b32_e32 v73, 0x1000, v73
	v_or_b32_e32 v74, v75, v74
	;; [unrolled: 2-line block ×3, first 2 shown]
	v_lshlrev_b32_e32 v73, 2, v56
	v_or_b32_e32 v74, v74, v75
	v_lshlrev_b32_e32 v75, 18, v56
	v_and_b32_e32 v73, 0x100000, v73
	v_and_b32_e32 v75, 0x100000, v75
	v_or_b32_e32 v73, v74, v73
	v_lshlrev_b32_e32 v74, 9, v56
	v_lshlrev_b32_e32 v56, 25, v56
	v_or_b32_e32 v57, v57, v75
	v_and_b32_e32 v74, 0x10000000, v74
	v_and_b32_e32 v56, 0x10000000, v56
	v_or_b32_e32 v73, v73, v74
	v_or_b32_e32 v56, v57, v56
	ds_write2_b32 v31, v56, v73 offset1:1
	v_ashrrev_i32_e32 v56, v2, v104
	v_lshlrev_b32_e32 v57, 4, v56
	v_lshlrev_b32_e32 v73, 11, v56
	v_lshrrev_b32_e32 v74, 4, v103
	v_lshrrev_b32_e32 v75, 12, v56
	v_and_b32_e32 v77, 0xf0f0f0f, v103
	v_and_b32_e32 v57, 16, v57
	v_lshrrev_b32_e32 v76, 5, v56
	v_and_b32_e32 v74, 0xf0f0f0f, v74
	v_and_b32_e32 v75, 16, v75
	v_or_b32_e32 v57, v57, v77
	v_and_b32_e32 v73, 0x1000, v73
	v_or_b32_e32 v74, v75, v74
	;; [unrolled: 2-line block ×3, first 2 shown]
	v_lshlrev_b32_e32 v73, 2, v56
	v_or_b32_e32 v74, v74, v75
	v_lshlrev_b32_e32 v75, 18, v56
	v_and_b32_e32 v73, 0x100000, v73
	v_and_b32_e32 v75, 0x100000, v75
	v_or_b32_e32 v73, v74, v73
	v_lshlrev_b32_e32 v74, 9, v56
	v_lshlrev_b32_e32 v56, 25, v56
	v_or_b32_e32 v57, v57, v75
	v_and_b32_e32 v74, 0x10000000, v74
	v_and_b32_e32 v56, 0x10000000, v56
	v_or_b32_e32 v73, v73, v74
	v_or_b32_e32 v56, v57, v56
	ds_write2_b32 v33, v56, v73 offset1:1
	s_waitcnt vmcnt(0)
	v_ashrrev_i32_e32 v56, v2, v102
	v_lshlrev_b32_e32 v57, 4, v56
	v_lshlrev_b32_e32 v73, 11, v56
	v_lshrrev_b32_e32 v74, 4, v94
	v_lshrrev_b32_e32 v75, 12, v56
	v_and_b32_e32 v77, 0xf0f0f0f, v94
	v_and_b32_e32 v57, 16, v57
	v_lshrrev_b32_e32 v76, 5, v56
	v_and_b32_e32 v74, 0xf0f0f0f, v74
	v_and_b32_e32 v75, 16, v75
	v_or_b32_e32 v57, v57, v77
	v_and_b32_e32 v73, 0x1000, v73
	v_or_b32_e32 v74, v75, v74
	;; [unrolled: 2-line block ×3, first 2 shown]
	v_lshlrev_b32_e32 v73, 2, v56
	v_or_b32_e32 v74, v74, v75
	v_lshlrev_b32_e32 v75, 18, v56
	v_and_b32_e32 v73, 0x100000, v73
	v_and_b32_e32 v75, 0x100000, v75
	v_or_b32_e32 v73, v74, v73
	v_lshlrev_b32_e32 v74, 9, v56
	v_lshlrev_b32_e32 v56, 25, v56
	v_or_b32_e32 v57, v57, v75
	v_and_b32_e32 v74, 0x10000000, v74
	v_and_b32_e32 v56, 0x10000000, v56
	v_or_b32_e32 v73, v73, v74
	v_or_b32_e32 v56, v57, v56
	ds_write2_b32 v35, v56, v73 offset1:1
	v_ashrrev_i32_e32 v73, v2, v101
	v_lshlrev_b32_e32 v56, 4, v73
	v_lshrrev_b32_e32 v57, 4, v95
	v_lshrrev_b32_e32 v74, 12, v73
	v_and_b32_e32 v57, 0xf0f0f0f, v57
	v_and_b32_e32 v76, 0xf0f0f0f, v95
	v_and_b32_e32 v74, 16, v74
	v_and_b32_e32 v56, 16, v56
	v_lshrrev_b32_e32 v75, 5, v73
	v_or_b32_e32 v81, v74, v57
	v_or_b32_e32 v82, v56, v76
	v_mad_u64_u32 v[56:57], s[2:3], v42, 24, s[2:3]
	v_and_b32_e32 v83, 0x1000, v75
	v_mad_u64_u32 v[74:75], s[2:3], v44, 24, v[56:57]
	v_mad_u64_u32 v[76:77], s[2:3], v46, 24, v[56:57]
	;; [unrolled: 1-line block ×4, first 2 shown]
	global_load_dword v84, v[74:75], off
	global_load_dword v85, v[76:77], off
	;; [unrolled: 1-line block ×3, first 2 shown]
	v_lshlrev_b32_e32 v80, 11, v73
	global_load_dword v56, v[56:57], off
	v_lshlrev_b32_e32 v75, 2, v73
	v_and_b32_e32 v57, 0x1000, v80
	v_or_b32_e32 v74, v81, v83
	v_lshlrev_b32_e32 v76, 18, v73
	v_and_b32_e32 v75, 0x100000, v75
	v_or_b32_e32 v57, v82, v57
	v_and_b32_e32 v76, 0x100000, v76
	v_or_b32_e32 v74, v74, v75
	v_lshlrev_b32_e32 v75, 9, v73
	v_lshlrev_b32_e32 v73, 25, v73
	v_or_b32_e32 v57, v57, v76
	v_and_b32_e32 v75, 0x10000000, v75
	v_and_b32_e32 v73, 0x10000000, v73
	v_or_b32_e32 v74, v74, v75
	v_or_b32_e32 v57, v57, v73
	ds_write2_b32 v37, v57, v74 offset1:1
	v_ashrrev_i32_e32 v57, v2, v100
	v_lshlrev_b32_e32 v73, 4, v57
	v_lshlrev_b32_e32 v74, 11, v57
	v_lshrrev_b32_e32 v75, 4, v96
	v_lshrrev_b32_e32 v76, 12, v57
	v_and_b32_e32 v78, 0xf0f0f0f, v96
	v_and_b32_e32 v73, 16, v73
	v_lshrrev_b32_e32 v77, 5, v57
	v_and_b32_e32 v75, 0xf0f0f0f, v75
	v_and_b32_e32 v76, 16, v76
	v_or_b32_e32 v73, v73, v78
	v_and_b32_e32 v74, 0x1000, v74
	v_or_b32_e32 v75, v76, v75
	;; [unrolled: 2-line block ×3, first 2 shown]
	v_lshlrev_b32_e32 v74, 2, v57
	v_or_b32_e32 v75, v75, v76
	v_lshlrev_b32_e32 v76, 18, v57
	v_and_b32_e32 v74, 0x100000, v74
	v_and_b32_e32 v76, 0x100000, v76
	v_or_b32_e32 v74, v75, v74
	v_lshlrev_b32_e32 v75, 9, v57
	v_lshlrev_b32_e32 v57, 25, v57
	v_or_b32_e32 v73, v73, v76
	v_and_b32_e32 v75, 0x10000000, v75
	v_and_b32_e32 v57, 0x10000000, v57
	v_or_b32_e32 v74, v74, v75
	v_or_b32_e32 v57, v73, v57
	ds_write2_b32 v39, v57, v74 offset1:1
	v_ashrrev_i32_e32 v57, v2, v99
	v_lshlrev_b32_e32 v73, 4, v57
	v_lshlrev_b32_e32 v74, 11, v57
	v_lshrrev_b32_e32 v75, 4, v97
	v_lshrrev_b32_e32 v76, 12, v57
	v_and_b32_e32 v78, 0xf0f0f0f, v97
	v_and_b32_e32 v73, 16, v73
	v_lshrrev_b32_e32 v77, 5, v57
	v_and_b32_e32 v75, 0xf0f0f0f, v75
	v_and_b32_e32 v76, 16, v76
	v_or_b32_e32 v73, v73, v78
	v_and_b32_e32 v74, 0x1000, v74
	v_or_b32_e32 v75, v76, v75
	;; [unrolled: 2-line block ×3, first 2 shown]
	v_lshlrev_b32_e32 v74, 2, v57
	v_or_b32_e32 v75, v75, v76
	v_lshlrev_b32_e32 v76, 18, v57
	v_and_b32_e32 v74, 0x100000, v74
	v_and_b32_e32 v76, 0x100000, v76
	v_or_b32_e32 v74, v75, v74
	v_lshlrev_b32_e32 v75, 9, v57
	v_lshlrev_b32_e32 v57, 25, v57
	v_or_b32_e32 v73, v73, v76
	v_and_b32_e32 v75, 0x10000000, v75
	v_and_b32_e32 v57, 0x10000000, v57
	s_lshl_b32 s16, s19, 5
	v_or_b32_e32 v74, v74, v75
	v_or_b32_e32 v57, v73, v57
	s_cmp_lt_i32 s16, s15
	ds_write2_b32 v41, v57, v74 offset1:1
	s_waitcnt vmcnt(3)
	ds_write_b32 v69, v84
	s_waitcnt vmcnt(2)
	ds_write_b32 v70, v85
	;; [unrolled: 2-line block ×4, first 2 shown]
	s_cbranch_scc0 .LBB203_4
; %bb.6:                                ;   in Loop: Header=BB203_5 Depth=1
	v_add_u32_e32 v56, s19, v43
	v_cmp_gt_i32_e64 s[2:3], s5, v56
	s_and_b64 s[22:23], s[0:1], s[2:3]
	s_and_saveexec_b64 s[2:3], s[22:23]
	s_cbranch_execz .LBB203_8
; %bb.7:                                ;   in Loop: Header=BB203_5 Depth=1
	v_add_u32_e32 v56, v52, v56
	v_mad_i64_i32 v[56:57], s[22:23], v56, 36, v[54:55]
	global_load_dword v56, v[56:57], off offset:4
	s_waitcnt vmcnt(0)
	ds_write_b32 v47, v56
.LBB203_8:                              ;   in Loop: Header=BB203_5 Depth=1
	s_or_b64 exec, exec, s[2:3]
	v_add_u32_e32 v56, s19, v9
	v_cmp_gt_i32_e64 s[2:3], s5, v56
	s_and_b64 s[22:23], s[8:9], s[2:3]
	s_and_saveexec_b64 s[2:3], s[22:23]
	s_cbranch_execz .LBB203_10
; %bb.9:                                ;   in Loop: Header=BB203_5 Depth=1
	v_add_u32_e32 v57, v52, v56
	v_mad_i64_i32 v[74:75], s[22:23], v57, 36, s[10:11]
	global_load_dword v57, v[74:75], off
	s_waitcnt vmcnt(0)
	ds_write_b32 v51, v57
.LBB203_10:                             ;   in Loop: Header=BB203_5 Depth=1
	s_or_b64 exec, exec, s[2:3]
	s_mov_b32 s2, -4
	v_mov_b32_e32 v57, v45
	v_mov_b32_e32 v73, v58
	;; [unrolled: 1-line block ×7, first 2 shown]
	s_waitcnt lgkmcnt(0)
	s_barrier
.LBB203_11:                             ;   Parent Loop BB203_5 Depth=1
                                        ; =>  This Inner Loop Header: Depth=2
	ds_read_b128 v[80:83], v57
	ds_read_b128 v[84:87], v57 offset:16
	ds_read_b32 v79, v74
	ds_read_b32 v90, v75
	ds_read2_b32 v[88:89], v73 offset1:1
	v_mov_b32_e32 v94, 0
	v_mov_b32_e32 v95, 0
	v_add_u32_e32 v92, 0x4100, v73
	v_mov_b32_e32 v97, 0
	s_waitcnt lgkmcnt(0)
	v_dot4c_i32_i8_e32 v94, v88, v80
	v_dot4c_i32_i8_e32 v94, v89, v84
	ds_read2_b32 v[88:89], v73 offset0:2 offset1:3
	v_mov_b32_e32 v99, 0
	v_pk_mul_f16 v90, v79, v90
	s_add_i32 s2, s2, 4
	v_add_u32_e32 v75, 4, v75
	s_waitcnt lgkmcnt(0)
	v_dot4c_i32_i8_e32 v94, v88, v81
	v_dot4c_i32_i8_e32 v94, v89, v85
	ds_read2_b32 v[88:89], v73 offset0:4 offset1:5
	v_add_u32_e32 v74, 4, v74
	v_add_u32_e32 v57, 32, v57
	s_cmp_lt_u32 s2, 12
	s_waitcnt lgkmcnt(0)
	v_dot4c_i32_i8_e32 v94, v88, v82
	v_dot4c_i32_i8_e32 v94, v89, v86
	ds_read2_b32 v[88:89], v73 offset0:6 offset1:7
	s_waitcnt lgkmcnt(0)
	v_dot4c_i32_i8_e32 v94, v88, v83
	v_add_u32_e32 v88, 0x2080, v73
	v_dot4c_i32_i8_e32 v94, v89, v87
	ds_read_b32 v91, v76
	ds_read2_b32 v[88:89], v88 offset1:1
	v_add_u32_e32 v76, 4, v76
	s_waitcnt lgkmcnt(1)
	v_pk_mul_f16 v91, v79, v91
	s_waitcnt lgkmcnt(0)
	v_dot4c_i32_i8_e32 v95, v88, v80
	v_add_u32_e32 v88, 0x2088, v73
	v_dot4c_i32_i8_e32 v95, v89, v84
	ds_read2_b32 v[88:89], v88 offset1:1
	s_waitcnt lgkmcnt(0)
	v_dot4c_i32_i8_e32 v95, v88, v81
	v_add_u32_e32 v88, 0x2090, v73
	v_dot4c_i32_i8_e32 v95, v89, v85
	ds_read2_b32 v[88:89], v88 offset1:1
	;; [unrolled: 5-line block ×3, first 2 shown]
	ds_read_b32 v96, v77
	ds_read2_b32 v[92:93], v92 offset1:1
	v_add_u32_e32 v77, 4, v77
	s_waitcnt lgkmcnt(2)
	v_dot4c_i32_i8_e32 v95, v88, v83
	s_waitcnt lgkmcnt(0)
	v_dot4c_i32_i8_e32 v97, v92, v80
	v_add_u32_e32 v92, 0x4108, v73
	v_dot4c_i32_i8_e32 v97, v93, v84
	ds_read2_b32 v[92:93], v92 offset1:1
	v_dot4c_i32_i8_e32 v95, v89, v87
	v_pk_mul_f16 v96, v79, v96
	v_cvt_f32_f16_e32 v89, v91
	v_cvt_f32_f16_e32 v88, v90
	s_waitcnt lgkmcnt(0)
	v_dot4c_i32_i8_e32 v97, v92, v81
	v_add_u32_e32 v92, 0x4110, v73
	v_dot4c_i32_i8_e32 v97, v93, v85
	ds_read2_b32 v[92:93], v92 offset1:1
	v_cvt_f32_f16_sdwa v91, v91 dst_sel:DWORD dst_unused:UNUSED_PAD src0_sel:WORD_1
	v_cvt_f32_f16_sdwa v90, v90 dst_sel:DWORD dst_unused:UNUSED_PAD src0_sel:WORD_1
	s_waitcnt lgkmcnt(0)
	v_dot4c_i32_i8_e32 v97, v92, v82
	v_add_u32_e32 v92, 0x4118, v73
	v_dot4c_i32_i8_e32 v97, v93, v86
	ds_read2_b32 v[92:93], v92 offset1:1
	s_waitcnt lgkmcnt(0)
	v_dot4c_i32_i8_e32 v97, v92, v83
	v_add_u32_e32 v92, 0x6180, v73
	v_dot4c_i32_i8_e32 v97, v93, v87
	ds_read_b32 v98, v78
	ds_read2_b32 v[92:93], v92 offset1:1
	v_add_u32_e32 v78, 4, v78
	s_waitcnt lgkmcnt(1)
	v_pk_mul_f16 v79, v79, v98
	s_waitcnt lgkmcnt(0)
	v_dot4c_i32_i8_e32 v99, v92, v80
	v_add_u32_e32 v80, 0x6188, v73
	v_dot4c_i32_i8_e32 v99, v93, v84
	ds_read2_b32 v[92:93], v80 offset1:1
	v_add_u32_e32 v80, 0x6190, v73
	v_cvt_f32_i32_e32 v84, v97
	s_waitcnt lgkmcnt(0)
	v_dot4c_i32_i8_e32 v99, v92, v81
	ds_read2_b32 v[80:81], v80 offset1:1
	v_dot4c_i32_i8_e32 v99, v93, v85
	s_waitcnt lgkmcnt(0)
	v_dot4c_i32_i8_e32 v99, v80, v82
	v_add_u32_e32 v80, 0x6198, v73
	v_dot4c_i32_i8_e32 v99, v81, v86
	ds_read2_b32 v[80:81], v80 offset1:1
	v_cvt_f32_f16_sdwa v82, v96 dst_sel:DWORD dst_unused:UNUSED_PAD src0_sel:WORD_1
	v_cvt_f32_i32_e32 v86, v94
	v_add_u32_e32 v73, 32, v73
	s_waitcnt lgkmcnt(0)
	v_dot4c_i32_i8_e32 v99, v80, v83
	v_dot4c_i32_i8_e32 v99, v81, v87
	v_cvt_f32_f16_e32 v81, v79
	v_cvt_f32_f16_e32 v80, v96
	v_cvt_f32_f16_sdwa v83, v79 dst_sel:DWORD dst_unused:UNUSED_PAD src0_sel:WORD_1
	v_cvt_f32_i32_e32 v85, v99
	v_cvt_f32_i32_e32 v87, v95
	v_pk_fma_f32 v[80:81], v[80:81], v[84:85], v[82:83]
	v_pk_fma_f32 v[86:87], v[88:89], v[86:87], v[90:91]
	v_pk_add_f32 v[6:7], v[6:7], v[80:81]
	v_pk_add_f32 v[4:5], v[4:5], v[86:87]
	s_cbranch_scc1 .LBB203_11
; %bb.12:                               ;   in Loop: Header=BB203_5 Depth=1
	s_bitset1_b32 s16, 7
	s_cmp_ge_i32 s16, s15
	s_barrier
	s_cbranch_scc1 .LBB203_4
; %bb.13:                               ;   in Loop: Header=BB203_5 Depth=1
	v_add_u32_e32 v57, s19, v59
	v_cmp_gt_i32_e64 s[2:3], s5, v57
	s_and_b64 s[16:17], s[0:1], s[2:3]
	s_and_saveexec_b64 s[2:3], s[16:17]
	s_cbranch_execz .LBB203_15
; %bb.14:                               ;   in Loop: Header=BB203_5 Depth=1
	v_add_u32_e32 v57, v52, v57
	v_mad_i64_i32 v[74:75], s[16:17], v57, 36, v[54:55]
	global_load_dword v57, v[74:75], off offset:4
	s_waitcnt vmcnt(0)
	ds_write_b32 v47, v57
.LBB203_15:                             ;   in Loop: Header=BB203_5 Depth=1
	s_or_b64 exec, exec, s[2:3]
	s_and_saveexec_b64 s[16:17], vcc
	s_cbranch_execz .LBB203_18
; %bb.16:                               ;   in Loop: Header=BB203_5 Depth=1
	v_or_b32_e32 v57, 4, v56
	v_cmp_gt_i32_e64 s[2:3], s5, v57
	s_and_b64 s[2:3], s[0:1], s[2:3]
	s_and_b64 exec, exec, s[2:3]
	s_cbranch_execz .LBB203_18
; %bb.17:                               ;   in Loop: Header=BB203_5 Depth=1
	v_ashrrev_i32_e32 v57, 31, v56
	v_lshl_add_u64 v[56:57], v[52:53], 0, v[56:57]
	v_mad_u64_u32 v[74:75], s[2:3], v56, 36, s[10:11]
	v_mad_i32_i24 v75, v57, 36, v75
	global_load_dword v56, v[74:75], off offset:144
	s_waitcnt vmcnt(0)
	ds_write_b32 v51, v56
.LBB203_18:                             ;   in Loop: Header=BB203_5 Depth=1
	s_or_b64 exec, exec, s[16:17]
	s_mov_b32 s2, 12
	v_mov_b32_e32 v56, v49
	v_mov_b32_e32 v57, v45
	;; [unrolled: 1-line block ×7, first 2 shown]
	s_waitcnt lgkmcnt(0)
	s_barrier
.LBB203_19:                             ;   Parent Loop BB203_5 Depth=1
                                        ; =>  This Inner Loop Header: Depth=2
	ds_read_b128 v[78:81], v57
	ds_read_b32 v118, v56
	ds_read_b128 v[82:85], v57 offset:16
	ds_read2_b32 v[86:87], v73 offset1:1
	v_add_u32_e32 v94, 0x2080, v73
	v_add_u32_e32 v96, 0x2088, v73
	;; [unrolled: 1-line block ×12, first 2 shown]
	ds_read_b32 v119, v74
	ds_read2_b32 v[88:89], v73 offset0:2 offset1:3
	ds_read2_b32 v[90:91], v73 offset0:4 offset1:5
	;; [unrolled: 1-line block ×3, first 2 shown]
	ds_read_b32 v120, v75
	ds_read_b32 v121, v76
	;; [unrolled: 1-line block ×3, first 2 shown]
	ds_read2_b32 v[94:95], v94 offset1:1
	ds_read2_b32 v[96:97], v96 offset1:1
	;; [unrolled: 1-line block ×12, first 2 shown]
	v_mov_b32_e32 v124, 0
	v_mov_b32_e32 v125, 0
	;; [unrolled: 1-line block ×4, first 2 shown]
	s_waitcnt lgkmcnt(14)
	v_dot4c_i32_i8_e32 v124, v86, v78
	s_waitcnt lgkmcnt(11)
	v_dot4c_i32_i8_e32 v125, v94, v78
	s_waitcnt lgkmcnt(7)
	v_dot4c_i32_i8_e32 v126, v102, v78
	s_waitcnt lgkmcnt(3)
	v_dot4c_i32_i8_e32 v127, v110, v78
	v_dot4c_i32_i8_e32 v124, v87, v82
	v_dot4c_i32_i8_e32 v125, v95, v82
	v_dot4c_i32_i8_e32 v126, v103, v82
	v_dot4c_i32_i8_e32 v127, v111, v82
	v_dot4c_i32_i8_e32 v124, v88, v79
	v_dot4c_i32_i8_e32 v125, v96, v79
	v_dot4c_i32_i8_e32 v126, v104, v79
	s_waitcnt lgkmcnt(2)
	v_dot4c_i32_i8_e32 v127, v112, v79
	v_dot4c_i32_i8_e32 v124, v89, v83
	v_dot4c_i32_i8_e32 v125, v97, v83
	v_dot4c_i32_i8_e32 v126, v105, v83
	v_dot4c_i32_i8_e32 v127, v113, v83
	v_dot4c_i32_i8_e32 v124, v90, v80
	v_dot4c_i32_i8_e32 v125, v98, v80
	v_dot4c_i32_i8_e32 v126, v106, v80
	s_waitcnt lgkmcnt(1)
	v_dot4c_i32_i8_e32 v127, v114, v80
	;; [unrolled: 9-line block ×3, first 2 shown]
	v_pk_mul_f16 v123, v118, v119
	v_pk_mul_f16 v119, v118, v120
	;; [unrolled: 1-line block ×4, first 2 shown]
	v_dot4c_i32_i8_e32 v124, v93, v85
	v_dot4c_i32_i8_e32 v125, v101, v85
	;; [unrolled: 1-line block ×4, first 2 shown]
	v_cvt_f32_f16_e32 v87, v119
	v_cvt_f32_f16_e32 v86, v123
	v_cvt_f32_f16_sdwa v119, v119 dst_sel:DWORD dst_unused:UNUSED_PAD src0_sel:WORD_1
	v_cvt_f32_f16_sdwa v118, v123 dst_sel:DWORD dst_unused:UNUSED_PAD src0_sel:WORD_1
	v_cvt_f32_f16_e32 v121, v122
	v_cvt_f32_f16_e32 v120, v128
	v_cvt_f32_f16_sdwa v123, v122 dst_sel:DWORD dst_unused:UNUSED_PAD src0_sel:WORD_1
	v_cvt_f32_f16_sdwa v122, v128 dst_sel:DWORD dst_unused:UNUSED_PAD src0_sel:WORD_1
	v_cvt_f32_i32_e32 v78, v124
	v_cvt_f32_i32_e32 v81, v127
	;; [unrolled: 1-line block ×4, first 2 shown]
	s_add_i32 s2, s2, 4
	v_add_u32_e32 v77, 4, v77
	v_pk_fma_f32 v[78:79], v[86:87], v[78:79], v[118:119]
	v_pk_fma_f32 v[80:81], v[120:121], v[80:81], v[122:123]
	v_add_u32_e32 v76, 4, v76
	v_add_u32_e32 v75, 4, v75
	v_add_u32_e32 v74, 4, v74
	v_add_u32_e32 v73, 32, v73
	v_add_u32_e32 v57, 32, v57
	v_add_u32_e32 v56, 4, v56
	s_cmp_lt_u32 s2, 28
	v_pk_add_f32 v[6:7], v[6:7], v[80:81]
	v_pk_add_f32 v[4:5], v[4:5], v[78:79]
	s_cbranch_scc1 .LBB203_19
; %bb.20:                               ;   in Loop: Header=BB203_5 Depth=1
	s_barrier
	s_branch .LBB203_4
.LBB203_21:
	v_mov_b32_e32 v4, v3
	v_mov_b32_e32 v5, v3
	;; [unrolled: 1-line block ×3, first 2 shown]
	v_mov_b64_e32 v[6:7], v[4:5]
	v_mov_b64_e32 v[4:5], v[2:3]
.LBB203_22:
	s_mul_i32 s0, s7, s4
	s_waitcnt vmcnt(0)
	v_cmp_gt_i32_e32 vcc, s0, v1
	s_and_saveexec_b64 s[0:1], vcc
	s_cbranch_execz .LBB203_31
; %bb.23:
	v_and_b32_e32 v0, 0x3ff, v0
	v_add_u32_e32 v2, s18, v0
	v_mul_lo_u32 v0, v1, s6
	v_cmp_gt_u32_e32 vcc, s6, v2
	s_and_saveexec_b64 s[0:1], vcc
	s_cbranch_execz .LBB203_25
; %bb.24:
	v_cvt_f16_f32_e32 v1, v4
	v_add_u32_e32 v8, v0, v2
	v_mov_b32_e32 v9, 0
	v_lshl_add_u64 v[8:9], v[8:9], 1, s[12:13]
	global_store_short v[8:9], v1, off
.LBB203_25:
	s_or_b64 exec, exec, s[0:1]
	v_add_u32_e32 v1, 32, v2
	v_cmp_gt_u32_e32 vcc, s6, v1
	s_and_saveexec_b64 s[0:1], vcc
	s_cbranch_execz .LBB203_27
; %bb.26:
	v_cvt_f16_f32_e32 v3, v5
	v_add_u32_e32 v4, v0, v1
	v_mov_b32_e32 v5, 0
	v_lshl_add_u64 v[4:5], v[4:5], 1, s[12:13]
	global_store_short v[4:5], v3, off
.LBB203_27:
	s_or_b64 exec, exec, s[0:1]
	v_add_u32_e32 v1, 64, v2
	;; [unrolled: 12-line block ×3, first 2 shown]
	v_cmp_gt_u32_e32 vcc, s6, v1
	s_and_b64 exec, exec, vcc
	s_cbranch_execz .LBB203_31
; %bb.30:
	v_cvt_f16_f32_e32 v2, v7
	v_add_u32_e32 v0, v0, v1
	v_mov_b32_e32 v1, 0
	v_lshl_add_u64 v[0:1], v[0:1], 1, s[12:13]
	global_store_short v[0:1], v2, off
.LBB203_31:
	s_endpgm
	.section	.rodata,"a",@progbits
	.p2align	6, 0x0
	.amdhsa_kernel _ZL8moe_q5_1IN3c104HalfELb0EEvPKvS3_PT_PKiS7_S7_iiiiiii
		.amdhsa_group_segment_fixed_size 38656
		.amdhsa_private_segment_fixed_size 0
		.amdhsa_kernarg_size 76
		.amdhsa_user_sgpr_count 2
		.amdhsa_user_sgpr_dispatch_ptr 0
		.amdhsa_user_sgpr_queue_ptr 0
		.amdhsa_user_sgpr_kernarg_segment_ptr 1
		.amdhsa_user_sgpr_dispatch_id 0
		.amdhsa_user_sgpr_kernarg_preload_length 0
		.amdhsa_user_sgpr_kernarg_preload_offset 0
		.amdhsa_user_sgpr_private_segment_size 0
		.amdhsa_uses_dynamic_stack 0
		.amdhsa_enable_private_segment 0
		.amdhsa_system_sgpr_workgroup_id_x 1
		.amdhsa_system_sgpr_workgroup_id_y 1
		.amdhsa_system_sgpr_workgroup_id_z 0
		.amdhsa_system_sgpr_workgroup_info 0
		.amdhsa_system_vgpr_workitem_id 1
		.amdhsa_next_free_vgpr 129
		.amdhsa_next_free_sgpr 96
		.amdhsa_accum_offset 132
		.amdhsa_reserve_vcc 1
		.amdhsa_float_round_mode_32 0
		.amdhsa_float_round_mode_16_64 0
		.amdhsa_float_denorm_mode_32 3
		.amdhsa_float_denorm_mode_16_64 3
		.amdhsa_dx10_clamp 1
		.amdhsa_ieee_mode 1
		.amdhsa_fp16_overflow 0
		.amdhsa_tg_split 0
		.amdhsa_exception_fp_ieee_invalid_op 0
		.amdhsa_exception_fp_denorm_src 0
		.amdhsa_exception_fp_ieee_div_zero 0
		.amdhsa_exception_fp_ieee_overflow 0
		.amdhsa_exception_fp_ieee_underflow 0
		.amdhsa_exception_fp_ieee_inexact 0
		.amdhsa_exception_int_div_zero 0
	.end_amdhsa_kernel
	.section	.text._ZL8moe_q5_1IN3c104HalfELb0EEvPKvS3_PT_PKiS7_S7_iiiiiii,"axG",@progbits,_ZL8moe_q5_1IN3c104HalfELb0EEvPKvS3_PT_PKiS7_S7_iiiiiii,comdat
.Lfunc_end203:
	.size	_ZL8moe_q5_1IN3c104HalfELb0EEvPKvS3_PT_PKiS7_S7_iiiiiii, .Lfunc_end203-_ZL8moe_q5_1IN3c104HalfELb0EEvPKvS3_PT_PKiS7_S7_iiiiiii
                                        ; -- End function
	.set _ZL8moe_q5_1IN3c104HalfELb0EEvPKvS3_PT_PKiS7_S7_iiiiiii.num_vgpr, 129
	.set _ZL8moe_q5_1IN3c104HalfELb0EEvPKvS3_PT_PKiS7_S7_iiiiiii.num_agpr, 0
	.set _ZL8moe_q5_1IN3c104HalfELb0EEvPKvS3_PT_PKiS7_S7_iiiiiii.numbered_sgpr, 24
	.set _ZL8moe_q5_1IN3c104HalfELb0EEvPKvS3_PT_PKiS7_S7_iiiiiii.num_named_barrier, 0
	.set _ZL8moe_q5_1IN3c104HalfELb0EEvPKvS3_PT_PKiS7_S7_iiiiiii.private_seg_size, 0
	.set _ZL8moe_q5_1IN3c104HalfELb0EEvPKvS3_PT_PKiS7_S7_iiiiiii.uses_vcc, 1
	.set _ZL8moe_q5_1IN3c104HalfELb0EEvPKvS3_PT_PKiS7_S7_iiiiiii.uses_flat_scratch, 0
	.set _ZL8moe_q5_1IN3c104HalfELb0EEvPKvS3_PT_PKiS7_S7_iiiiiii.has_dyn_sized_stack, 0
	.set _ZL8moe_q5_1IN3c104HalfELb0EEvPKvS3_PT_PKiS7_S7_iiiiiii.has_recursion, 0
	.set _ZL8moe_q5_1IN3c104HalfELb0EEvPKvS3_PT_PKiS7_S7_iiiiiii.has_indirect_call, 0
	.section	.AMDGPU.csdata,"",@progbits
; Kernel info:
; codeLenInByte = 6128
; TotalNumSgprs: 30
; NumVgprs: 129
; NumAgprs: 0
; TotalNumVgprs: 129
; ScratchSize: 0
; MemoryBound: 0
; FloatMode: 240
; IeeeMode: 1
; LDSByteSize: 38656 bytes/workgroup (compile time only)
; SGPRBlocks: 12
; VGPRBlocks: 16
; NumSGPRsForWavesPerEU: 102
; NumVGPRsForWavesPerEU: 129
; AccumOffset: 132
; Occupancy: 3
; WaveLimiterHint : 1
; COMPUTE_PGM_RSRC2:SCRATCH_EN: 0
; COMPUTE_PGM_RSRC2:USER_SGPR: 2
; COMPUTE_PGM_RSRC2:TRAP_HANDLER: 0
; COMPUTE_PGM_RSRC2:TGID_X_EN: 1
; COMPUTE_PGM_RSRC2:TGID_Y_EN: 1
; COMPUTE_PGM_RSRC2:TGID_Z_EN: 0
; COMPUTE_PGM_RSRC2:TIDIG_COMP_CNT: 1
; COMPUTE_PGM_RSRC3_GFX90A:ACCUM_OFFSET: 32
; COMPUTE_PGM_RSRC3_GFX90A:TG_SPLIT: 0
	.section	.text._ZL8moe_q5_1IN3c104HalfELb1EEvPKvS3_PT_PKiS7_S7_iiiiiii,"axG",@progbits,_ZL8moe_q5_1IN3c104HalfELb1EEvPKvS3_PT_PKiS7_S7_iiiiiii,comdat
	.globl	_ZL8moe_q5_1IN3c104HalfELb1EEvPKvS3_PT_PKiS7_S7_iiiiiii ; -- Begin function _ZL8moe_q5_1IN3c104HalfELb1EEvPKvS3_PT_PKiS7_S7_iiiiiii
	.p2align	8
	.type	_ZL8moe_q5_1IN3c104HalfELb1EEvPKvS3_PT_PKiS7_S7_iiiiiii,@function
_ZL8moe_q5_1IN3c104HalfELb1EEvPKvS3_PT_PKiS7_S7_iiiiiii: ; @_ZL8moe_q5_1IN3c104HalfELb1EEvPKvS3_PT_PKiS7_S7_iiiiiii
; %bb.0:
	s_load_dwordx4 s[4:7], s[0:1], 0x18
	s_mov_b32 s8, s3
	s_mov_b32 s9, 0
	s_lshl_b64 s[10:11], s[8:9], 2
	s_waitcnt lgkmcnt(0)
	s_add_u32 s6, s6, s10
	s_addc_u32 s7, s7, s11
	s_load_dword s3, s[6:7], 0x0
	s_waitcnt lgkmcnt(0)
	s_cmpk_gt_u32 s3, 0xff
	s_cbranch_scc1 .LBB204_31
; %bb.1:
	s_load_dwordx2 s[6:7], s[0:1], 0x28
	s_waitcnt lgkmcnt(0)
	s_load_dword s7, s[6:7], 0x0
	s_lshl_b32 s6, s8, 3
	s_waitcnt lgkmcnt(0)
	s_cmp_gt_u32 s6, s7
	s_cbranch_scc1 .LBB204_31
; %bb.2:
	v_bfe_u32 v4, v0, 10, 10
	v_mov_b32_e32 v6, s4
	v_mov_b32_e32 v7, s5
	v_add_u32_e32 v2, s6, v4
	v_mov_b32_e32 v3, 0
	v_lshl_add_u64 v[6:7], v[2:3], 2, v[6:7]
	global_load_dword v1, v[6:7], off
	s_load_dwordx8 s[4:11], s[0:1], 0x30
	s_load_dwordx2 s[16:17], s[0:1], 0x10
	s_waitcnt lgkmcnt(0)
	s_lshl_b32 s11, s2, 7
	s_mov_b32 s20, 0
	s_cmp_lt_i32 s5, 32
	s_cbranch_scc1 .LBB204_21
; %bb.3:
	s_load_dwordx4 s[12:15], s[0:1], 0x0
	s_ashr_i32 s0, s5, 31
	s_lshr_b32 s0, s0, 27
	s_add_i32 s0, s5, s0
	s_ashr_i32 s21, s0, 5
	s_ashr_i32 s0, s8, 31
	s_lshr_b32 s0, s0, 27
	s_add_i32 s0, s8, s0
	s_mul_i32 s3, s3, s4
	s_ashr_i32 s8, s0, 5
	s_ashr_i32 s0, s3, 31
	s_waitcnt lgkmcnt(0)
	s_add_u32 s1, s12, s3
	s_mul_i32 s2, s21, s11
	s_addc_u32 s0, s13, s0
	s_mul_hi_i32 s3, s2, 24
	s_mul_i32 s2, s2, 24
	s_add_u32 s4, s1, s2
	s_addc_u32 s22, s0, s3
	s_not_b32 s0, s11
	s_add_i32 s2, s6, s0
	v_and_b32_e32 v9, 0x3ff, v0
	v_min_i32_e32 v7, s2, v4
	v_lshlrev_b32_e32 v6, 3, v9
	s_movk_i32 s3, 0x104
	v_mul_lo_u32 v10, v7, s21
	v_mad_u64_u32 v[12:13], s[0:1], v7, s3, v[6:7]
	v_add_u32_e32 v7, 8, v4
	v_min_i32_e32 v7, s2, v7
	v_mul_lo_u32 v14, v7, s21
	v_mad_u64_u32 v[16:17], s[0:1], v7, s3, v[6:7]
	v_add_u32_e32 v7, 16, v4
	v_min_i32_e32 v7, s2, v7
	;; [unrolled: 4-line block ×15, first 2 shown]
	v_bfe_u32 v11, v0, 3, 7
	v_mad_u64_u32 v[72:73], s[0:1], v7, s3, v[6:7]
	v_lshl_add_u32 v6, v4, 2, v11
	v_mul_lo_u32 v70, v7, s21
	v_min_i32_e32 v7, s2, v6
	v_ashrrev_i32_e32 v13, 31, v7
	v_lshrrev_b32_e32 v13, 30, v13
	v_and_b32_e32 v74, 7, v0
	v_mul_lo_u32 v76, v7, s21
	v_add_u32_e32 v13, v7, v13
	v_lshlrev_b32_e32 v45, 5, v7
	v_add_u32_e32 v7, 32, v6
	v_and_b32_e32 v13, -4, v13
	v_lshlrev_b32_e32 v15, 2, v74
	s_mov_b32 s0, 0x8200
	v_min_i32_e32 v7, s2, v7
	v_add3_u32 v43, v13, v15, s0
	v_ashrrev_i32_e32 v13, 31, v7
	v_lshrrev_b32_e32 v13, 30, v13
	v_mul_lo_u32 v78, v7, s21
	v_add_u32_e32 v13, v7, v13
	v_lshlrev_b32_e32 v49, 5, v7
	v_add_u32_e32 v7, 64, v6
	v_and_b32_e32 v13, -4, v13
	v_min_i32_e32 v7, s2, v7
	v_add3_u32 v47, v13, v15, s0
	v_ashrrev_i32_e32 v13, 31, v7
	v_add_u32_e32 v6, 0x60, v6
	v_lshrrev_b32_e32 v13, 30, v13
	v_min_i32_e32 v6, s2, v6
	v_mul_lo_u32 v80, v7, s21
	v_add_u32_e32 v13, v7, v13
	v_lshlrev_b32_e32 v53, 5, v7
	v_ashrrev_i32_e32 v7, 31, v6
	v_mov_b32_e32 v17, 0x9680
	v_lshlrev_b32_e32 v5, 2, v9
	v_lshrrev_b32_e32 v7, 30, v7
	v_lshl_add_u32 v17, v4, 4, v17
	s_abs_i32 s2, s10
	v_and_b32_e32 v2, 12, v5
	v_mul_lo_u32 v82, v6, s21
	v_add_u32_e32 v7, v6, v7
	v_lshlrev_b32_e32 v57, 5, v6
	v_and_b32_e32 v6, 28, v5
	v_add_u32_e32 v19, v17, v5
	v_cvt_f32_u32_e32 v5, s2
	v_and_b32_e32 v13, -4, v13
	v_and_b32_e32 v7, -4, v7
	v_add3_u32 v51, v13, v15, s0
	v_rcp_iflag_f32_e32 v5, v5
	v_add3_u32 v55, v7, v15, s0
	s_sub_i32 s0, 0, s2
	s_waitcnt vmcnt(0)
	v_sub_u32_e32 v31, 0, v1
	v_mul_f32_e32 v5, 0x4f7ffffe, v5
	v_cvt_u32_f32_e32 v5, v5
	v_max_i32_e32 v31, v1, v31
	v_xor_b32_e32 v29, s10, v1
	v_ashrrev_i32_e32 v29, 31, v29
	v_mul_lo_u32 v33, s0, v5
	v_mul_hi_u32 v33, v5, v33
	v_add_u32_e32 v5, v5, v33
	v_mul_hi_u32 v5, v31, v5
	v_mul_lo_u32 v33, v5, s2
	v_sub_u32_e32 v31, v31, v33
	v_add_u32_e32 v33, 1, v5
	v_cmp_le_u32_e64 s[0:1], s2, v31
	v_mov_b32_e32 v13, 0x9280
	v_lshl_add_u32 v13, v4, 7, v13
	v_cndmask_b32_e64 v5, v5, v33, s[0:1]
	v_subrev_u32_e32 v33, s2, v31
	v_cndmask_b32_e64 v31, v31, v33, s[0:1]
	v_add_u32_e32 v33, 1, v5
	v_cmp_le_u32_e64 s[0:1], s2, v31
	v_add_u32_e32 v4, 32, v9
	v_mov_b32_e32 v7, v3
	v_cndmask_b32_e64 v5, v5, v33, s[0:1]
	v_xor_b32_e32 v5, v5, v29
	v_sub_u32_e32 v5, v5, v29
	v_add_u32_e32 v27, 64, v9
	v_add_u32_e32 v25, 0x60, v9
	v_lshrrev_b32_e32 v23, 3, v4
	v_cmp_gt_i32_e64 s[0:1], s7, v5
	v_mul_lo_u32 v84, v5, s8
	v_lshlrev_b32_e32 v5, 5, v9
	v_and_b32_e32 v4, 0x1fc, v4
	v_lshl_add_u64 v[86:87], s[14:15], 0, v[6:7]
	v_and_b32_e32 v6, 0x1fc, v25
	v_and_b32_e32 v7, 0x1fc, v27
	v_add_u32_e32 v4, v5, v4
	v_and_b32_e32 v31, 0xfc, v0
	v_and_b32_e32 v15, 31, v0
	v_cmp_gt_u32_e32 vcc, 4, v9
	v_add_u32_e32 v6, v5, v6
	v_add_u32_e32 v7, v5, v7
	;; [unrolled: 1-line block ×5, first 2 shown]
	v_mov_b32_e32 v4, 0x80
	v_bfe_u32 v8, v0, 2, 8
	v_lshl_or_b32 v15, v15, 2, v13
	v_mul_u32_u24_e32 v21, 0x104, v9
	s_and_b64 s[12:13], vcc, s[0:1]
	v_ashrrev_i32_e32 v85, 31, v84
	v_add_u32_e32 v25, 0x8e00, v6
	v_add_u32_e32 v27, 0x8a00, v7
	;; [unrolled: 1-line block ×6, first 2 shown]
	v_mad_u32_u24 v41, v9, s3, v4
	v_mov_b32_e32 v4, v3
	v_mov_b32_e32 v5, v3
	;; [unrolled: 1-line block ×4, first 2 shown]
	v_add_u32_e32 v43, v43, v45
	v_add_u32_e32 v45, v47, v49
	;; [unrolled: 1-line block ×4, first 2 shown]
	s_branch .LBB204_5
.LBB204_4:                              ;   in Loop: Header=BB204_5 Depth=1
	s_add_i32 s20, s20, 8
	s_cmp_ge_i32 s20, s21
	s_cbranch_scc1 .LBB204_22
.LBB204_5:                              ; =>This Loop Header: Depth=1
                                        ;     Child Loop BB204_11 Depth 2
                                        ;     Child Loop BB204_19 Depth 2
	s_mul_i32 s2, s20, 24
	s_mul_hi_u32 s3, s20, 24
	s_add_u32 s2, s4, s2
	s_addc_u32 s3, s22, s3
	v_mad_u64_u32 v[88:89], s[18:19], v8, 24, s[2:3]
	v_mad_i64_i32 v[90:91], s[18:19], v10, 24, v[88:89]
	v_mad_i64_i32 v[98:99], s[18:19], v22, 24, v[88:89]
	v_lshl_add_u64 v[92:93], v[90:91], 0, v[2:3]
	v_mad_i64_i32 v[94:95], s[18:19], v14, 24, v[88:89]
	v_mad_i64_i32 v[96:97], s[18:19], v18, 24, v[88:89]
	global_load_dword v51, v[98:99], off offset:4
	global_load_dword v53, v[96:97], off offset:4
	;; [unrolled: 1-line block ×5, first 2 shown]
	v_lshl_add_u64 v[90:91], v[94:95], 0, v[2:3]
	global_load_dword v61, v[90:91], off offset:8
	v_lshl_add_u64 v[90:91], v[96:97], 0, v[2:3]
	v_lshl_add_u64 v[92:93], v[98:99], 0, v[2:3]
	global_load_dword v63, v[90:91], off offset:8
	global_load_dword v65, v[92:93], off offset:8
	v_mad_i64_i32 v[90:91], s[18:19], v26, 24, v[88:89]
	v_mad_i64_i32 v[92:93], s[18:19], v30, 24, v[88:89]
	;; [unrolled: 1-line block ×4, first 2 shown]
	v_lshl_add_u64 v[98:99], v[90:91], 0, v[2:3]
	v_lshl_add_u64 v[100:101], v[92:93], 0, v[2:3]
	;; [unrolled: 1-line block ×4, first 2 shown]
	global_load_dword v67, v[98:99], off offset:8
	global_load_dword v69, v[100:101], off offset:8
	global_load_dword v71, v[102:103], off offset:8
	global_load_dword v73, v[104:105], off offset:8
	global_load_dword v75, v[96:97], off offset:4
	global_load_dword v77, v[94:95], off offset:4
	global_load_dword v79, v[92:93], off offset:4
	global_load_dword v81, v[90:91], off offset:4
	s_lshl_b32 s6, s20, 5
	s_cmp_lt_i32 s6, s5
	s_waitcnt vmcnt(15)
	v_ashrrev_i32_e32 v51, v2, v51
	s_waitcnt vmcnt(14)
	v_ashrrev_i32_e32 v53, v2, v53
	;; [unrolled: 2-line block ×4, first 2 shown]
	s_waitcnt vmcnt(11)
	v_lshrrev_b32_e32 v83, 4, v59
	v_lshlrev_b32_e32 v91, 4, v57
	v_lshrrev_b32_e32 v93, 12, v57
	v_and_b32_e32 v59, 0xf0f0f0f, v59
	v_lshlrev_b32_e32 v92, 11, v57
	v_lshrrev_b32_e32 v94, 5, v57
	v_and_b32_e32 v83, 0xf0f0f0f, v83
	v_and_b32_e32 v93, 16, v93
	;; [unrolled: 1-line block ×3, first 2 shown]
	v_lshlrev_b32_e32 v95, 2, v57
	v_lshlrev_b32_e32 v96, 18, v57
	v_and_b32_e32 v94, 0x1000, v94
	v_and_b32_e32 v92, 0x1000, v92
	v_or_b32_e32 v83, v93, v83
	v_or_b32_e32 v59, v91, v59
	v_lshlrev_b32_e32 v97, 9, v57
	v_lshlrev_b32_e32 v57, 25, v57
	;; [unrolled: 1-line block ×3, first 2 shown]
	v_and_b32_e32 v95, 0x100000, v95
	v_and_b32_e32 v96, 0x100000, v96
	v_or_b32_e32 v83, v83, v94
	v_or_b32_e32 v59, v59, v92
	s_waitcnt vmcnt(10)
	v_lshrrev_b32_e32 v90, 4, v61
	v_and_b32_e32 v61, 0xf0f0f0f, v61
	v_lshlrev_b32_e32 v99, 11, v55
	v_lshrrev_b32_e32 v100, 12, v55
	v_and_b32_e32 v97, 0x10000000, v97
	v_and_b32_e32 v57, 0x10000000, v57
	;; [unrolled: 1-line block ×3, first 2 shown]
	v_or_b32_e32 v83, v83, v95
	v_or_b32_e32 v59, v59, v96
	v_lshrrev_b32_e32 v101, 5, v55
	v_and_b32_e32 v90, 0xf0f0f0f, v90
	v_lshlrev_b32_e32 v103, 18, v55
	v_and_b32_e32 v100, 16, v100
	v_and_b32_e32 v99, 0x1000, v99
	v_or_b32_e32 v61, v98, v61
	v_or_b32_e32 v83, v83, v97
	;; [unrolled: 1-line block ×3, first 2 shown]
	v_lshlrev_b32_e32 v102, 2, v55
	v_and_b32_e32 v101, 0x1000, v101
	v_or_b32_e32 v90, v100, v90
	v_or_b32_e32 v61, v61, v99
	ds_write2_b32 v12, v57, v83 offset1:1
	v_and_b32_e32 v57, 0x100000, v103
	v_and_b32_e32 v102, 0x100000, v102
	v_or_b32_e32 v90, v90, v101
	v_or_b32_e32 v57, v61, v57
	v_lshlrev_b32_e32 v61, 9, v55
	v_lshlrev_b32_e32 v55, 25, v55
	v_or_b32_e32 v59, v90, v102
	v_and_b32_e32 v61, 0x10000000, v61
	v_and_b32_e32 v55, 0x10000000, v55
	v_or_b32_e32 v59, v59, v61
	v_or_b32_e32 v55, v57, v55
	ds_write2_b32 v16, v55, v59 offset1:1
	v_lshlrev_b32_e32 v55, 4, v53
	v_lshlrev_b32_e32 v57, 11, v53
	s_waitcnt vmcnt(9)
	v_lshrrev_b32_e32 v59, 4, v63
	v_lshrrev_b32_e32 v61, 12, v53
	v_and_b32_e32 v63, 0xf0f0f0f, v63
	v_and_b32_e32 v55, 16, v55
	v_lshrrev_b32_e32 v83, 5, v53
	v_and_b32_e32 v59, 0xf0f0f0f, v59
	v_and_b32_e32 v61, 16, v61
	v_or_b32_e32 v55, v55, v63
	v_and_b32_e32 v57, 0x1000, v57
	v_or_b32_e32 v59, v61, v59
	;; [unrolled: 2-line block ×3, first 2 shown]
	v_lshlrev_b32_e32 v57, 2, v53
	v_or_b32_e32 v59, v59, v61
	v_lshlrev_b32_e32 v61, 18, v53
	v_and_b32_e32 v57, 0x100000, v57
	v_and_b32_e32 v61, 0x100000, v61
	v_or_b32_e32 v57, v59, v57
	v_lshlrev_b32_e32 v59, 9, v53
	v_lshlrev_b32_e32 v53, 25, v53
	v_or_b32_e32 v55, v55, v61
	v_and_b32_e32 v59, 0x10000000, v59
	v_and_b32_e32 v53, 0x10000000, v53
	v_or_b32_e32 v57, v57, v59
	v_or_b32_e32 v53, v55, v53
	ds_write2_b32 v20, v53, v57 offset1:1
	v_lshlrev_b32_e32 v53, 4, v51
	v_lshlrev_b32_e32 v55, 11, v51
	s_waitcnt vmcnt(8)
	v_lshrrev_b32_e32 v57, 4, v65
	v_lshrrev_b32_e32 v59, 12, v51
	v_and_b32_e32 v63, 0xf0f0f0f, v65
	v_and_b32_e32 v53, 16, v53
	v_lshrrev_b32_e32 v61, 5, v51
	v_and_b32_e32 v57, 0xf0f0f0f, v57
	v_and_b32_e32 v59, 16, v59
	v_or_b32_e32 v53, v53, v63
	v_and_b32_e32 v55, 0x1000, v55
	v_or_b32_e32 v57, v59, v57
	;; [unrolled: 2-line block ×3, first 2 shown]
	v_lshlrev_b32_e32 v55, 2, v51
	v_or_b32_e32 v57, v57, v59
	v_lshlrev_b32_e32 v59, 18, v51
	v_and_b32_e32 v55, 0x100000, v55
	v_and_b32_e32 v59, 0x100000, v59
	v_or_b32_e32 v55, v57, v55
	v_lshlrev_b32_e32 v57, 9, v51
	v_lshlrev_b32_e32 v51, 25, v51
	v_or_b32_e32 v53, v53, v59
	v_and_b32_e32 v57, 0x10000000, v57
	v_and_b32_e32 v51, 0x10000000, v51
	v_or_b32_e32 v55, v55, v57
	v_or_b32_e32 v51, v53, v51
	ds_write2_b32 v24, v51, v55 offset1:1
	s_waitcnt vmcnt(0)
	v_ashrrev_i32_e32 v51, v2, v81
	v_lshlrev_b32_e32 v53, 4, v51
	v_lshlrev_b32_e32 v55, 11, v51
	v_lshrrev_b32_e32 v57, 4, v67
	v_lshrrev_b32_e32 v59, 12, v51
	v_and_b32_e32 v63, 0xf0f0f0f, v67
	v_and_b32_e32 v53, 16, v53
	v_lshrrev_b32_e32 v61, 5, v51
	v_and_b32_e32 v57, 0xf0f0f0f, v57
	v_and_b32_e32 v59, 16, v59
	v_or_b32_e32 v53, v53, v63
	v_and_b32_e32 v55, 0x1000, v55
	v_or_b32_e32 v57, v59, v57
	;; [unrolled: 2-line block ×3, first 2 shown]
	v_lshlrev_b32_e32 v55, 2, v51
	v_or_b32_e32 v57, v57, v59
	v_lshlrev_b32_e32 v59, 18, v51
	v_and_b32_e32 v55, 0x100000, v55
	v_and_b32_e32 v59, 0x100000, v59
	v_or_b32_e32 v55, v57, v55
	v_lshlrev_b32_e32 v57, 9, v51
	v_lshlrev_b32_e32 v51, 25, v51
	v_or_b32_e32 v53, v53, v59
	v_and_b32_e32 v57, 0x10000000, v57
	v_and_b32_e32 v51, 0x10000000, v51
	v_or_b32_e32 v55, v55, v57
	v_or_b32_e32 v51, v53, v51
	v_mad_i64_i32 v[90:91], s[18:19], v42, 24, v[88:89]
	ds_write2_b32 v28, v51, v55 offset1:1
	v_lshl_add_u64 v[92:93], v[90:91], 0, v[2:3]
	v_mad_i64_i32 v[94:95], s[18:19], v46, 24, v[88:89]
	v_mad_i64_i32 v[98:99], s[18:19], v50, 24, v[88:89]
	;; [unrolled: 1-line block ×3, first 2 shown]
	v_ashrrev_i32_e32 v51, v2, v79
	v_lshrrev_b32_e32 v57, 4, v69
	v_and_b32_e32 v63, 0xf0f0f0f, v69
	v_lshl_add_u64 v[96:97], v[94:95], 0, v[2:3]
	v_lshl_add_u64 v[100:101], v[98:99], 0, v[2:3]
	;; [unrolled: 1-line block ×3, first 2 shown]
	global_load_dword v65, v[92:93], off offset:8
	global_load_dword v67, v[96:97], off offset:8
	global_load_dword v69, v[100:101], off offset:8
	global_load_dword v79, v[104:105], off offset:8
	global_load_dword v81, v[102:103], off offset:4
	global_load_dword v83, v[98:99], off offset:4
	global_load_dword v106, v[94:95], off offset:4
	global_load_dword v107, v[90:91], off offset:4
	v_lshlrev_b32_e32 v53, 4, v51
	v_lshlrev_b32_e32 v55, 11, v51
	v_lshrrev_b32_e32 v59, 12, v51
	v_and_b32_e32 v53, 16, v53
	v_lshrrev_b32_e32 v61, 5, v51
	v_and_b32_e32 v57, 0xf0f0f0f, v57
	v_and_b32_e32 v59, 16, v59
	v_or_b32_e32 v53, v53, v63
	v_and_b32_e32 v55, 0x1000, v55
	v_or_b32_e32 v57, v59, v57
	;; [unrolled: 2-line block ×3, first 2 shown]
	v_lshlrev_b32_e32 v55, 2, v51
	v_or_b32_e32 v57, v57, v59
	v_lshlrev_b32_e32 v59, 18, v51
	v_and_b32_e32 v55, 0x100000, v55
	v_and_b32_e32 v59, 0x100000, v59
	v_or_b32_e32 v55, v57, v55
	v_lshlrev_b32_e32 v57, 9, v51
	v_lshlrev_b32_e32 v51, 25, v51
	v_or_b32_e32 v53, v53, v59
	v_and_b32_e32 v57, 0x10000000, v57
	v_and_b32_e32 v51, 0x10000000, v51
	v_or_b32_e32 v55, v55, v57
	v_or_b32_e32 v51, v53, v51
	ds_write2_b32 v32, v51, v55 offset1:1
	v_ashrrev_i32_e32 v51, v2, v77
	v_lshlrev_b32_e32 v53, 4, v51
	v_lshlrev_b32_e32 v55, 11, v51
	v_lshrrev_b32_e32 v57, 4, v71
	v_lshrrev_b32_e32 v59, 12, v51
	v_and_b32_e32 v63, 0xf0f0f0f, v71
	v_and_b32_e32 v53, 16, v53
	v_lshrrev_b32_e32 v61, 5, v51
	v_and_b32_e32 v57, 0xf0f0f0f, v57
	v_and_b32_e32 v59, 16, v59
	v_or_b32_e32 v53, v53, v63
	v_and_b32_e32 v55, 0x1000, v55
	v_or_b32_e32 v57, v59, v57
	;; [unrolled: 2-line block ×3, first 2 shown]
	v_lshlrev_b32_e32 v55, 2, v51
	v_or_b32_e32 v57, v57, v59
	v_lshlrev_b32_e32 v59, 18, v51
	v_and_b32_e32 v55, 0x100000, v55
	v_and_b32_e32 v59, 0x100000, v59
	v_or_b32_e32 v55, v57, v55
	v_lshlrev_b32_e32 v57, 9, v51
	v_lshlrev_b32_e32 v51, 25, v51
	v_or_b32_e32 v53, v53, v59
	v_and_b32_e32 v57, 0x10000000, v57
	v_and_b32_e32 v51, 0x10000000, v51
	v_or_b32_e32 v55, v55, v57
	v_or_b32_e32 v51, v53, v51
	ds_write2_b32 v36, v51, v55 offset1:1
	v_ashrrev_i32_e32 v51, v2, v75
	v_lshlrev_b32_e32 v53, 4, v51
	v_lshlrev_b32_e32 v55, 11, v51
	v_lshrrev_b32_e32 v57, 4, v73
	v_lshrrev_b32_e32 v59, 12, v51
	v_and_b32_e32 v63, 0xf0f0f0f, v73
	v_and_b32_e32 v53, 16, v53
	v_lshrrev_b32_e32 v61, 5, v51
	v_and_b32_e32 v57, 0xf0f0f0f, v57
	v_and_b32_e32 v59, 16, v59
	v_or_b32_e32 v53, v53, v63
	v_and_b32_e32 v55, 0x1000, v55
	v_or_b32_e32 v57, v59, v57
	;; [unrolled: 2-line block ×3, first 2 shown]
	v_lshlrev_b32_e32 v55, 2, v51
	v_or_b32_e32 v57, v57, v59
	v_lshlrev_b32_e32 v59, 18, v51
	v_and_b32_e32 v55, 0x100000, v55
	v_and_b32_e32 v59, 0x100000, v59
	v_or_b32_e32 v55, v57, v55
	v_lshlrev_b32_e32 v57, 9, v51
	v_lshlrev_b32_e32 v51, 25, v51
	v_or_b32_e32 v53, v53, v59
	v_and_b32_e32 v57, 0x10000000, v57
	v_and_b32_e32 v51, 0x10000000, v51
	v_or_b32_e32 v55, v55, v57
	v_or_b32_e32 v51, v53, v51
	ds_write2_b32 v40, v51, v55 offset1:1
	s_waitcnt vmcnt(0)
	v_ashrrev_i32_e32 v51, v2, v107
	v_lshlrev_b32_e32 v53, 4, v51
	v_lshlrev_b32_e32 v55, 11, v51
	v_lshrrev_b32_e32 v57, 4, v65
	v_lshrrev_b32_e32 v59, 12, v51
	v_and_b32_e32 v63, 0xf0f0f0f, v65
	v_and_b32_e32 v53, 16, v53
	v_lshrrev_b32_e32 v61, 5, v51
	v_and_b32_e32 v57, 0xf0f0f0f, v57
	v_and_b32_e32 v59, 16, v59
	v_or_b32_e32 v53, v53, v63
	v_and_b32_e32 v55, 0x1000, v55
	v_or_b32_e32 v57, v59, v57
	;; [unrolled: 2-line block ×3, first 2 shown]
	v_lshlrev_b32_e32 v55, 2, v51
	v_or_b32_e32 v57, v57, v59
	v_lshlrev_b32_e32 v59, 18, v51
	v_and_b32_e32 v55, 0x100000, v55
	v_and_b32_e32 v59, 0x100000, v59
	v_or_b32_e32 v55, v57, v55
	v_lshlrev_b32_e32 v57, 9, v51
	v_lshlrev_b32_e32 v51, 25, v51
	v_or_b32_e32 v53, v53, v59
	v_and_b32_e32 v57, 0x10000000, v57
	v_and_b32_e32 v51, 0x10000000, v51
	v_or_b32_e32 v55, v55, v57
	v_or_b32_e32 v51, v53, v51
	v_mad_i64_i32 v[90:91], s[18:19], v58, 24, v[88:89]
	ds_write2_b32 v44, v51, v55 offset1:1
	v_lshl_add_u64 v[92:93], v[90:91], 0, v[2:3]
	v_mad_i64_i32 v[94:95], s[18:19], v62, 24, v[88:89]
	v_mad_i64_i32 v[98:99], s[18:19], v66, 24, v[88:89]
	;; [unrolled: 1-line block ×3, first 2 shown]
	v_lshrrev_b32_e32 v57, 4, v67
	v_and_b32_e32 v63, 0xf0f0f0f, v67
	v_lshl_add_u64 v[96:97], v[94:95], 0, v[2:3]
	v_lshl_add_u64 v[100:101], v[98:99], 0, v[2:3]
	;; [unrolled: 1-line block ×3, first 2 shown]
	global_load_dword v65, v[92:93], off offset:8
	global_load_dword v67, v[96:97], off offset:8
	global_load_dword v71, v[100:101], off offset:8
	global_load_dword v73, v[102:103], off offset:8
	global_load_dword v75, v[88:89], off offset:4
	global_load_dword v77, v[98:99], off offset:4
	global_load_dword v104, v[94:95], off offset:4
	global_load_dword v105, v[90:91], off offset:4
	v_ashrrev_i32_e32 v51, v2, v106
	v_lshlrev_b32_e32 v53, 4, v51
	v_lshlrev_b32_e32 v55, 11, v51
	v_lshrrev_b32_e32 v59, 12, v51
	v_and_b32_e32 v53, 16, v53
	v_lshrrev_b32_e32 v61, 5, v51
	v_and_b32_e32 v57, 0xf0f0f0f, v57
	v_and_b32_e32 v59, 16, v59
	v_or_b32_e32 v53, v53, v63
	v_and_b32_e32 v55, 0x1000, v55
	v_or_b32_e32 v57, v59, v57
	;; [unrolled: 2-line block ×3, first 2 shown]
	v_lshlrev_b32_e32 v55, 2, v51
	v_or_b32_e32 v57, v57, v59
	v_lshlrev_b32_e32 v59, 18, v51
	v_and_b32_e32 v55, 0x100000, v55
	v_and_b32_e32 v59, 0x100000, v59
	v_or_b32_e32 v55, v57, v55
	v_lshlrev_b32_e32 v57, 9, v51
	v_lshlrev_b32_e32 v51, 25, v51
	v_or_b32_e32 v53, v53, v59
	v_and_b32_e32 v57, 0x10000000, v57
	v_and_b32_e32 v51, 0x10000000, v51
	v_or_b32_e32 v55, v55, v57
	v_or_b32_e32 v51, v53, v51
	ds_write2_b32 v48, v51, v55 offset1:1
	v_ashrrev_i32_e32 v51, v2, v83
	v_lshlrev_b32_e32 v53, 4, v51
	v_lshlrev_b32_e32 v55, 11, v51
	v_lshrrev_b32_e32 v57, 4, v69
	v_lshrrev_b32_e32 v59, 12, v51
	v_and_b32_e32 v63, 0xf0f0f0f, v69
	v_and_b32_e32 v53, 16, v53
	v_lshrrev_b32_e32 v61, 5, v51
	v_and_b32_e32 v57, 0xf0f0f0f, v57
	v_and_b32_e32 v59, 16, v59
	v_or_b32_e32 v53, v53, v63
	v_and_b32_e32 v55, 0x1000, v55
	v_or_b32_e32 v57, v59, v57
	;; [unrolled: 2-line block ×3, first 2 shown]
	v_lshlrev_b32_e32 v55, 2, v51
	v_or_b32_e32 v57, v57, v59
	v_lshlrev_b32_e32 v59, 18, v51
	v_and_b32_e32 v55, 0x100000, v55
	v_and_b32_e32 v59, 0x100000, v59
	v_or_b32_e32 v55, v57, v55
	v_lshlrev_b32_e32 v57, 9, v51
	v_lshlrev_b32_e32 v51, 25, v51
	v_or_b32_e32 v53, v53, v59
	v_and_b32_e32 v57, 0x10000000, v57
	v_and_b32_e32 v51, 0x10000000, v51
	v_or_b32_e32 v55, v55, v57
	v_or_b32_e32 v51, v53, v51
	ds_write2_b32 v52, v51, v55 offset1:1
	v_ashrrev_i32_e32 v51, v2, v81
	v_lshlrev_b32_e32 v53, 4, v51
	v_lshlrev_b32_e32 v55, 11, v51
	v_lshrrev_b32_e32 v57, 4, v79
	v_lshrrev_b32_e32 v59, 12, v51
	v_and_b32_e32 v63, 0xf0f0f0f, v79
	v_and_b32_e32 v53, 16, v53
	v_lshrrev_b32_e32 v61, 5, v51
	v_and_b32_e32 v57, 0xf0f0f0f, v57
	v_and_b32_e32 v59, 16, v59
	v_or_b32_e32 v53, v53, v63
	v_and_b32_e32 v55, 0x1000, v55
	v_or_b32_e32 v57, v59, v57
	;; [unrolled: 2-line block ×3, first 2 shown]
	v_lshlrev_b32_e32 v55, 2, v51
	v_or_b32_e32 v57, v57, v59
	v_lshlrev_b32_e32 v59, 18, v51
	v_and_b32_e32 v55, 0x100000, v55
	v_and_b32_e32 v59, 0x100000, v59
	v_or_b32_e32 v55, v57, v55
	v_lshlrev_b32_e32 v57, 9, v51
	v_lshlrev_b32_e32 v51, 25, v51
	v_or_b32_e32 v53, v53, v59
	v_and_b32_e32 v57, 0x10000000, v57
	v_and_b32_e32 v51, 0x10000000, v51
	v_or_b32_e32 v55, v55, v57
	v_or_b32_e32 v51, v53, v51
	ds_write2_b32 v56, v51, v55 offset1:1
	s_waitcnt vmcnt(0)
	v_ashrrev_i32_e32 v51, v2, v105
	v_lshlrev_b32_e32 v53, 4, v51
	v_lshlrev_b32_e32 v55, 11, v51
	v_lshrrev_b32_e32 v57, 4, v65
	v_lshrrev_b32_e32 v59, 12, v51
	v_and_b32_e32 v63, 0xf0f0f0f, v65
	v_and_b32_e32 v53, 16, v53
	v_lshrrev_b32_e32 v61, 5, v51
	v_and_b32_e32 v57, 0xf0f0f0f, v57
	v_and_b32_e32 v59, 16, v59
	v_or_b32_e32 v53, v53, v63
	v_and_b32_e32 v55, 0x1000, v55
	v_or_b32_e32 v57, v59, v57
	;; [unrolled: 2-line block ×3, first 2 shown]
	v_lshlrev_b32_e32 v55, 2, v51
	v_or_b32_e32 v57, v57, v59
	v_lshlrev_b32_e32 v59, 18, v51
	v_and_b32_e32 v55, 0x100000, v55
	v_and_b32_e32 v59, 0x100000, v59
	v_or_b32_e32 v55, v57, v55
	v_lshlrev_b32_e32 v57, 9, v51
	v_lshlrev_b32_e32 v51, 25, v51
	v_or_b32_e32 v53, v53, v59
	v_and_b32_e32 v57, 0x10000000, v57
	v_and_b32_e32 v51, 0x10000000, v51
	v_or_b32_e32 v55, v55, v57
	v_or_b32_e32 v51, v53, v51
	ds_write2_b32 v60, v51, v55 offset1:1
	v_ashrrev_i32_e32 v51, v2, v104
	v_lshlrev_b32_e32 v53, 4, v51
	v_lshrrev_b32_e32 v57, 4, v67
	v_lshrrev_b32_e32 v59, 12, v51
	v_mad_u64_u32 v[88:89], s[2:3], v74, 24, s[2:3]
	v_lshrrev_b32_e32 v61, 5, v51
	v_and_b32_e32 v57, 0xf0f0f0f, v57
	v_and_b32_e32 v63, 0xf0f0f0f, v67
	;; [unrolled: 1-line block ×4, first 2 shown]
	v_mad_i64_i32 v[90:91], s[2:3], v76, 24, v[88:89]
	v_mad_i64_i32 v[92:93], s[2:3], v78, 24, v[88:89]
	;; [unrolled: 1-line block ×4, first 2 shown]
	v_or_b32_e32 v57, v59, v57
	v_or_b32_e32 v53, v53, v63
	v_and_b32_e32 v59, 0x1000, v61
	global_load_dword v61, v[90:91], off
	global_load_dword v63, v[92:93], off
	;; [unrolled: 1-line block ×4, first 2 shown]
	v_lshlrev_b32_e32 v55, 11, v51
	v_and_b32_e32 v55, 0x1000, v55
	v_or_b32_e32 v53, v53, v55
	v_lshlrev_b32_e32 v55, 2, v51
	v_or_b32_e32 v57, v57, v59
	v_lshlrev_b32_e32 v59, 18, v51
	v_and_b32_e32 v55, 0x100000, v55
	v_and_b32_e32 v59, 0x100000, v59
	v_or_b32_e32 v55, v57, v55
	v_lshlrev_b32_e32 v57, 9, v51
	v_lshlrev_b32_e32 v51, 25, v51
	v_or_b32_e32 v53, v53, v59
	v_and_b32_e32 v57, 0x10000000, v57
	v_and_b32_e32 v51, 0x10000000, v51
	v_or_b32_e32 v55, v55, v57
	v_or_b32_e32 v51, v53, v51
	ds_write2_b32 v64, v51, v55 offset1:1
	v_ashrrev_i32_e32 v51, v2, v77
	v_lshlrev_b32_e32 v53, 4, v51
	v_lshlrev_b32_e32 v55, 11, v51
	v_lshrrev_b32_e32 v57, 4, v71
	v_lshrrev_b32_e32 v59, 12, v51
	v_and_b32_e32 v71, 0xf0f0f0f, v71
	v_and_b32_e32 v53, 16, v53
	v_lshrrev_b32_e32 v69, 5, v51
	v_and_b32_e32 v57, 0xf0f0f0f, v57
	v_and_b32_e32 v59, 16, v59
	v_or_b32_e32 v53, v53, v71
	v_and_b32_e32 v55, 0x1000, v55
	v_or_b32_e32 v57, v59, v57
	;; [unrolled: 2-line block ×3, first 2 shown]
	v_lshlrev_b32_e32 v55, 2, v51
	v_or_b32_e32 v57, v57, v59
	v_lshlrev_b32_e32 v59, 18, v51
	v_and_b32_e32 v55, 0x100000, v55
	v_and_b32_e32 v59, 0x100000, v59
	v_or_b32_e32 v55, v57, v55
	v_lshlrev_b32_e32 v57, 9, v51
	v_lshlrev_b32_e32 v51, 25, v51
	v_or_b32_e32 v53, v53, v59
	v_and_b32_e32 v57, 0x10000000, v57
	v_and_b32_e32 v51, 0x10000000, v51
	v_or_b32_e32 v55, v55, v57
	v_or_b32_e32 v51, v53, v51
	ds_write2_b32 v68, v51, v55 offset1:1
	v_ashrrev_i32_e32 v51, v2, v75
	v_lshlrev_b32_e32 v53, 4, v51
	v_lshlrev_b32_e32 v55, 11, v51
	v_lshrrev_b32_e32 v57, 4, v73
	v_lshrrev_b32_e32 v59, 12, v51
	v_and_b32_e32 v71, 0xf0f0f0f, v73
	v_and_b32_e32 v53, 16, v53
	v_lshrrev_b32_e32 v69, 5, v51
	v_and_b32_e32 v57, 0xf0f0f0f, v57
	v_and_b32_e32 v59, 16, v59
	v_or_b32_e32 v53, v53, v71
	v_and_b32_e32 v55, 0x1000, v55
	v_or_b32_e32 v57, v59, v57
	;; [unrolled: 2-line block ×3, first 2 shown]
	v_lshlrev_b32_e32 v55, 2, v51
	v_or_b32_e32 v57, v57, v59
	v_lshlrev_b32_e32 v59, 18, v51
	v_and_b32_e32 v55, 0x100000, v55
	v_and_b32_e32 v59, 0x100000, v59
	v_or_b32_e32 v55, v57, v55
	v_lshlrev_b32_e32 v57, 9, v51
	v_lshlrev_b32_e32 v51, 25, v51
	v_or_b32_e32 v53, v53, v59
	v_and_b32_e32 v57, 0x10000000, v57
	v_and_b32_e32 v51, 0x10000000, v51
	v_or_b32_e32 v55, v55, v57
	v_or_b32_e32 v51, v53, v51
	ds_write2_b32 v72, v51, v55 offset1:1
	s_waitcnt vmcnt(3)
	ds_write_b32 v43, v61
	s_waitcnt vmcnt(2)
	ds_write_b32 v45, v63
	;; [unrolled: 2-line block ×4, first 2 shown]
	s_cbranch_scc0 .LBB204_4
; %bb.6:                                ;   in Loop: Header=BB204_5 Depth=1
	v_add_u32_e32 v51, s20, v11
	v_cmp_gt_i32_e64 s[2:3], s8, v51
	s_and_b64 s[18:19], s[0:1], s[2:3]
	s_and_saveexec_b64 s[2:3], s[18:19]
	s_cbranch_execz .LBB204_8
; %bb.7:                                ;   in Loop: Header=BB204_5 Depth=1
	v_add_u32_e32 v51, v84, v51
	v_mad_i64_i32 v[88:89], s[18:19], v51, 36, v[86:87]
	global_load_dword v51, v[88:89], off offset:4
	s_waitcnt vmcnt(0)
	ds_write_b32 v15, v51
.LBB204_8:                              ;   in Loop: Header=BB204_5 Depth=1
	s_or_b64 exec, exec, s[2:3]
	v_add_u32_e32 v88, s20, v9
	v_cmp_gt_i32_e64 s[2:3], s8, v88
	s_and_b64 s[18:19], s[12:13], s[2:3]
	s_and_saveexec_b64 s[2:3], s[18:19]
	s_cbranch_execz .LBB204_10
; %bb.9:                                ;   in Loop: Header=BB204_5 Depth=1
	v_add_u32_e32 v51, v84, v88
	v_mad_i64_i32 v[90:91], s[18:19], v51, 36, s[14:15]
	global_load_dword v51, v[90:91], off
	s_waitcnt vmcnt(0)
	ds_write_b32 v19, v51
.LBB204_10:                             ;   in Loop: Header=BB204_5 Depth=1
	s_or_b64 exec, exec, s[2:3]
	s_mov_b32 s2, -4
	v_mov_b32_e32 v51, v13
	v_mov_b32_e32 v53, v21
	;; [unrolled: 1-line block ×7, first 2 shown]
	s_waitcnt lgkmcnt(0)
	s_barrier
.LBB204_11:                             ;   Parent Loop BB204_5 Depth=1
                                        ; =>  This Inner Loop Header: Depth=2
	ds_read_b128 v[90:93], v51
	ds_read_b128 v[94:97], v51 offset:16
	ds_read_b32 v65, v55
	ds_read_b32 v67, v57
	ds_read2_b32 v[98:99], v53 offset1:1
	v_mov_b32_e32 v69, 0
	v_add_u32_e32 v71, 0x2080, v53
	v_add_u32_e32 v75, 0x2088, v53
	s_waitcnt lgkmcnt(1)
	v_pk_mul_f16 v67, v65, v67
	s_waitcnt lgkmcnt(0)
	v_dot4c_i32_i8_e32 v69, v98, v90
	v_dot4c_i32_i8_e32 v69, v99, v94
	ds_read2_b32 v[98:99], v53 offset0:2 offset1:3
	v_cvt_f32_f16_sdwa v100, v67 dst_sel:DWORD dst_unused:UNUSED_PAD src0_sel:WORD_1
	v_add_u32_e32 v79, 0x6188, v53
	s_add_i32 s2, s2, 4
	v_add_u32_e32 v57, 4, v57
	s_waitcnt lgkmcnt(0)
	v_dot4c_i32_i8_e32 v69, v98, v91
	v_dot4c_i32_i8_e32 v69, v99, v95
	ds_read2_b32 v[98:99], v53 offset0:4 offset1:5
	v_add_u32_e32 v55, 4, v55
	v_add_u32_e32 v51, 32, v51
	s_cmp_lt_u32 s2, 12
	s_waitcnt lgkmcnt(0)
	v_dot4c_i32_i8_e32 v69, v98, v92
	v_dot4c_i32_i8_e32 v69, v99, v96
	ds_read2_b32 v[98:99], v53 offset0:6 offset1:7
	s_waitcnt lgkmcnt(0)
	v_dot4c_i32_i8_e32 v69, v98, v93
	v_dot4c_i32_i8_e32 v69, v99, v97
	ds_read_b32 v73, v59
	ds_read2_b32 v[98:99], v71 offset1:1
	v_mov_b32_e32 v71, 0
	v_add_u32_e32 v59, 4, v59
	s_waitcnt lgkmcnt(1)
	v_pk_mul_f16 v73, v65, v73
	s_waitcnt lgkmcnt(0)
	v_dot4c_i32_i8_e32 v71, v98, v90
	v_dot4c_i32_i8_e32 v71, v99, v94
	ds_read2_b32 v[98:99], v75 offset1:1
	v_add_u32_e32 v75, 0x2090, v53
	v_cvt_f32_f16_sdwa v101, v73 dst_sel:DWORD dst_unused:UNUSED_PAD src0_sel:WORD_1
	s_waitcnt lgkmcnt(0)
	v_dot4c_i32_i8_e32 v71, v98, v91
	v_dot4c_i32_i8_e32 v71, v99, v95
	ds_read2_b32 v[98:99], v75 offset1:1
	v_add_u32_e32 v75, 0x2098, v53
	s_waitcnt lgkmcnt(0)
	v_dot4c_i32_i8_e32 v71, v98, v92
	v_dot4c_i32_i8_e32 v71, v99, v96
	ds_read2_b32 v[98:99], v75 offset1:1
	v_add_u32_e32 v75, 0x4108, v53
	s_waitcnt lgkmcnt(0)
	v_dot4c_i32_i8_e32 v71, v98, v93
	v_dot4c_i32_i8_e32 v71, v99, v97
	v_cvt_f32_f16_e32 v99, v73
	v_cvt_f32_f16_e32 v98, v67
	v_add_u32_e32 v67, 0x4100, v53
	ds_read_b32 v73, v61
	ds_read2_b32 v[102:103], v67 offset1:1
	v_mov_b32_e32 v67, 0
	v_add_u32_e32 v61, 4, v61
	s_waitcnt lgkmcnt(1)
	v_pk_mul_f16 v73, v65, v73
	s_waitcnt lgkmcnt(0)
	v_dot4c_i32_i8_e32 v67, v102, v90
	v_dot4c_i32_i8_e32 v67, v103, v94
	ds_read2_b32 v[102:103], v75 offset1:1
	v_add_u32_e32 v75, 0x4110, v53
	s_waitcnt lgkmcnt(0)
	v_dot4c_i32_i8_e32 v67, v102, v91
	v_dot4c_i32_i8_e32 v67, v103, v95
	ds_read2_b32 v[102:103], v75 offset1:1
	v_add_u32_e32 v75, 0x4118, v53
	;; [unrolled: 5-line block ×3, first 2 shown]
	s_waitcnt lgkmcnt(0)
	v_dot4c_i32_i8_e32 v67, v102, v93
	v_dot4c_i32_i8_e32 v67, v103, v97
	ds_read_b32 v77, v63
	ds_read2_b32 v[102:103], v75 offset1:1
	v_mov_b32_e32 v75, 0
	v_add_u32_e32 v63, 4, v63
	s_waitcnt lgkmcnt(1)
	v_pk_mul_f16 v65, v65, v77
	s_waitcnt lgkmcnt(0)
	v_dot4c_i32_i8_e32 v75, v102, v90
	v_dot4c_i32_i8_e32 v75, v103, v94
	ds_read2_b32 v[102:103], v79 offset1:1
	v_add_u32_e32 v79, 0x6190, v53
	v_cvt_f32_i32_e32 v94, v67
	s_waitcnt lgkmcnt(0)
	v_dot4c_i32_i8_e32 v75, v102, v91
	ds_read2_b32 v[90:91], v79 offset1:1
	v_dot4c_i32_i8_e32 v75, v103, v95
	v_add_u32_e32 v79, 0x6198, v53
	v_add_u32_e32 v53, 32, v53
	s_waitcnt lgkmcnt(0)
	v_dot4c_i32_i8_e32 v75, v90, v92
	v_dot4c_i32_i8_e32 v75, v91, v96
	ds_read2_b32 v[90:91], v79 offset1:1
	v_cvt_f32_f16_sdwa v92, v73 dst_sel:DWORD dst_unused:UNUSED_PAD src0_sel:WORD_1
	v_cvt_f32_i32_e32 v96, v69
	s_waitcnt lgkmcnt(0)
	v_dot4c_i32_i8_e32 v75, v90, v93
	v_dot4c_i32_i8_e32 v75, v91, v97
	v_cvt_f32_f16_e32 v91, v65
	v_cvt_f32_f16_e32 v90, v73
	v_cvt_f32_f16_sdwa v93, v65 dst_sel:DWORD dst_unused:UNUSED_PAD src0_sel:WORD_1
	v_cvt_f32_i32_e32 v95, v75
	v_cvt_f32_i32_e32 v97, v71
	v_pk_fma_f32 v[90:91], v[90:91], v[94:95], v[92:93]
	v_pk_fma_f32 v[96:97], v[98:99], v[96:97], v[100:101]
	v_pk_add_f32 v[6:7], v[6:7], v[90:91]
	v_pk_add_f32 v[4:5], v[4:5], v[96:97]
	s_cbranch_scc1 .LBB204_11
; %bb.12:                               ;   in Loop: Header=BB204_5 Depth=1
	s_bitset1_b32 s6, 7
	s_cmp_ge_i32 s6, s5
	s_barrier
	s_cbranch_scc1 .LBB204_4
; %bb.13:                               ;   in Loop: Header=BB204_5 Depth=1
	v_add_u32_e32 v51, s20, v23
	v_cmp_gt_i32_e64 s[2:3], s8, v51
	s_and_b64 s[18:19], s[0:1], s[2:3]
	s_and_saveexec_b64 s[2:3], s[18:19]
	s_cbranch_execz .LBB204_15
; %bb.14:                               ;   in Loop: Header=BB204_5 Depth=1
	v_add_u32_e32 v51, v84, v51
	v_mad_i64_i32 v[90:91], s[18:19], v51, 36, v[86:87]
	global_load_dword v51, v[90:91], off offset:4
	s_waitcnt vmcnt(0)
	ds_write_b32 v15, v51
.LBB204_15:                             ;   in Loop: Header=BB204_5 Depth=1
	s_or_b64 exec, exec, s[2:3]
	s_and_saveexec_b64 s[18:19], vcc
	s_cbranch_execz .LBB204_18
; %bb.16:                               ;   in Loop: Header=BB204_5 Depth=1
	v_or_b32_e32 v51, 4, v88
	v_cmp_gt_i32_e64 s[2:3], s8, v51
	s_and_b64 s[2:3], s[0:1], s[2:3]
	s_and_b64 exec, exec, s[2:3]
	s_cbranch_execz .LBB204_18
; %bb.17:                               ;   in Loop: Header=BB204_5 Depth=1
	v_ashrrev_i32_e32 v89, 31, v88
	v_lshl_add_u64 v[88:89], v[84:85], 0, v[88:89]
	v_mad_u64_u32 v[90:91], s[2:3], v88, 36, s[14:15]
	v_mad_i32_i24 v91, v89, 36, v91
	global_load_dword v51, v[90:91], off offset:144
	s_waitcnt vmcnt(0)
	ds_write_b32 v19, v51
.LBB204_18:                             ;   in Loop: Header=BB204_5 Depth=1
	s_or_b64 exec, exec, s[18:19]
	s_mov_b32 s2, 12
	v_mov_b32_e32 v51, v17
	v_mov_b32_e32 v53, v13
	;; [unrolled: 1-line block ×7, first 2 shown]
	s_waitcnt lgkmcnt(0)
	s_barrier
.LBB204_19:                             ;   Parent Loop BB204_5 Depth=1
                                        ; =>  This Inner Loop Header: Depth=2
	ds_read_b128 v[88:91], v53
	ds_read_b32 v65, v51
	ds_read_b128 v[92:95], v53 offset:16
	ds_read2_b32 v[96:97], v55 offset1:1
	v_add_u32_e32 v71, 0x2080, v55
	v_add_u32_e32 v114, 0x4108, v55
	;; [unrolled: 1-line block ×8, first 2 shown]
	ds_read_b32 v69, v57
	ds_read2_b32 v[98:99], v55 offset0:2 offset1:3
	ds_read2_b32 v[100:101], v55 offset0:4 offset1:5
	;; [unrolled: 1-line block ×3, first 2 shown]
	v_add_u32_e32 v75, 0x2088, v55
	v_add_u32_e32 v77, 0x2090, v55
	;; [unrolled: 1-line block ×4, first 2 shown]
	ds_read_b32 v128, v59
	ds_read_b32 v129, v61
	ds_read_b32 v130, v63
	ds_read2_b32 v[104:105], v71 offset1:1
	ds_read2_b32 v[106:107], v75 offset1:1
	;; [unrolled: 1-line block ×12, first 2 shown]
	v_mov_b32_e32 v67, 0
	v_mov_b32_e32 v73, 0
	;; [unrolled: 1-line block ×4, first 2 shown]
	s_waitcnt lgkmcnt(14)
	v_dot4c_i32_i8_e32 v67, v96, v88
	s_waitcnt lgkmcnt(11)
	v_dot4c_i32_i8_e32 v73, v104, v88
	;; [unrolled: 2-line block ×4, first 2 shown]
	v_dot4c_i32_i8_e32 v67, v97, v92
	v_dot4c_i32_i8_e32 v73, v105, v92
	v_dot4c_i32_i8_e32 v83, v113, v92
	v_dot4c_i32_i8_e32 v134, v121, v92
	v_dot4c_i32_i8_e32 v67, v98, v89
	v_dot4c_i32_i8_e32 v73, v106, v89
	v_dot4c_i32_i8_e32 v83, v114, v89
	s_waitcnt lgkmcnt(2)
	v_dot4c_i32_i8_e32 v134, v122, v89
	v_dot4c_i32_i8_e32 v67, v99, v93
	v_dot4c_i32_i8_e32 v73, v107, v93
	v_dot4c_i32_i8_e32 v83, v115, v93
	v_dot4c_i32_i8_e32 v134, v123, v93
	v_dot4c_i32_i8_e32 v67, v100, v90
	v_dot4c_i32_i8_e32 v73, v108, v90
	v_dot4c_i32_i8_e32 v83, v116, v90
	s_waitcnt lgkmcnt(1)
	v_dot4c_i32_i8_e32 v134, v124, v90
	;; [unrolled: 9-line block ×3, first 2 shown]
	v_pk_mul_f16 v69, v65, v69
	v_pk_mul_f16 v71, v65, v128
	;; [unrolled: 1-line block ×4, first 2 shown]
	v_dot4c_i32_i8_e32 v67, v103, v95
	v_dot4c_i32_i8_e32 v73, v111, v95
	;; [unrolled: 1-line block ×4, first 2 shown]
	v_cvt_f32_f16_e32 v97, v71
	v_cvt_f32_f16_e32 v96, v69
	v_cvt_f32_f16_sdwa v129, v71 dst_sel:DWORD dst_unused:UNUSED_PAD src0_sel:WORD_1
	v_cvt_f32_f16_sdwa v128, v69 dst_sel:DWORD dst_unused:UNUSED_PAD src0_sel:WORD_1
	v_cvt_f32_f16_e32 v131, v65
	v_cvt_f32_f16_e32 v130, v75
	v_cvt_f32_f16_sdwa v133, v65 dst_sel:DWORD dst_unused:UNUSED_PAD src0_sel:WORD_1
	v_cvt_f32_f16_sdwa v132, v75 dst_sel:DWORD dst_unused:UNUSED_PAD src0_sel:WORD_1
	v_cvt_f32_i32_e32 v88, v67
	v_cvt_f32_i32_e32 v91, v134
	;; [unrolled: 1-line block ×4, first 2 shown]
	s_add_i32 s2, s2, 4
	v_add_u32_e32 v63, 4, v63
	v_pk_fma_f32 v[88:89], v[96:97], v[88:89], v[128:129]
	v_pk_fma_f32 v[90:91], v[130:131], v[90:91], v[132:133]
	v_add_u32_e32 v61, 4, v61
	v_add_u32_e32 v59, 4, v59
	;; [unrolled: 1-line block ×6, first 2 shown]
	s_cmp_lt_u32 s2, 28
	v_pk_add_f32 v[6:7], v[6:7], v[90:91]
	v_pk_add_f32 v[4:5], v[4:5], v[88:89]
	s_cbranch_scc1 .LBB204_19
; %bb.20:                               ;   in Loop: Header=BB204_5 Depth=1
	s_barrier
	s_branch .LBB204_4
.LBB204_21:
	v_mov_b32_e32 v4, v3
	v_mov_b32_e32 v5, v3
	;; [unrolled: 1-line block ×3, first 2 shown]
	v_mov_b64_e32 v[6:7], v[4:5]
	v_mov_b64_e32 v[4:5], v[2:3]
.LBB204_22:
	s_mul_i32 s0, s10, s7
	s_waitcnt vmcnt(0)
	v_cmp_gt_i32_e32 vcc, s0, v1
	s_and_saveexec_b64 s[0:1], vcc
	s_cbranch_execz .LBB204_31
; %bb.23:
	v_and_b32_e32 v0, 0x3ff, v0
	v_add_u32_e32 v2, s11, v0
	v_mul_lo_u32 v0, v1, s9
	v_cmp_gt_u32_e32 vcc, s9, v2
	s_and_saveexec_b64 s[0:1], vcc
	s_cbranch_execz .LBB204_25
; %bb.24:
	v_cvt_f16_f32_e32 v1, v4
	v_add_u32_e32 v8, v0, v2
	v_mov_b32_e32 v9, 0
	v_lshl_add_u64 v[8:9], v[8:9], 1, s[16:17]
	global_store_short v[8:9], v1, off
.LBB204_25:
	s_or_b64 exec, exec, s[0:1]
	v_add_u32_e32 v1, 32, v2
	v_cmp_gt_u32_e32 vcc, s9, v1
	s_and_saveexec_b64 s[0:1], vcc
	s_cbranch_execz .LBB204_27
; %bb.26:
	v_cvt_f16_f32_e32 v3, v5
	v_add_u32_e32 v4, v0, v1
	v_mov_b32_e32 v5, 0
	v_lshl_add_u64 v[4:5], v[4:5], 1, s[16:17]
	global_store_short v[4:5], v3, off
.LBB204_27:
	s_or_b64 exec, exec, s[0:1]
	v_add_u32_e32 v1, 64, v2
	;; [unrolled: 12-line block ×3, first 2 shown]
	v_cmp_gt_u32_e32 vcc, s9, v1
	s_and_b64 exec, exec, vcc
	s_cbranch_execz .LBB204_31
; %bb.30:
	v_cvt_f16_f32_e32 v2, v7
	v_add_u32_e32 v0, v0, v1
	v_mov_b32_e32 v1, 0
	v_lshl_add_u64 v[0:1], v[0:1], 1, s[16:17]
	global_store_short v[0:1], v2, off
.LBB204_31:
	s_endpgm
	.section	.rodata,"a",@progbits
	.p2align	6, 0x0
	.amdhsa_kernel _ZL8moe_q5_1IN3c104HalfELb1EEvPKvS3_PT_PKiS7_S7_iiiiiii
		.amdhsa_group_segment_fixed_size 38656
		.amdhsa_private_segment_fixed_size 0
		.amdhsa_kernarg_size 76
		.amdhsa_user_sgpr_count 2
		.amdhsa_user_sgpr_dispatch_ptr 0
		.amdhsa_user_sgpr_queue_ptr 0
		.amdhsa_user_sgpr_kernarg_segment_ptr 1
		.amdhsa_user_sgpr_dispatch_id 0
		.amdhsa_user_sgpr_kernarg_preload_length 0
		.amdhsa_user_sgpr_kernarg_preload_offset 0
		.amdhsa_user_sgpr_private_segment_size 0
		.amdhsa_uses_dynamic_stack 0
		.amdhsa_enable_private_segment 0
		.amdhsa_system_sgpr_workgroup_id_x 1
		.amdhsa_system_sgpr_workgroup_id_y 1
		.amdhsa_system_sgpr_workgroup_id_z 0
		.amdhsa_system_sgpr_workgroup_info 0
		.amdhsa_system_vgpr_workitem_id 1
		.amdhsa_next_free_vgpr 135
		.amdhsa_next_free_sgpr 96
		.amdhsa_accum_offset 136
		.amdhsa_reserve_vcc 1
		.amdhsa_float_round_mode_32 0
		.amdhsa_float_round_mode_16_64 0
		.amdhsa_float_denorm_mode_32 3
		.amdhsa_float_denorm_mode_16_64 3
		.amdhsa_dx10_clamp 1
		.amdhsa_ieee_mode 1
		.amdhsa_fp16_overflow 0
		.amdhsa_tg_split 0
		.amdhsa_exception_fp_ieee_invalid_op 0
		.amdhsa_exception_fp_denorm_src 0
		.amdhsa_exception_fp_ieee_div_zero 0
		.amdhsa_exception_fp_ieee_overflow 0
		.amdhsa_exception_fp_ieee_underflow 0
		.amdhsa_exception_fp_ieee_inexact 0
		.amdhsa_exception_int_div_zero 0
	.end_amdhsa_kernel
	.section	.text._ZL8moe_q5_1IN3c104HalfELb1EEvPKvS3_PT_PKiS7_S7_iiiiiii,"axG",@progbits,_ZL8moe_q5_1IN3c104HalfELb1EEvPKvS3_PT_PKiS7_S7_iiiiiii,comdat
.Lfunc_end204:
	.size	_ZL8moe_q5_1IN3c104HalfELb1EEvPKvS3_PT_PKiS7_S7_iiiiiii, .Lfunc_end204-_ZL8moe_q5_1IN3c104HalfELb1EEvPKvS3_PT_PKiS7_S7_iiiiiii
                                        ; -- End function
	.set _ZL8moe_q5_1IN3c104HalfELb1EEvPKvS3_PT_PKiS7_S7_iiiiiii.num_vgpr, 135
	.set _ZL8moe_q5_1IN3c104HalfELb1EEvPKvS3_PT_PKiS7_S7_iiiiiii.num_agpr, 0
	.set _ZL8moe_q5_1IN3c104HalfELb1EEvPKvS3_PT_PKiS7_S7_iiiiiii.numbered_sgpr, 23
	.set _ZL8moe_q5_1IN3c104HalfELb1EEvPKvS3_PT_PKiS7_S7_iiiiiii.num_named_barrier, 0
	.set _ZL8moe_q5_1IN3c104HalfELb1EEvPKvS3_PT_PKiS7_S7_iiiiiii.private_seg_size, 0
	.set _ZL8moe_q5_1IN3c104HalfELb1EEvPKvS3_PT_PKiS7_S7_iiiiiii.uses_vcc, 1
	.set _ZL8moe_q5_1IN3c104HalfELb1EEvPKvS3_PT_PKiS7_S7_iiiiiii.uses_flat_scratch, 0
	.set _ZL8moe_q5_1IN3c104HalfELb1EEvPKvS3_PT_PKiS7_S7_iiiiiii.has_dyn_sized_stack, 0
	.set _ZL8moe_q5_1IN3c104HalfELb1EEvPKvS3_PT_PKiS7_S7_iiiiiii.has_recursion, 0
	.set _ZL8moe_q5_1IN3c104HalfELb1EEvPKvS3_PT_PKiS7_S7_iiiiiii.has_indirect_call, 0
	.section	.AMDGPU.csdata,"",@progbits
; Kernel info:
; codeLenInByte = 6404
; TotalNumSgprs: 29
; NumVgprs: 135
; NumAgprs: 0
; TotalNumVgprs: 135
; ScratchSize: 0
; MemoryBound: 0
; FloatMode: 240
; IeeeMode: 1
; LDSByteSize: 38656 bytes/workgroup (compile time only)
; SGPRBlocks: 12
; VGPRBlocks: 16
; NumSGPRsForWavesPerEU: 102
; NumVGPRsForWavesPerEU: 135
; AccumOffset: 136
; Occupancy: 3
; WaveLimiterHint : 1
; COMPUTE_PGM_RSRC2:SCRATCH_EN: 0
; COMPUTE_PGM_RSRC2:USER_SGPR: 2
; COMPUTE_PGM_RSRC2:TRAP_HANDLER: 0
; COMPUTE_PGM_RSRC2:TGID_X_EN: 1
; COMPUTE_PGM_RSRC2:TGID_Y_EN: 1
; COMPUTE_PGM_RSRC2:TGID_Z_EN: 0
; COMPUTE_PGM_RSRC2:TIDIG_COMP_CNT: 1
; COMPUTE_PGM_RSRC3_GFX90A:ACCUM_OFFSET: 33
; COMPUTE_PGM_RSRC3_GFX90A:TG_SPLIT: 0
	.section	.text._ZL8moe_q8_0IN3c104HalfELb0EEvPKvS3_PT_PKiS7_S7_iiiiiii,"axG",@progbits,_ZL8moe_q8_0IN3c104HalfELb0EEvPKvS3_PT_PKiS7_S7_iiiiiii,comdat
	.globl	_ZL8moe_q8_0IN3c104HalfELb0EEvPKvS3_PT_PKiS7_S7_iiiiiii ; -- Begin function _ZL8moe_q8_0IN3c104HalfELb0EEvPKvS3_PT_PKiS7_S7_iiiiiii
	.p2align	8
	.type	_ZL8moe_q8_0IN3c104HalfELb0EEvPKvS3_PT_PKiS7_S7_iiiiiii,@function
_ZL8moe_q8_0IN3c104HalfELb0EEvPKvS3_PT_PKiS7_S7_iiiiiii: ; @_ZL8moe_q8_0IN3c104HalfELb0EEvPKvS3_PT_PKiS7_S7_iiiiiii
; %bb.0:
	s_load_dwordx4 s[4:7], s[0:1], 0x18
	s_mov_b32 s8, s3
	s_mov_b32 s9, 0
	s_lshl_b64 s[10:11], s[8:9], 2
	s_waitcnt lgkmcnt(0)
	s_add_u32 s6, s6, s10
	s_addc_u32 s7, s7, s11
	s_load_dword s12, s[6:7], 0x0
	s_waitcnt lgkmcnt(0)
	s_cmpk_gt_u32 s12, 0xff
	s_cbranch_scc1 .LBB205_23
; %bb.1:
	s_load_dwordx2 s[6:7], s[0:1], 0x28
	s_lshl_b32 s3, s8, 3
	s_waitcnt lgkmcnt(0)
	s_load_dword s6, s[6:7], 0x0
	s_waitcnt lgkmcnt(0)
	s_cmp_gt_u32 s3, s6
	s_cbranch_scc1 .LBB205_23
; %bb.2:
	v_bfe_u32 v4, v0, 10, 10
	v_mov_b32_e32 v6, s4
	v_mov_b32_e32 v7, s5
	v_add_u32_e32 v2, s3, v4
	v_mov_b32_e32 v3, 0
	v_lshl_add_u64 v[6:7], v[2:3], 2, v[6:7]
	global_load_dword v1, v[6:7], off
	s_load_dwordx2 s[10:11], s[0:1], 0x30
	s_load_dwordx2 s[8:9], s[0:1], 0x10
	s_load_dwordx4 s[4:7], s[0:1], 0x3c
	s_lshl_b32 s14, s2, 7
	s_mov_b32 s15, 0
	s_waitcnt lgkmcnt(0)
	s_cmp_lt_i32 s11, 32
	s_cbranch_scc1 .LBB205_13
; %bb.3:
	s_ashr_i32 s13, s11, 31
	s_lshr_b32 s13, s13, 27
	s_load_dwordx4 s[0:3], s[0:1], 0x0
	s_add_i32 s13, s11, s13
	s_ashr_i32 s16, s13, 5
	s_ashr_i32 s13, s5, 31
	s_lshr_b32 s13, s13, 27
	s_add_i32 s5, s5, s13
	s_mul_i32 s12, s12, s10
	s_ashr_i32 s5, s5, 5
	s_ashr_i32 s10, s12, 31
	v_lshlrev_b32_e32 v6, 3, v4
	v_bfe_u32 v7, v0, 2, 8
	s_waitcnt lgkmcnt(0)
	s_add_u32 s0, s0, s12
	v_add_u32_e32 v30, v7, v6
	s_addc_u32 s1, s1, s10
	s_mul_i32 s10, s16, s14
	v_mul_lo_u32 v28, s16, v30
	v_add_u16_e32 v6, v7, v6
	v_lshlrev_b32_e32 v32, 4, v30
	v_add_u32_e32 v30, 64, v30
	s_mul_hi_i32 s12, s10, 34
	s_mul_i32 s10, s10, 34
	v_and_b32_e32 v26, 3, v0
	v_lshrrev_b16_e32 v6, 1, v6
	v_lshrrev_b32_e32 v34, 1, v30
	s_add_u32 s10, s0, s10
	v_and_b32_e32 v6, 0x1ffc, v6
	v_lshlrev_b32_e32 v7, 2, v26
	s_movk_i32 s19, 0x4200
	v_and_b32_e32 v34, 0x3ffc, v34
	v_mov_b32_e32 v36, 0x4a40
	s_addc_u32 s17, s1, s12
	v_add3_u32 v6, v6, v7, s19
	v_add3_u32 v7, v34, v7, s19
	v_and_b32_e32 v34, 31, v0
	v_lshl_add_u32 v43, v4, 7, v36
	s_abs_i32 s12, s7
	v_lshl_add_u32 v45, v34, 2, v43
	v_cvt_f32_u32_e32 v34, s12
	s_sub_i32 s13, 0, s12
	s_waitcnt vmcnt(0)
	v_sub_u32_e32 v44, 0, v1
	v_max_i32_e32 v44, v1, v44
	v_rcp_iflag_f32_e32 v34, v34
	v_mul_lo_u32 v10, s16, v4
	s_lshl_b32 s18, s16, 3
	v_add_u32_e32 v12, s18, v10
	v_mul_f32_e32 v34, 0x4f7ffffe, v34
	v_cvt_u32_f32_e32 v34, v34
	v_xor_b32_e32 v42, s7, v1
	v_add_u32_e32 v14, s18, v12
	v_ashrrev_i32_e32 v42, 31, v42
	v_mul_lo_u32 v46, s13, v34
	v_mul_hi_u32 v46, v34, v46
	v_add_u32_e32 v34, v34, v46
	v_mul_hi_u32 v34, v44, v34
	v_mul_lo_u32 v46, v34, s12
	v_sub_u32_e32 v44, v44, v46
	v_add_u32_e32 v46, 1, v34
	v_cmp_le_u32_e32 vcc, s12, v44
	v_and_b32_e32 v9, 0x3ff, v0
	v_add_u32_e32 v16, s18, v14
	v_cndmask_b32_e32 v34, v34, v46, vcc
	v_subrev_u32_e32 v46, s12, v44
	v_cndmask_b32_e32 v44, v44, v46, vcc
	v_add_u32_e32 v46, 1, v34
	v_cmp_le_u32_e32 vcc, s12, v44
	v_lshlrev_b32_e32 v5, 2, v9
	s_movk_i32 s0, 0x84
	v_cndmask_b32_e32 v34, v34, v46, vcc
	v_xor_b32_e32 v34, v34, v42
	v_add_u32_e32 v18, s18, v16
	v_add_u32_e32 v40, 0x60, v9
	v_sub_u32_e32 v34, v34, v42
	v_mad_u32_u24 v11, v4, s0, v5
	v_add_u32_e32 v20, s18, v18
	v_cmp_gt_u32_e64 s[0:1], 4, v9
	v_add_u32_e32 v38, 64, v9
	v_cmp_gt_i32_e32 vcc, s4, v34
	v_lshrrev_b32_e32 v40, 1, v40
	v_add_u32_e32 v22, s18, v20
	v_add_u32_e32 v36, 32, v9
	v_mul_lo_u32 v47, v34, s5
	s_and_b64 s[12:13], s[0:1], vcc
	v_lshlrev_b32_e32 v34, 4, v9
	v_and_b32_e32 v40, 0xfc, v40
	s_movk_i32 s0, 0x4800
	v_lshrrev_b32_e32 v38, 1, v38
	v_add_u32_e32 v24, s18, v22
	v_lshlrev_b32_e32 v30, 4, v30
	v_add3_u32 v50, v34, v40, s0
	v_and_b32_e32 v38, 0xfc, v38
	s_movk_i32 s0, 0x4600
	v_lshrrev_b32_e32 v36, 1, v36
	v_bfe_u32 v8, v0, 3, 7
	v_add3_u32 v51, v34, v38, s0
	v_and_b32_e32 v36, 0xfc, v36
	s_movk_i32 s0, 0x4400
	v_add_u32_e32 v56, v7, v30
	v_add_u32_e32 v30, s18, v24
	v_add3_u32 v52, v34, v36, s0
	v_lshlrev_b32_e32 v36, 2, v8
	v_add_u32_e32 v55, v6, v32
	v_add_u32_e32 v32, s18, v30
	v_add3_u32 v53, v34, v36, s19
	v_add_u32_e32 v34, s18, v32
	v_add_u32_e32 v36, s18, v34
	;; [unrolled: 1-line block ×4, first 2 shown]
	v_and_b32_e32 v2, 28, v5
	v_add_u32_e32 v5, 0x4e40, v5
	v_lshlrev_b32_e32 v4, 4, v4
	v_add_u32_e32 v42, s18, v40
	v_add_u32_e32 v13, 0x420, v11
	;; [unrolled: 1-line block ×18, first 2 shown]
	v_mov_b32_e32 v4, v3
	v_mov_b32_e32 v5, v3
	;; [unrolled: 1-line block ×4, first 2 shown]
	v_mul_u32_u24_e32 v58, 0x84, v9
	v_add_u32_e32 v44, s18, v42
	v_lshl_add_u32 v46, s16, 6, v28
	v_lshl_add_u64 v[48:49], s[2:3], 0, v[2:3]
	s_branch .LBB205_5
.LBB205_4:                              ;   in Loop: Header=BB205_5 Depth=1
	s_add_i32 s15, s15, 4
	s_cmp_ge_i32 s15, s16
	s_cbranch_scc1 .LBB205_14
.LBB205_5:                              ; =>This Loop Header: Depth=1
                                        ;     Child Loop BB205_11 Depth 2
	s_mul_i32 s0, s15, 34
	s_mul_hi_u32 s1, s15, 34
	s_add_u32 s0, s10, s0
	s_addc_u32 s1, s17, s1
	v_mad_u64_u32 v[60:61], s[18:19], v8, 34, s[0:1]
	v_mad_u64_u32 v[62:63], s[18:19], v10, 34, v[60:61]
	;; [unrolled: 1-line block ×8, first 2 shown]
	v_lshl_add_u64 v[62:63], v[62:63], 0, v[2:3]
	v_lshl_add_u64 v[64:65], v[64:65], 0, v[2:3]
	;; [unrolled: 1-line block ×7, first 2 shown]
	v_mad_u64_u32 v[76:77], s[18:19], v24, 34, v[60:61]
	v_lshl_add_u64 v[76:77], v[76:77], 0, v[2:3]
	global_load_dword v59, v[62:63], off offset:2
	global_load_dword v78, v[64:65], off offset:2
	;; [unrolled: 1-line block ×8, first 2 shown]
	v_mad_u64_u32 v[62:63], s[18:19], v30, 34, v[60:61]
	v_mad_u64_u32 v[64:65], s[18:19], v32, 34, v[60:61]
	v_mad_u64_u32 v[66:67], s[18:19], v34, 34, v[60:61]
	v_mad_u64_u32 v[68:69], s[18:19], v36, 34, v[60:61]
	v_mad_u64_u32 v[70:71], s[18:19], v38, 34, v[60:61]
	v_mad_u64_u32 v[72:73], s[18:19], v40, 34, v[60:61]
	v_mad_u64_u32 v[74:75], s[18:19], v42, 34, v[60:61]
	v_mad_u64_u32 v[60:61], s[18:19], v44, 34, v[60:61]
	v_lshl_add_u64 v[62:63], v[62:63], 0, v[2:3]
	v_lshl_add_u64 v[60:61], v[60:61], 0, v[2:3]
	;; [unrolled: 1-line block ×8, first 2 shown]
	global_load_dword v76, v[62:63], off offset:2
	global_load_dword v77, v[64:65], off offset:2
	;; [unrolled: 1-line block ×8, first 2 shown]
	v_mad_u64_u32 v[60:61], s[0:1], v26, 34, s[0:1]
	v_mad_u64_u32 v[62:63], s[0:1], v28, 34, v[60:61]
	;; [unrolled: 1-line block ×3, first 2 shown]
	global_load_ushort v62, v[62:63], off
	s_lshl_b32 s0, s15, 5
	global_load_ushort v60, v[60:61], off
	s_cmp_ge_i32 s0, s11
	s_waitcnt vmcnt(17)
	ds_write_b32 v11, v59
	s_waitcnt vmcnt(16)
	ds_write_b32 v13, v78
	;; [unrolled: 2-line block ×16, first 2 shown]
	s_waitcnt vmcnt(1)
	v_cvt_f32_f16_e32 v59, v62
	s_waitcnt vmcnt(0)
	v_cvt_f32_f16_e32 v60, v60
	ds_write_b32 v55, v59
	ds_write_b32 v56, v60
	s_cbranch_scc1 .LBB205_4
; %bb.6:                                ;   in Loop: Header=BB205_5 Depth=1
	v_add_u32_e32 v59, s15, v8
	v_cmp_gt_i32_e64 s[0:1], s5, v59
	s_and_b64 s[18:19], vcc, s[0:1]
	s_and_saveexec_b64 s[0:1], s[18:19]
	s_cbranch_execz .LBB205_8
; %bb.7:                                ;   in Loop: Header=BB205_5 Depth=1
	v_add_u32_e32 v59, v47, v59
	v_mad_i64_i32 v[60:61], s[18:19], v59, 36, v[48:49]
	global_load_dword v59, v[60:61], off offset:4
	s_waitcnt vmcnt(0)
	ds_write_b32 v45, v59
.LBB205_8:                              ;   in Loop: Header=BB205_5 Depth=1
	s_or_b64 exec, exec, s[0:1]
	v_or_b32_e32 v59, s15, v9
	v_cmp_gt_i32_e64 s[0:1], s5, v59
	s_and_b64 s[18:19], s[12:13], s[0:1]
	s_and_saveexec_b64 s[0:1], s[18:19]
	s_cbranch_execz .LBB205_10
; %bb.9:                                ;   in Loop: Header=BB205_5 Depth=1
	v_add_u32_e32 v59, v47, v59
	v_mad_i64_i32 v[60:61], s[18:19], v59, 36, s[2:3]
	global_load_dword v59, v[60:61], off
	s_waitcnt vmcnt(0)
	v_cvt_f32_f16_e32 v59, v59
	ds_write_b32 v57, v59
.LBB205_10:                             ;   in Loop: Header=BB205_5 Depth=1
	s_or_b64 exec, exec, s[0:1]
	s_mov_b32 s0, -8
	v_mov_b32_e32 v59, v43
	v_mov_b32_e32 v60, v54
	;; [unrolled: 1-line block ×7, first 2 shown]
	s_waitcnt lgkmcnt(0)
	s_barrier
.LBB205_11:                             ;   Parent Loop BB205_5 Depth=1
                                        ; =>  This Inner Loop Header: Depth=2
	ds_read_b128 v[66:69], v59
	ds_read_b128 v[70:73], v59 offset:16
	v_add_u32_e32 v88, 0x1080, v65
	v_add_u32_e32 v90, 0x1088, v65
	;; [unrolled: 1-line block ×12, first 2 shown]
	ds_read2_b32 v[74:75], v65 offset0:2 offset1:3
	ds_read2_b32 v[76:77], v65 offset0:4 offset1:5
	;; [unrolled: 1-line block ×3, first 2 shown]
	ds_read_b32 v80, v60
	ds_read_b32 v82, v61
	ds_read2_b32 v[84:85], v65 offset1:1
	ds_read_b32 v83, v62
	ds_read_b32 v86, v63
	;; [unrolled: 1-line block ×3, first 2 shown]
	ds_read2_b32 v[88:89], v88 offset1:1
	ds_read2_b32 v[90:91], v90 offset1:1
	;; [unrolled: 1-line block ×12, first 2 shown]
	v_mov_b32_e32 v81, 0
	v_mov_b32_e32 v112, 0
	;; [unrolled: 1-line block ×4, first 2 shown]
	s_waitcnt lgkmcnt(14)
	v_dot4c_i32_i8_e32 v81, v84, v66
	s_waitcnt lgkmcnt(11)
	v_dot4c_i32_i8_e32 v112, v88, v66
	;; [unrolled: 2-line block ×4, first 2 shown]
	v_dot4c_i32_i8_e32 v81, v85, v67
	v_dot4c_i32_i8_e32 v112, v89, v67
	v_dot4c_i32_i8_e32 v113, v97, v67
	v_dot4c_i32_i8_e32 v114, v105, v67
	v_dot4c_i32_i8_e32 v81, v74, v68
	v_dot4c_i32_i8_e32 v112, v90, v68
	v_dot4c_i32_i8_e32 v113, v98, v68
	s_waitcnt lgkmcnt(2)
	v_dot4c_i32_i8_e32 v114, v106, v68
	v_dot4c_i32_i8_e32 v81, v75, v69
	v_dot4c_i32_i8_e32 v112, v91, v69
	v_dot4c_i32_i8_e32 v113, v99, v69
	v_dot4c_i32_i8_e32 v114, v107, v69
	v_dot4c_i32_i8_e32 v81, v76, v70
	v_dot4c_i32_i8_e32 v112, v92, v70
	v_dot4c_i32_i8_e32 v113, v100, v70
	s_waitcnt lgkmcnt(1)
	v_dot4c_i32_i8_e32 v114, v108, v70
	;; [unrolled: 9-line block ×3, first 2 shown]
	v_dot4c_i32_i8_e32 v81, v79, v73
	v_dot4c_i32_i8_e32 v112, v95, v73
	;; [unrolled: 1-line block ×4, first 2 shown]
	v_cvt_f32_i32_e32 v66, v81
	v_cvt_f32_i32_e32 v67, v112
	;; [unrolled: 1-line block ×4, first 2 shown]
	s_add_i32 s0, s0, 8
	v_pk_mul_f32 v[70:71], v[80:81], v[82:83] op_sel_hi:[0,1]
	v_pk_mul_f32 v[72:73], v[80:81], v[86:87] op_sel_hi:[0,1]
	v_add_u32_e32 v65, 32, v65
	v_add_u32_e32 v64, 4, v64
	;; [unrolled: 1-line block ×7, first 2 shown]
	s_cmp_lt_u32 s0, 24
	v_pk_fma_f32 v[6:7], v[72:73], v[68:69], v[6:7]
	v_pk_fma_f32 v[4:5], v[70:71], v[66:67], v[4:5]
	s_cbranch_scc1 .LBB205_11
; %bb.12:                               ;   in Loop: Header=BB205_5 Depth=1
	s_barrier
	s_branch .LBB205_4
.LBB205_13:
	v_mov_b32_e32 v4, v3
	v_mov_b32_e32 v5, v3
	;; [unrolled: 1-line block ×3, first 2 shown]
	v_mov_b64_e32 v[6:7], v[4:5]
	v_mov_b64_e32 v[4:5], v[2:3]
.LBB205_14:
	s_mul_i32 s0, s7, s4
	s_waitcnt vmcnt(0)
	v_cmp_gt_i32_e32 vcc, s0, v1
	s_and_saveexec_b64 s[0:1], vcc
	s_cbranch_execz .LBB205_23
; %bb.15:
	v_and_b32_e32 v0, 0x3ff, v0
	v_add_u32_e32 v2, s14, v0
	v_mul_lo_u32 v0, v1, s6
	v_cmp_gt_u32_e32 vcc, s6, v2
	s_and_saveexec_b64 s[0:1], vcc
	s_cbranch_execz .LBB205_17
; %bb.16:
	v_cvt_f16_f32_e32 v1, v4
	v_add_u32_e32 v8, v0, v2
	v_mov_b32_e32 v9, 0
	v_lshl_add_u64 v[8:9], v[8:9], 1, s[8:9]
	global_store_short v[8:9], v1, off
.LBB205_17:
	s_or_b64 exec, exec, s[0:1]
	v_add_u32_e32 v1, 32, v2
	v_cmp_gt_u32_e32 vcc, s6, v1
	s_and_saveexec_b64 s[0:1], vcc
	s_cbranch_execz .LBB205_19
; %bb.18:
	v_cvt_f16_f32_e32 v3, v5
	v_add_u32_e32 v4, v0, v1
	v_mov_b32_e32 v5, 0
	v_lshl_add_u64 v[4:5], v[4:5], 1, s[8:9]
	global_store_short v[4:5], v3, off
.LBB205_19:
	s_or_b64 exec, exec, s[0:1]
	v_add_u32_e32 v1, 64, v2
	;; [unrolled: 12-line block ×3, first 2 shown]
	v_cmp_gt_u32_e32 vcc, s6, v1
	s_and_b64 exec, exec, vcc
	s_cbranch_execz .LBB205_23
; %bb.22:
	v_cvt_f16_f32_e32 v2, v7
	v_add_u32_e32 v0, v0, v1
	v_mov_b32_e32 v1, 0
	v_lshl_add_u64 v[0:1], v[0:1], 1, s[8:9]
	global_store_short v[0:1], v2, off
.LBB205_23:
	s_endpgm
	.section	.rodata,"a",@progbits
	.p2align	6, 0x0
	.amdhsa_kernel _ZL8moe_q8_0IN3c104HalfELb0EEvPKvS3_PT_PKiS7_S7_iiiiiii
		.amdhsa_group_segment_fixed_size 20160
		.amdhsa_private_segment_fixed_size 0
		.amdhsa_kernarg_size 76
		.amdhsa_user_sgpr_count 2
		.amdhsa_user_sgpr_dispatch_ptr 0
		.amdhsa_user_sgpr_queue_ptr 0
		.amdhsa_user_sgpr_kernarg_segment_ptr 1
		.amdhsa_user_sgpr_dispatch_id 0
		.amdhsa_user_sgpr_kernarg_preload_length 0
		.amdhsa_user_sgpr_kernarg_preload_offset 0
		.amdhsa_user_sgpr_private_segment_size 0
		.amdhsa_uses_dynamic_stack 0
		.amdhsa_enable_private_segment 0
		.amdhsa_system_sgpr_workgroup_id_x 1
		.amdhsa_system_sgpr_workgroup_id_y 1
		.amdhsa_system_sgpr_workgroup_id_z 0
		.amdhsa_system_sgpr_workgroup_info 0
		.amdhsa_system_vgpr_workitem_id 1
		.amdhsa_next_free_vgpr 115
		.amdhsa_next_free_sgpr 20
		.amdhsa_accum_offset 116
		.amdhsa_reserve_vcc 1
		.amdhsa_float_round_mode_32 0
		.amdhsa_float_round_mode_16_64 0
		.amdhsa_float_denorm_mode_32 3
		.amdhsa_float_denorm_mode_16_64 3
		.amdhsa_dx10_clamp 1
		.amdhsa_ieee_mode 1
		.amdhsa_fp16_overflow 0
		.amdhsa_tg_split 0
		.amdhsa_exception_fp_ieee_invalid_op 0
		.amdhsa_exception_fp_denorm_src 0
		.amdhsa_exception_fp_ieee_div_zero 0
		.amdhsa_exception_fp_ieee_overflow 0
		.amdhsa_exception_fp_ieee_underflow 0
		.amdhsa_exception_fp_ieee_inexact 0
		.amdhsa_exception_int_div_zero 0
	.end_amdhsa_kernel
	.section	.text._ZL8moe_q8_0IN3c104HalfELb0EEvPKvS3_PT_PKiS7_S7_iiiiiii,"axG",@progbits,_ZL8moe_q8_0IN3c104HalfELb0EEvPKvS3_PT_PKiS7_S7_iiiiiii,comdat
.Lfunc_end205:
	.size	_ZL8moe_q8_0IN3c104HalfELb0EEvPKvS3_PT_PKiS7_S7_iiiiiii, .Lfunc_end205-_ZL8moe_q8_0IN3c104HalfELb0EEvPKvS3_PT_PKiS7_S7_iiiiiii
                                        ; -- End function
	.set _ZL8moe_q8_0IN3c104HalfELb0EEvPKvS3_PT_PKiS7_S7_iiiiiii.num_vgpr, 115
	.set _ZL8moe_q8_0IN3c104HalfELb0EEvPKvS3_PT_PKiS7_S7_iiiiiii.num_agpr, 0
	.set _ZL8moe_q8_0IN3c104HalfELb0EEvPKvS3_PT_PKiS7_S7_iiiiiii.numbered_sgpr, 20
	.set _ZL8moe_q8_0IN3c104HalfELb0EEvPKvS3_PT_PKiS7_S7_iiiiiii.num_named_barrier, 0
	.set _ZL8moe_q8_0IN3c104HalfELb0EEvPKvS3_PT_PKiS7_S7_iiiiiii.private_seg_size, 0
	.set _ZL8moe_q8_0IN3c104HalfELb0EEvPKvS3_PT_PKiS7_S7_iiiiiii.uses_vcc, 1
	.set _ZL8moe_q8_0IN3c104HalfELb0EEvPKvS3_PT_PKiS7_S7_iiiiiii.uses_flat_scratch, 0
	.set _ZL8moe_q8_0IN3c104HalfELb0EEvPKvS3_PT_PKiS7_S7_iiiiiii.has_dyn_sized_stack, 0
	.set _ZL8moe_q8_0IN3c104HalfELb0EEvPKvS3_PT_PKiS7_S7_iiiiiii.has_recursion, 0
	.set _ZL8moe_q8_0IN3c104HalfELb0EEvPKvS3_PT_PKiS7_S7_iiiiiii.has_indirect_call, 0
	.section	.AMDGPU.csdata,"",@progbits
; Kernel info:
; codeLenInByte = 2592
; TotalNumSgprs: 26
; NumVgprs: 115
; NumAgprs: 0
; TotalNumVgprs: 115
; ScratchSize: 0
; MemoryBound: 0
; FloatMode: 240
; IeeeMode: 1
; LDSByteSize: 20160 bytes/workgroup (compile time only)
; SGPRBlocks: 3
; VGPRBlocks: 14
; NumSGPRsForWavesPerEU: 26
; NumVGPRsForWavesPerEU: 115
; AccumOffset: 116
; Occupancy: 4
; WaveLimiterHint : 1
; COMPUTE_PGM_RSRC2:SCRATCH_EN: 0
; COMPUTE_PGM_RSRC2:USER_SGPR: 2
; COMPUTE_PGM_RSRC2:TRAP_HANDLER: 0
; COMPUTE_PGM_RSRC2:TGID_X_EN: 1
; COMPUTE_PGM_RSRC2:TGID_Y_EN: 1
; COMPUTE_PGM_RSRC2:TGID_Z_EN: 0
; COMPUTE_PGM_RSRC2:TIDIG_COMP_CNT: 1
; COMPUTE_PGM_RSRC3_GFX90A:ACCUM_OFFSET: 28
; COMPUTE_PGM_RSRC3_GFX90A:TG_SPLIT: 0
	.section	.text._ZL8moe_q8_0IN3c104HalfELb1EEvPKvS3_PT_PKiS7_S7_iiiiiii,"axG",@progbits,_ZL8moe_q8_0IN3c104HalfELb1EEvPKvS3_PT_PKiS7_S7_iiiiiii,comdat
	.globl	_ZL8moe_q8_0IN3c104HalfELb1EEvPKvS3_PT_PKiS7_S7_iiiiiii ; -- Begin function _ZL8moe_q8_0IN3c104HalfELb1EEvPKvS3_PT_PKiS7_S7_iiiiiii
	.p2align	8
	.type	_ZL8moe_q8_0IN3c104HalfELb1EEvPKvS3_PT_PKiS7_S7_iiiiiii,@function
_ZL8moe_q8_0IN3c104HalfELb1EEvPKvS3_PT_PKiS7_S7_iiiiiii: ; @_ZL8moe_q8_0IN3c104HalfELb1EEvPKvS3_PT_PKiS7_S7_iiiiiii
; %bb.0:
	s_load_dwordx4 s[4:7], s[0:1], 0x18
	s_mov_b32 s8, s3
	s_mov_b32 s9, 0
	s_lshl_b64 s[10:11], s[8:9], 2
	s_waitcnt lgkmcnt(0)
	s_add_u32 s6, s6, s10
	s_addc_u32 s7, s7, s11
	s_load_dword s14, s[6:7], 0x0
	s_waitcnt lgkmcnt(0)
	s_cmpk_gt_u32 s14, 0xff
	s_cbranch_scc1 .LBB206_23
; %bb.1:
	s_load_dwordx2 s[6:7], s[0:1], 0x28
	s_lshl_b32 s3, s8, 3
	s_waitcnt lgkmcnt(0)
	s_load_dword s6, s[6:7], 0x0
	s_waitcnt lgkmcnt(0)
	s_cmp_gt_u32 s3, s6
	s_cbranch_scc1 .LBB206_23
; %bb.2:
	v_bfe_u32 v4, v0, 10, 10
	v_mov_b32_e32 v6, s4
	v_mov_b32_e32 v7, s5
	v_add_u32_e32 v2, s3, v4
	v_mov_b32_e32 v3, 0
	v_lshl_add_u64 v[6:7], v[2:3], 2, v[6:7]
	global_load_dword v1, v[6:7], off
	s_load_dwordx8 s[4:11], s[0:1], 0x30
	s_load_dwordx2 s[12:13], s[0:1], 0x10
	s_waitcnt lgkmcnt(0)
	s_lshl_b32 s11, s2, 7
	s_mov_b32 s16, 0
	s_cmp_lt_i32 s5, 32
	s_cbranch_scc1 .LBB206_13
; %bb.3:
	s_ashr_i32 s15, s5, 31
	s_lshr_b32 s15, s15, 27
	s_load_dwordx4 s[0:3], s[0:1], 0x0
	s_add_i32 s15, s5, s15
	s_ashr_i32 s17, s15, 5
	s_ashr_i32 s15, s8, 31
	s_lshr_b32 s15, s15, 27
	s_add_i32 s8, s8, s15
	s_mul_i32 s14, s14, s4
	s_ashr_i32 s8, s8, 5
	s_ashr_i32 s4, s14, 31
	s_waitcnt lgkmcnt(0)
	s_add_u32 s0, s0, s14
	s_addc_u32 s1, s1, s4
	s_mul_i32 s4, s17, s11
	s_mul_hi_i32 s14, s4, 34
	s_mul_i32 s4, s4, 34
	s_add_u32 s4, s0, s4
	s_addc_u32 s18, s1, s14
	s_not_b32 s0, s11
	s_add_i32 s6, s6, s0
	v_add_u32_e32 v5, 8, v4
	v_min_i32_e32 v45, s6, v5
	v_add_u32_e32 v5, 16, v4
	v_min_i32_e32 v47, s6, v5
	;; [unrolled: 2-line block ×15, first 2 shown]
	v_bfe_u32 v5, v0, 2, 8
	v_and_b32_e32 v9, 0x3ff, v0
	v_lshl_add_u32 v5, v4, 3, v5
	v_lshlrev_b32_e32 v6, 2, v9
	v_min_i32_e32 v44, s6, v4
	s_movk_i32 s14, 0x84
	v_min_i32_e32 v75, s6, v5
	v_add_u32_e32 v5, 64, v5
	v_mad_u64_u32 v[10:11], s[0:1], v44, s14, v[6:7]
	v_mad_u64_u32 v[12:13], s[0:1], v45, s14, v[6:7]
	;; [unrolled: 1-line block ×10, first 2 shown]
	v_min_i32_e32 v77, s6, v5
	v_ashrrev_i32_e32 v7, 31, v75
	v_ashrrev_i32_e32 v5, 31, v77
	s_abs_i32 s1, s10
	v_lshrrev_b32_e32 v7, 29, v7
	v_lshrrev_b32_e32 v5, 29, v5
	v_cvt_f32_u32_e32 v13, s1
	v_add_u32_e32 v7, v75, v7
	v_add_u32_e32 v5, v77, v5
	v_and_b32_e32 v30, 3, v0
	v_ashrrev_i32_e32 v7, 3, v7
	v_ashrrev_i32_e32 v5, 3, v5
	v_lshlrev_b32_e32 v7, 2, v7
	v_lshlrev_b32_e32 v11, 2, v30
	s_movk_i32 s0, 0x4200
	v_lshlrev_b32_e32 v5, 2, v5
	v_add3_u32 v7, v7, v11, s0
	v_add3_u32 v5, v5, v11, s0
	v_rcp_iflag_f32_e32 v11, v13
	s_sub_i32 s6, 0, s1
	s_waitcnt vmcnt(0)
	v_sub_u32_e32 v19, 0, v1
	v_max_i32_e32 v19, v1, v19
	v_mul_f32_e32 v11, 0x4f7ffffe, v11
	v_cvt_u32_f32_e32 v11, v11
	v_xor_b32_e32 v23, s10, v1
	v_ashrrev_i32_e32 v23, 31, v23
	v_add_u32_e32 v17, 0x60, v9
	v_mul_lo_u32 v21, s6, v11
	v_mul_hi_u32 v21, v11, v21
	v_add_u32_e32 v11, v11, v21
	v_mul_hi_u32 v11, v19, v11
	v_mul_lo_u32 v21, v11, s1
	v_sub_u32_e32 v19, v19, v21
	v_add_u32_e32 v21, 1, v11
	v_cmp_le_u32_e32 vcc, s1, v19
	v_add_u32_e32 v13, 64, v9
	v_add_u32_e32 v15, 32, v9
	v_cndmask_b32_e32 v11, v11, v21, vcc
	v_subrev_u32_e32 v21, s1, v19
	v_cndmask_b32_e32 v19, v19, v21, vcc
	v_add_u32_e32 v21, 1, v11
	v_cmp_le_u32_e32 vcc, s1, v19
	v_lshlrev_b32_e32 v19, 4, v9
	s_movk_i32 s1, 0x4800
	v_cndmask_b32_e32 v11, v11, v21, vcc
	v_xor_b32_e32 v11, v11, v23
	v_sub_u32_e32 v27, v11, v23
	v_lshrrev_b32_e32 v11, 1, v17
	v_and_b32_e32 v11, 0xfc, v11
	v_lshrrev_b32_e32 v13, 1, v13
	v_bfe_u32 v8, v0, 3, 7
	v_add3_u32 v11, v19, v11, s1
	v_and_b32_e32 v13, 0xfc, v13
	s_movk_i32 s1, 0x4600
	v_lshrrev_b32_e32 v15, 1, v15
	v_add3_u32 v13, v19, v13, s1
	v_and_b32_e32 v15, 0xfc, v15
	s_movk_i32 s1, 0x4400
	v_lshlrev_b32_e32 v17, 2, v8
	v_add3_u32 v15, v19, v15, s1
	v_add3_u32 v17, v19, v17, s0
	v_lshlrev_b32_e32 v19, 4, v75
	v_add_u32_e32 v19, v7, v19
	v_lshlrev_b32_e32 v7, 4, v77
	v_and_b32_e32 v2, 28, v6
	v_add_u32_e32 v21, v5, v7
	v_add_u32_e32 v5, 0x4e40, v6
	v_mad_u64_u32 v[32:33], s[0:1], v63, s14, v[6:7]
	v_mad_u64_u32 v[34:35], s[0:1], v65, s14, v[6:7]
	;; [unrolled: 1-line block ×6, first 2 shown]
	v_mov_b32_e32 v6, 0x4a40
	v_lshl_add_u32 v23, v4, 7, v6
	v_and_b32_e32 v6, 31, v0
	v_cmp_gt_u32_e64 s[0:1], 4, v9
	v_lshlrev_b32_e32 v4, 4, v4
	v_cmp_gt_i32_e32 vcc, s7, v27
	v_lshl_add_u32 v25, v6, 2, v23
	v_mul_lo_u32 v27, v27, s8
	s_and_b64 s[14:15], s[0:1], vcc
	v_add_u32_e32 v29, v5, v4
	v_add_u32_e32 v31, 0x4e40, v4
	v_mov_b32_e32 v4, v3
	v_mov_b32_e32 v5, v3
	v_mov_b32_e32 v6, v3
	v_mov_b32_e32 v7, v3
	v_mul_lo_u32 v44, v44, s17
	v_mul_lo_u32 v46, v45, s17
	;; [unrolled: 1-line block ×18, first 2 shown]
	v_mul_u32_u24_e32 v33, 0x84, v9
	v_lshl_add_u64 v[80:81], s[2:3], 0, v[2:3]
	s_branch .LBB206_5
.LBB206_4:                              ;   in Loop: Header=BB206_5 Depth=1
	s_add_i32 s16, s16, 4
	s_cmp_ge_i32 s16, s17
	s_cbranch_scc1 .LBB206_14
.LBB206_5:                              ; =>This Loop Header: Depth=1
                                        ;     Child Loop BB206_11 Depth 2
	s_mul_i32 s0, s16, 34
	s_mul_hi_u32 s1, s16, 34
	s_add_u32 s0, s4, s0
	s_addc_u32 s1, s18, s1
	v_mad_u64_u32 v[82:83], s[20:21], v8, 34, s[0:1]
	v_mad_i64_i32 v[84:85], s[20:21], v44, 34, v[82:83]
	v_mad_i64_i32 v[86:87], s[20:21], v46, 34, v[82:83]
	;; [unrolled: 1-line block ×7, first 2 shown]
	v_lshl_add_u64 v[84:85], v[84:85], 0, v[2:3]
	v_lshl_add_u64 v[86:87], v[86:87], 0, v[2:3]
	;; [unrolled: 1-line block ×7, first 2 shown]
	v_mad_i64_i32 v[98:99], s[20:21], v58, 34, v[82:83]
	v_lshl_add_u64 v[98:99], v[98:99], 0, v[2:3]
	global_load_dword v35, v[84:85], off offset:2
	global_load_dword v37, v[86:87], off offset:2
	;; [unrolled: 1-line block ×8, first 2 shown]
	v_mad_i64_i32 v[84:85], s[20:21], v60, 34, v[82:83]
	v_mad_i64_i32 v[86:87], s[20:21], v62, 34, v[82:83]
	;; [unrolled: 1-line block ×8, first 2 shown]
	v_lshl_add_u64 v[84:85], v[84:85], 0, v[2:3]
	v_lshl_add_u64 v[82:83], v[82:83], 0, v[2:3]
	;; [unrolled: 1-line block ×8, first 2 shown]
	global_load_dword v51, v[84:85], off offset:2
	global_load_dword v53, v[86:87], off offset:2
	global_load_dword v55, v[88:89], off offset:2
	global_load_dword v57, v[90:91], off offset:2
	global_load_dword v59, v[92:93], off offset:2
	global_load_dword v61, v[94:95], off offset:2
	global_load_dword v63, v[96:97], off offset:2
	global_load_dword v65, v[82:83], off offset:2
	v_mad_u64_u32 v[82:83], s[0:1], v30, 34, s[0:1]
	v_mad_i64_i32 v[84:85], s[0:1], v76, 34, v[82:83]
	v_mad_i64_i32 v[82:83], s[0:1], v78, 34, v[82:83]
	global_load_ushort v67, v[84:85], off
	global_load_ushort v69, v[82:83], off
	s_lshl_b32 s0, s16, 5
	s_cmp_ge_i32 s0, s5
	s_waitcnt vmcnt(17)
	ds_write_b32 v10, v35
	s_waitcnt vmcnt(16)
	ds_write_b32 v12, v37
	;; [unrolled: 2-line block ×16, first 2 shown]
	s_waitcnt vmcnt(1)
	v_cvt_f32_f16_e32 v35, v67
	s_waitcnt vmcnt(0)
	v_cvt_f32_f16_e32 v37, v69
	ds_write_b32 v19, v35
	ds_write_b32 v21, v37
	s_cbranch_scc1 .LBB206_4
; %bb.6:                                ;   in Loop: Header=BB206_5 Depth=1
	v_add_u32_e32 v35, s16, v8
	v_cmp_gt_i32_e64 s[0:1], s8, v35
	s_and_b64 s[20:21], vcc, s[0:1]
	s_and_saveexec_b64 s[0:1], s[20:21]
	s_cbranch_execz .LBB206_8
; %bb.7:                                ;   in Loop: Header=BB206_5 Depth=1
	v_add_u32_e32 v35, v27, v35
	v_mad_i64_i32 v[82:83], s[20:21], v35, 36, v[80:81]
	global_load_dword v35, v[82:83], off offset:4
	s_waitcnt vmcnt(0)
	ds_write_b32 v25, v35
.LBB206_8:                              ;   in Loop: Header=BB206_5 Depth=1
	s_or_b64 exec, exec, s[0:1]
	v_or_b32_e32 v35, s16, v9
	v_cmp_gt_i32_e64 s[0:1], s8, v35
	s_and_b64 s[20:21], s[14:15], s[0:1]
	s_and_saveexec_b64 s[0:1], s[20:21]
	s_cbranch_execz .LBB206_10
; %bb.9:                                ;   in Loop: Header=BB206_5 Depth=1
	v_add_u32_e32 v35, v27, v35
	v_mad_i64_i32 v[82:83], s[20:21], v35, 36, s[2:3]
	global_load_dword v35, v[82:83], off
	s_waitcnt vmcnt(0)
	v_cvt_f32_f16_e32 v35, v35
	ds_write_b32 v29, v35
.LBB206_10:                             ;   in Loop: Header=BB206_5 Depth=1
	s_or_b64 exec, exec, s[0:1]
	s_mov_b32 s0, -8
	v_mov_b32_e32 v35, v23
	v_mov_b32_e32 v37, v31
	v_mov_b32_e32 v39, v17
	v_mov_b32_e32 v41, v15
	v_mov_b32_e32 v43, v13
	v_mov_b32_e32 v45, v11
	v_mov_b32_e32 v47, v33
	s_waitcnt lgkmcnt(0)
	s_barrier
.LBB206_11:                             ;   Parent Loop BB206_5 Depth=1
                                        ; =>  This Inner Loop Header: Depth=2
	ds_read_b128 v[82:85], v35
	ds_read_b128 v[86:89], v35 offset:16
	v_add_u32_e32 v51, 0x1080, v47
	ds_read2_b32 v[90:91], v47 offset0:2 offset1:3
	ds_read2_b32 v[92:93], v47 offset0:4 offset1:5
	;; [unrolled: 1-line block ×3, first 2 shown]
	v_add_u32_e32 v55, 0x1088, v47
	v_add_u32_e32 v57, 0x1090, v47
	;; [unrolled: 1-line block ×8, first 2 shown]
	ds_read_b32 v96, v37
	ds_read_b32 v98, v39
	ds_read2_b32 v[100:101], v47 offset1:1
	ds_read_b32 v99, v41
	ds_read_b32 v102, v43
	;; [unrolled: 1-line block ×3, first 2 shown]
	v_add_u32_e32 v75, 0x3188, v47
	v_add_u32_e32 v77, 0x3190, v47
	;; [unrolled: 1-line block ×3, first 2 shown]
	ds_read2_b32 v[104:105], v51 offset1:1
	ds_read2_b32 v[106:107], v55 offset1:1
	;; [unrolled: 1-line block ×12, first 2 shown]
	v_mov_b32_e32 v49, 0
	v_mov_b32_e32 v53, 0
	;; [unrolled: 1-line block ×4, first 2 shown]
	s_waitcnt lgkmcnt(14)
	v_dot4c_i32_i8_e32 v49, v100, v82
	s_waitcnt lgkmcnt(11)
	v_dot4c_i32_i8_e32 v53, v104, v82
	;; [unrolled: 2-line block ×4, first 2 shown]
	v_dot4c_i32_i8_e32 v49, v101, v83
	v_dot4c_i32_i8_e32 v53, v105, v83
	v_dot4c_i32_i8_e32 v63, v113, v83
	v_dot4c_i32_i8_e32 v73, v121, v83
	v_dot4c_i32_i8_e32 v49, v90, v84
	v_dot4c_i32_i8_e32 v53, v106, v84
	v_dot4c_i32_i8_e32 v63, v114, v84
	s_waitcnt lgkmcnt(2)
	v_dot4c_i32_i8_e32 v73, v122, v84
	v_dot4c_i32_i8_e32 v49, v91, v85
	v_dot4c_i32_i8_e32 v53, v107, v85
	v_dot4c_i32_i8_e32 v63, v115, v85
	v_dot4c_i32_i8_e32 v73, v123, v85
	v_dot4c_i32_i8_e32 v49, v92, v86
	v_dot4c_i32_i8_e32 v53, v108, v86
	v_dot4c_i32_i8_e32 v63, v116, v86
	s_waitcnt lgkmcnt(1)
	v_dot4c_i32_i8_e32 v73, v124, v86
	;; [unrolled: 9-line block ×3, first 2 shown]
	v_dot4c_i32_i8_e32 v49, v95, v89
	v_dot4c_i32_i8_e32 v53, v111, v89
	;; [unrolled: 1-line block ×4, first 2 shown]
	v_cvt_f32_i32_e32 v82, v49
	v_cvt_f32_i32_e32 v83, v53
	;; [unrolled: 1-line block ×4, first 2 shown]
	s_add_i32 s0, s0, 8
	v_pk_mul_f32 v[86:87], v[96:97], v[98:99] op_sel_hi:[0,1]
	v_pk_mul_f32 v[88:89], v[96:97], v[102:103] op_sel_hi:[0,1]
	v_add_u32_e32 v47, 32, v47
	v_add_u32_e32 v45, 4, v45
	;; [unrolled: 1-line block ×7, first 2 shown]
	s_cmp_lt_u32 s0, 24
	v_pk_fma_f32 v[6:7], v[88:89], v[84:85], v[6:7]
	v_pk_fma_f32 v[4:5], v[86:87], v[82:83], v[4:5]
	s_cbranch_scc1 .LBB206_11
; %bb.12:                               ;   in Loop: Header=BB206_5 Depth=1
	s_barrier
	s_branch .LBB206_4
.LBB206_13:
	v_mov_b32_e32 v4, v3
	v_mov_b32_e32 v5, v3
	;; [unrolled: 1-line block ×3, first 2 shown]
	v_mov_b64_e32 v[6:7], v[4:5]
	v_mov_b64_e32 v[4:5], v[2:3]
.LBB206_14:
	s_mul_i32 s0, s10, s7
	s_waitcnt vmcnt(0)
	v_cmp_gt_i32_e32 vcc, s0, v1
	s_and_saveexec_b64 s[0:1], vcc
	s_cbranch_execz .LBB206_23
; %bb.15:
	v_and_b32_e32 v0, 0x3ff, v0
	v_add_u32_e32 v2, s11, v0
	v_mul_lo_u32 v0, v1, s9
	v_cmp_gt_u32_e32 vcc, s9, v2
	s_and_saveexec_b64 s[0:1], vcc
	s_cbranch_execz .LBB206_17
; %bb.16:
	v_cvt_f16_f32_e32 v1, v4
	v_add_u32_e32 v8, v0, v2
	v_mov_b32_e32 v9, 0
	v_lshl_add_u64 v[8:9], v[8:9], 1, s[12:13]
	global_store_short v[8:9], v1, off
.LBB206_17:
	s_or_b64 exec, exec, s[0:1]
	v_add_u32_e32 v1, 32, v2
	v_cmp_gt_u32_e32 vcc, s9, v1
	s_and_saveexec_b64 s[0:1], vcc
	s_cbranch_execz .LBB206_19
; %bb.18:
	v_cvt_f16_f32_e32 v3, v5
	v_add_u32_e32 v4, v0, v1
	v_mov_b32_e32 v5, 0
	v_lshl_add_u64 v[4:5], v[4:5], 1, s[12:13]
	global_store_short v[4:5], v3, off
.LBB206_19:
	s_or_b64 exec, exec, s[0:1]
	v_add_u32_e32 v1, 64, v2
	;; [unrolled: 12-line block ×3, first 2 shown]
	v_cmp_gt_u32_e32 vcc, s9, v1
	s_and_b64 exec, exec, vcc
	s_cbranch_execz .LBB206_23
; %bb.22:
	v_cvt_f16_f32_e32 v2, v7
	v_add_u32_e32 v0, v0, v1
	v_mov_b32_e32 v1, 0
	v_lshl_add_u64 v[0:1], v[0:1], 1, s[12:13]
	global_store_short v[0:1], v2, off
.LBB206_23:
	s_endpgm
	.section	.rodata,"a",@progbits
	.p2align	6, 0x0
	.amdhsa_kernel _ZL8moe_q8_0IN3c104HalfELb1EEvPKvS3_PT_PKiS7_S7_iiiiiii
		.amdhsa_group_segment_fixed_size 20160
		.amdhsa_private_segment_fixed_size 0
		.amdhsa_kernarg_size 76
		.amdhsa_user_sgpr_count 2
		.amdhsa_user_sgpr_dispatch_ptr 0
		.amdhsa_user_sgpr_queue_ptr 0
		.amdhsa_user_sgpr_kernarg_segment_ptr 1
		.amdhsa_user_sgpr_dispatch_id 0
		.amdhsa_user_sgpr_kernarg_preload_length 0
		.amdhsa_user_sgpr_kernarg_preload_offset 0
		.amdhsa_user_sgpr_private_segment_size 0
		.amdhsa_uses_dynamic_stack 0
		.amdhsa_enable_private_segment 0
		.amdhsa_system_sgpr_workgroup_id_x 1
		.amdhsa_system_sgpr_workgroup_id_y 1
		.amdhsa_system_sgpr_workgroup_id_z 0
		.amdhsa_system_sgpr_workgroup_info 0
		.amdhsa_system_vgpr_workitem_id 1
		.amdhsa_next_free_vgpr 128
		.amdhsa_next_free_sgpr 22
		.amdhsa_accum_offset 128
		.amdhsa_reserve_vcc 1
		.amdhsa_float_round_mode_32 0
		.amdhsa_float_round_mode_16_64 0
		.amdhsa_float_denorm_mode_32 3
		.amdhsa_float_denorm_mode_16_64 3
		.amdhsa_dx10_clamp 1
		.amdhsa_ieee_mode 1
		.amdhsa_fp16_overflow 0
		.amdhsa_tg_split 0
		.amdhsa_exception_fp_ieee_invalid_op 0
		.amdhsa_exception_fp_denorm_src 0
		.amdhsa_exception_fp_ieee_div_zero 0
		.amdhsa_exception_fp_ieee_overflow 0
		.amdhsa_exception_fp_ieee_underflow 0
		.amdhsa_exception_fp_ieee_inexact 0
		.amdhsa_exception_int_div_zero 0
	.end_amdhsa_kernel
	.section	.text._ZL8moe_q8_0IN3c104HalfELb1EEvPKvS3_PT_PKiS7_S7_iiiiiii,"axG",@progbits,_ZL8moe_q8_0IN3c104HalfELb1EEvPKvS3_PT_PKiS7_S7_iiiiiii,comdat
.Lfunc_end206:
	.size	_ZL8moe_q8_0IN3c104HalfELb1EEvPKvS3_PT_PKiS7_S7_iiiiiii, .Lfunc_end206-_ZL8moe_q8_0IN3c104HalfELb1EEvPKvS3_PT_PKiS7_S7_iiiiiii
                                        ; -- End function
	.set _ZL8moe_q8_0IN3c104HalfELb1EEvPKvS3_PT_PKiS7_S7_iiiiiii.num_vgpr, 128
	.set _ZL8moe_q8_0IN3c104HalfELb1EEvPKvS3_PT_PKiS7_S7_iiiiiii.num_agpr, 0
	.set _ZL8moe_q8_0IN3c104HalfELb1EEvPKvS3_PT_PKiS7_S7_iiiiiii.numbered_sgpr, 22
	.set _ZL8moe_q8_0IN3c104HalfELb1EEvPKvS3_PT_PKiS7_S7_iiiiiii.num_named_barrier, 0
	.set _ZL8moe_q8_0IN3c104HalfELb1EEvPKvS3_PT_PKiS7_S7_iiiiiii.private_seg_size, 0
	.set _ZL8moe_q8_0IN3c104HalfELb1EEvPKvS3_PT_PKiS7_S7_iiiiiii.uses_vcc, 1
	.set _ZL8moe_q8_0IN3c104HalfELb1EEvPKvS3_PT_PKiS7_S7_iiiiiii.uses_flat_scratch, 0
	.set _ZL8moe_q8_0IN3c104HalfELb1EEvPKvS3_PT_PKiS7_S7_iiiiiii.has_dyn_sized_stack, 0
	.set _ZL8moe_q8_0IN3c104HalfELb1EEvPKvS3_PT_PKiS7_S7_iiiiiii.has_recursion, 0
	.set _ZL8moe_q8_0IN3c104HalfELb1EEvPKvS3_PT_PKiS7_S7_iiiiiii.has_indirect_call, 0
	.section	.AMDGPU.csdata,"",@progbits
; Kernel info:
; codeLenInByte = 2820
; TotalNumSgprs: 28
; NumVgprs: 128
; NumAgprs: 0
; TotalNumVgprs: 128
; ScratchSize: 0
; MemoryBound: 0
; FloatMode: 240
; IeeeMode: 1
; LDSByteSize: 20160 bytes/workgroup (compile time only)
; SGPRBlocks: 3
; VGPRBlocks: 15
; NumSGPRsForWavesPerEU: 28
; NumVGPRsForWavesPerEU: 128
; AccumOffset: 128
; Occupancy: 4
; WaveLimiterHint : 1
; COMPUTE_PGM_RSRC2:SCRATCH_EN: 0
; COMPUTE_PGM_RSRC2:USER_SGPR: 2
; COMPUTE_PGM_RSRC2:TRAP_HANDLER: 0
; COMPUTE_PGM_RSRC2:TGID_X_EN: 1
; COMPUTE_PGM_RSRC2:TGID_Y_EN: 1
; COMPUTE_PGM_RSRC2:TGID_Z_EN: 0
; COMPUTE_PGM_RSRC2:TIDIG_COMP_CNT: 1
; COMPUTE_PGM_RSRC3_GFX90A:ACCUM_OFFSET: 31
; COMPUTE_PGM_RSRC3_GFX90A:TG_SPLIT: 0
	.section	.text._ZL8moe_q2_KIN3c104HalfELb0EEvPKvS3_PT_PKiS7_S7_iiiiiii,"axG",@progbits,_ZL8moe_q2_KIN3c104HalfELb0EEvPKvS3_PT_PKiS7_S7_iiiiiii,comdat
	.globl	_ZL8moe_q2_KIN3c104HalfELb0EEvPKvS3_PT_PKiS7_S7_iiiiiii ; -- Begin function _ZL8moe_q2_KIN3c104HalfELb0EEvPKvS3_PT_PKiS7_S7_iiiiiii
	.p2align	8
	.type	_ZL8moe_q2_KIN3c104HalfELb0EEvPKvS3_PT_PKiS7_S7_iiiiiii,@function
_ZL8moe_q2_KIN3c104HalfELb0EEvPKvS3_PT_PKiS7_S7_iiiiiii: ; @_ZL8moe_q2_KIN3c104HalfELb0EEvPKvS3_PT_PKiS7_S7_iiiiiii
; %bb.0:
	s_load_dwordx4 s[4:7], s[0:1], 0x18
	s_mov_b32 s8, s3
	s_mov_b32 s9, 0
	s_lshl_b64 s[10:11], s[8:9], 2
	s_waitcnt lgkmcnt(0)
	s_add_u32 s6, s6, s10
	s_addc_u32 s7, s7, s11
	s_load_dword s3, s[6:7], 0x0
	s_waitcnt lgkmcnt(0)
	s_cmpk_gt_u32 s3, 0xff
	s_cbranch_scc1 .LBB207_46
; %bb.1:
	s_load_dwordx2 s[6:7], s[0:1], 0x28
	s_waitcnt lgkmcnt(0)
	s_load_dword s7, s[6:7], 0x0
	s_lshl_b32 s6, s8, 3
	s_waitcnt lgkmcnt(0)
	s_cmp_gt_u32 s6, s7
	s_cbranch_scc1 .LBB207_46
; %bb.2:
	v_bfe_u32 v2, v0, 10, 10
	v_mov_b32_e32 v4, s4
	v_mov_b32_e32 v5, s5
	v_add_u32_e32 v26, s6, v2
	v_mov_b32_e32 v27, 0
	v_lshl_add_u64 v[4:5], v[26:27], 2, v[4:5]
	global_load_dword v1, v[4:5], off
	s_load_dwordx2 s[14:15], s[0:1], 0x30
	s_load_dwordx2 s[12:13], s[0:1], 0x10
	s_load_dwordx4 s[4:7], s[0:1], 0x3c
	s_lshl_b32 s18, s2, 7
	v_mov_b32_e32 v26, v27
	s_waitcnt lgkmcnt(0)
	s_cmpk_lt_i32 s15, 0x100
	v_mov_b32_e32 v29, v27
	v_mov_b32_e32 v28, v27
	s_cbranch_scc1 .LBB207_37
; %bb.3:
	s_load_dwordx4 s[8:11], s[0:1], 0x0
	s_ashr_i32 s0, s15, 31
	s_lshr_b32 s0, s0, 24
	s_add_i32 s0, s15, s0
	s_ashr_i32 s19, s0, 8
	s_ashr_i32 s0, s5, 31
	s_lshr_b32 s0, s0, 27
	s_add_i32 s0, s5, s0
	s_mul_i32 s3, s3, s14
	s_ashr_i32 s5, s0, 5
	s_ashr_i32 s0, s3, 31
	s_waitcnt lgkmcnt(0)
	s_add_u32 s1, s8, s3
	s_mul_i32 s2, s19, s18
	s_addc_u32 s0, s9, s0
	s_mul_hi_i32 s3, s2, 0x54
	s_mulk_i32 s2, 0x54
	s_add_u32 s20, s1, s2
	s_addc_u32 s21, s0, s3
	s_abs_i32 s3, s7
	v_cvt_f32_u32_e32 v31, s3
	s_lshl_b32 s2, s19, 3
	v_mov_b32_e32 v4, s2
	v_mad_i32_i24 v14, s19, v2, v4
	v_lshlrev_b32_e32 v6, 4, v2
	v_bfe_u32 v4, v0, 1, 9
	v_and_b32_e32 v13, 0x3ff, v0
	v_and_b32_e32 v16, 1, v0
	v_add_u32_e32 v4, v4, v6
	v_rcp_iflag_f32_e32 v31, v31
	v_lshlrev_b32_e32 v3, 2, v13
	s_movk_i32 s0, 0x84
	v_and_b32_e32 v5, 0x7f, v4
	v_lshlrev_b32_e32 v7, 2, v16
	v_lshrrev_b32_e32 v4, 2, v4
	v_mad_u32_u24 v15, v2, s0, v3
	v_mul_i32_i24_e32 v18, s19, v5
	v_lshl_or_b32 v5, v5, 3, v7
	v_and_b32_e32 v4, 28, v4
	s_movk_i32 s0, 0x5280
	v_bfe_u32 v19, v0, 3, 7
	v_add3_u32 v17, v5, v4, s0
	v_lshl_add_u32 v4, v2, 2, v19
	v_and_b32_e32 v7, 7, v0
	v_and_b32_e32 v5, 0x1ffc, v4
	v_lshlrev_b32_e32 v8, 2, v7
	s_movk_i32 s0, 0x4200
	s_lshl_b32 s16, s19, 5
	v_mul_f32_e32 v31, 0x4f7ffffe, v31
	v_add3_u32 v9, v5, v8, s0
	v_add_u32_e32 v5, 32, v4
	v_mov_b32_e32 v23, s16
	v_cvt_u32_f32_e32 v31, v31
	v_mul_i32_i24_e32 v22, s19, v4
	v_lshlrev_b32_e32 v26, 5, v4
	v_mad_i32_i24 v24, s19, v4, v23
	v_and_b32_e32 v23, 0x3ffc, v5
	v_lshlrev_b32_e32 v28, 5, v5
	v_add_u32_e32 v5, 64, v4
	v_add_u32_e32 v4, 0x60, v4
	v_add3_u32 v27, v23, v8, s0
	v_and_b32_e32 v23, 0x3ffc, v5
	v_lshlrev_b32_e32 v34, 5, v5
	v_and_b32_e32 v5, 0x3ffc, v4
	v_add3_u32 v29, v23, v8, s0
	v_add3_u32 v8, v5, v8, s0
	v_lshlrev_b32_e32 v36, 5, v4
	v_add_u32_e32 v35, 0x5aa0, v6
	v_add_u32_e32 v6, 32, v13
	s_sub_i32 s0, 0, s3
	v_lshlrev_b32_e32 v38, 1, v6
	v_mul_lo_u32 v45, s0, v31
	v_add_u32_e32 v61, v8, v36
	v_add_u32_e32 v36, s2, v14
	v_lshrrev_b32_e32 v40, 4, v6
	v_add_u32_e32 v30, 64, v13
	s_waitcnt vmcnt(0)
	v_sub_u32_e32 v33, 0, v1
	v_mul_hi_u32 v45, v31, v45
	v_lshlrev_b32_e32 v67, 2, v38
	v_add_u32_e32 v38, s2, v36
	v_lshlrev_b32_e32 v42, 1, v30
	v_max_i32_e32 v33, v1, v33
	v_add_u32_e32 v31, v31, v45
	v_lshlrev_b32_e32 v65, 2, v40
	v_add_u32_e32 v40, s2, v38
	v_lshrrev_b32_e32 v44, 4, v30
	v_add_u32_e32 v32, 0x60, v13
	v_mul_hi_u32 v31, v33, v31
	v_lshlrev_b32_e32 v73, 2, v42
	v_add_u32_e32 v42, s2, v40
	v_lshlrev_b32_e32 v46, 1, v32
	v_mul_lo_u32 v45, v31, s3
	v_lshlrev_b32_e32 v69, 2, v44
	v_add_u32_e32 v44, s2, v42
	v_lshrrev_b32_e32 v48, 4, v32
	v_sub_u32_e32 v33, v33, v45
	v_lshlrev_b32_e32 v75, 2, v46
	v_add_u32_e32 v46, s2, v44
	v_add_u32_e32 v45, 1, v31
	v_cmp_le_u32_e64 s[0:1], s3, v33
	v_lshlrev_b32_e32 v74, 2, v48
	v_add_u32_e32 v48, s2, v46
	v_cndmask_b32_e64 v31, v31, v45, s[0:1]
	v_subrev_u32_e32 v45, s3, v33
	v_add_u32_e32 v50, s2, v48
	v_cndmask_b32_e64 v33, v33, v45, s[0:1]
	v_add_u32_e32 v52, s2, v50
	v_add_u32_e32 v45, 1, v31
	v_xor_b32_e32 v47, s7, v1
	v_cmp_le_u32_e64 s[0:1], s3, v33
	v_add_u32_e32 v54, s2, v52
	v_ashrrev_i32_e32 v47, 31, v47
	v_cndmask_b32_e64 v31, v31, v45, s[0:1]
	v_add_u32_e32 v56, s2, v54
	v_lshrrev_b32_e32 v39, 3, v6
	v_xor_b32_e32 v31, v31, v47
	v_lshlrev_b32_e32 v33, 5, v13
	v_and_b32_e32 v6, 0x1fc, v6
	v_add_u32_e32 v58, s2, v56
	v_mov_b32_e32 v11, 0
	v_mov_b32_e32 v23, 0x56a0
	v_sub_u32_e32 v31, v31, v47
	v_add_u32_e32 v47, v33, v6
	v_and_b32_e32 v6, 0x1fc, v30
	v_add_u32_e32 v60, s2, v58
	v_and_b32_e32 v10, 60, v3
	v_mul_i32_i24_e32 v12, s19, v2
	v_and_b32_e32 v20, 12, v3
	v_and_b32_e32 v25, 31, v0
	;; [unrolled: 1-line block ×3, first 2 shown]
	v_mov_b32_e32 v5, v11
	v_lshl_add_u32 v23, v2, 7, v23
	v_cmp_gt_u32_e32 vcc, 4, v13
	v_add_u32_e32 v37, v35, v3
	v_mul_u32_u24_e32 v2, 33, v13
	v_lshlrev_b32_e32 v3, 1, v13
	v_lshrrev_b32_e32 v41, 3, v30
	v_cmp_gt_i32_e64 s[0:1], s4, v31
	v_and_b32_e32 v45, 0xfc, v0
	v_add_u32_e32 v49, v33, v6
	v_and_b32_e32 v6, 0x1fc, v32
	v_mul_lo_u32 v30, v31, s5
	v_add_u32_e32 v59, v29, v34
	v_bfe_u32 v34, v0, 4, 6
	v_add_u32_e32 v62, s2, v60
	v_cmp_lt_u32_e64 s[2:3], 3, v7
	v_add_u32_e32 v66, s16, v24
	s_movk_i32 s14, 0x54
	s_mov_b32 s22, 0
	v_mov_b32_e32 v21, v11
	v_lshl_add_u32 v25, v25, 2, v23
	v_lshrrev_b32_e32 v43, 3, v32
	v_add_u32_e32 v45, v33, v45
	v_add_u32_e32 v51, v33, v6
	v_lshl_add_u64 v[32:33], s[10:11], 0, v[4:5]
	s_and_b64 s[8:9], vcc, s[0:1]
	v_lshlrev_b32_e32 v53, 2, v2
	v_ashrrev_i32_e32 v31, 31, v30
	v_add_u32_e32 v55, v9, v26
	v_add_u32_e32 v57, v27, v28
	v_lshlrev_b32_e32 v63, 2, v3
	s_mov_b32 s23, 0x1010101
	v_mov_b32_e32 v28, v11
	v_mov_b32_e32 v29, v11
	;; [unrolled: 1-line block ×4, first 2 shown]
	v_lshlrev_b32_e32 v76, 2, v34
	v_mov_b32_e32 v77, 4
	v_mov_b32_e32 v78, 15
	v_cndmask_b32_e64 v64, 0, 1, s[2:3]
	v_add_u32_e32 v68, s16, v66
	s_branch .LBB207_5
.LBB207_4:                              ;   in Loop: Header=BB207_5 Depth=1
	s_add_i32 s22, s22, 2
	s_cmp_ge_i32 s22, s19
	s_cbranch_scc1 .LBB207_37
.LBB207_5:                              ; =>This Loop Header: Depth=1
                                        ;     Child Loop BB207_11 Depth 2
                                        ;     Child Loop BB207_19 Depth 2
	;; [unrolled: 1-line block ×4, first 2 shown]
	s_mul_i32 s2, s22, 0x54
	s_mul_hi_u32 s3, s22, 0x54
	s_add_u32 s2, s20, s2
	s_addc_u32 s3, s21, s3
	v_mov_b64_e32 v[2:3], s[2:3]
	v_mad_u64_u32 v[4:5], s[2:3], v34, s14, v[2:3]
	v_mad_u64_u32 v[6:7], s[2:3], v12, s14, v[4:5]
	v_lshl_add_u64 v[6:7], v[6:7], 0, v[10:11]
	v_mad_u64_u32 v[8:9], s[2:3], v14, s14, v[4:5]
	v_mad_u64_u32 v[70:71], s[2:3], v36, s14, v[4:5]
	;; [unrolled: 1-line block ×7, first 2 shown]
	v_lshl_add_u64 v[8:9], v[8:9], 0, v[10:11]
	v_lshl_add_u64 v[70:71], v[70:71], 0, v[10:11]
	;; [unrolled: 1-line block ×7, first 2 shown]
	global_load_dword v72, v[6:7], off offset:16
	global_load_dword v79, v[8:9], off offset:16
	;; [unrolled: 1-line block ×8, first 2 shown]
	v_mad_u64_u32 v[6:7], s[2:3], v48, s14, v[4:5]
	v_mad_u64_u32 v[8:9], s[2:3], v50, s14, v[4:5]
	;; [unrolled: 1-line block ×8, first 2 shown]
	v_lshl_add_u64 v[6:7], v[6:7], 0, v[10:11]
	v_lshl_add_u64 v[4:5], v[4:5], 0, v[10:11]
	;; [unrolled: 1-line block ×8, first 2 shown]
	global_load_dword v88, v[6:7], off offset:16
	global_load_dword v89, v[8:9], off offset:16
	;; [unrolled: 1-line block ×8, first 2 shown]
	v_mad_u64_u32 v[4:5], s[2:3], v18, s14, v[2:3]
	v_mad_u64_u32 v[2:3], s[2:3], v64, s14, v[2:3]
	v_lshl_add_u64 v[2:3], v[2:3], 0, v[20:21]
	v_mad_u64_u32 v[4:5], s[2:3], v16, s14, v[4:5]
	v_mad_u64_u32 v[6:7], s[2:3], v22, s14, v[2:3]
	;; [unrolled: 1-line block ×5, first 2 shown]
	global_load_dword v80, v[4:5], off offset:80
	global_load_dword v81, v[6:7], off
	global_load_dword v82, v[8:9], off
	;; [unrolled: 1-line block ×3, first 2 shown]
	s_lshl_b32 s24, s22, 8
	global_load_dword v2, v[2:3], off
	v_add_u32_e32 v3, 0x420, v15
	s_cmp_lt_i32 s24, s15
	s_waitcnt vmcnt(20)
	ds_write_b32 v15, v72
	s_waitcnt vmcnt(19)
	ds_write_b32 v3, v79
	v_add_u32_e32 v3, 0x840, v15
	s_waitcnt vmcnt(18)
	ds_write_b32 v3, v90
	v_add_u32_e32 v3, 0xc60, v15
	;; [unrolled: 3-line block ×14, first 2 shown]
	s_waitcnt vmcnt(5)
	ds_write_b32 v3, v101
	s_waitcnt vmcnt(4)
	ds_write_b32 v17, v80
	;; [unrolled: 2-line block ×6, first 2 shown]
	s_cbranch_scc0 .LBB207_4
; %bb.6:                                ;   in Loop: Header=BB207_5 Depth=1
	s_lshl_b32 s25, s22, 3
	v_add_u32_e32 v2, s25, v19
	v_cmp_gt_i32_e64 s[2:3], s5, v2
	s_and_b64 s[16:17], s[0:1], s[2:3]
	s_and_saveexec_b64 s[2:3], s[16:17]
	s_cbranch_execz .LBB207_8
; %bb.7:                                ;   in Loop: Header=BB207_5 Depth=1
	v_add_u32_e32 v2, v30, v2
	v_mad_i64_i32 v[2:3], s[16:17], v2, 36, v[32:33]
	global_load_dword v2, v[2:3], off offset:4
	s_waitcnt vmcnt(0)
	ds_write_b32 v25, v2
.LBB207_8:                              ;   in Loop: Header=BB207_5 Depth=1
	s_or_b64 exec, exec, s[2:3]
	v_add_u32_e32 v70, s25, v13
	v_cmp_gt_i32_e64 s[2:3], s5, v70
	s_and_b64 s[16:17], s[8:9], s[2:3]
	s_and_saveexec_b64 s[2:3], s[16:17]
	s_cbranch_execz .LBB207_10
; %bb.9:                                ;   in Loop: Header=BB207_5 Depth=1
	v_add_u32_e32 v2, v30, v70
	v_mad_i64_i32 v[2:3], s[16:17], v2, 36, s[10:11]
	global_load_dword v2, v[2:3], off
	s_waitcnt vmcnt(0)
	v_cvt_f32_f16_e32 v2, v2
	ds_write_b32 v37, v2
.LBB207_10:                             ;   in Loop: Header=BB207_5 Depth=1
	s_or_b64 exec, exec, s[2:3]
	s_mov_b32 s2, 0
	v_mov_b32_e32 v71, v35
	v_mov_b32_e32 v79, v23
	s_waitcnt lgkmcnt(0)
	s_barrier
.LBB207_11:                             ;   Parent Loop BB207_5 Depth=1
                                        ; =>  This Inner Loop Header: Depth=2
	s_and_b32 s16, s2, 0x3ffffff8
	v_lshl_add_u32 v80, s16, 2, v53
	ds_read_b32 v72, v71
	ds_read_b128 v[6:9], v79
	ds_read_b128 v[2:5], v79 offset:16
	ds_read2_b32 v[82:83], v80 offset1:1
	s_lshr_b32 s16, s2, 2
	s_and_b32 s16, s16, 0x3ffffffc
	s_addk_i32 s16, 0x5280
	v_add3_u32 v90, s16, v76, v63
	ds_read_b32 v90, v90
	s_waitcnt lgkmcnt(1)
	v_ashrrev_i32_e32 v81, s2, v82
	v_ashrrev_i32_e32 v82, s2, v83
	v_and_b32_e32 v84, 0x3030303, v82
	ds_read2_b32 v[82:83], v80 offset0:2 offset1:3
	v_add3_u32 v92, s16, v65, v67
	ds_read_b32 v92, v92
	v_and_b32_e32 v81, 0x3030303, v81
	v_mov_b32_e32 v91, 0
	s_waitcnt lgkmcnt(1)
	v_ashrrev_i32_e32 v82, s2, v82
	v_and_b32_e32 v85, 0x3030303, v82
	v_ashrrev_i32_e32 v82, s2, v83
	v_and_b32_e32 v86, 0x3030303, v82
	ds_read2_b32 v[82:83], v80 offset0:4 offset1:5
	s_and_b32 s3, s2, -16
	v_dot4c_i32_i8_e32 v91, v81, v6
	v_mov_b32_e32 v81, 0
	s_add_i32 s3, s2, s3
	s_waitcnt lgkmcnt(0)
	v_ashrrev_i32_e32 v82, s2, v82
	v_and_b32_e32 v87, 0x3030303, v82
	v_ashrrev_i32_e32 v82, s2, v83
	v_and_b32_e32 v88, 0x3030303, v82
	ds_read2_b32 v[82:83], v80 offset0:6 offset1:7
	v_add_u32_e32 v89, 0x4200, v45
	v_dot4c_i32_i8_e32 v81, v87, v2
	v_add_u32_e32 v89, s3, v89
	v_dot4c_i32_i8_e32 v81, v88, v3
	s_waitcnt lgkmcnt(0)
	v_ashrrev_i32_e32 v82, s2, v82
	v_and_b32_e32 v82, 0x3030303, v82
	v_dot4c_i32_i8_e32 v81, v82, v4
	ds_read_u16 v82, v89
	v_ashrrev_i32_e32 v83, s2, v83
	v_and_b32_e32 v83, 0x3030303, v83
	v_dot4c_i32_i8_e32 v91, v84, v7
	v_dot4c_i32_i8_e32 v91, v85, v8
	;; [unrolled: 1-line block ×3, first 2 shown]
	s_waitcnt lgkmcnt(0)
	v_bfe_u32 v83, v82, 4, 4
	v_dot4c_i32_i8_e32 v91, v86, v9
	v_mul_lo_u32 v83, v83, s23
	v_mov_b32_e32 v86, 0
	v_dot4c_i32_i8_e32 v86, v83, v6
	v_dot4c_i32_i8_e32 v86, v83, v7
	;; [unrolled: 1-line block ×4, first 2 shown]
	v_lshrrev_b32_sdwa v83, v77, v82 dst_sel:DWORD dst_unused:UNUSED_PAD src0_sel:DWORD src1_sel:BYTE_1
	v_mul_lo_u32 v83, v83, s23
	v_dot4c_i32_i8_e32 v86, v83, v2
	v_dot4c_i32_i8_e32 v86, v83, v3
	;; [unrolled: 1-line block ×4, first 2 shown]
	v_and_b32_e32 v83, 15, v82
	v_and_b32_sdwa v82, v82, v78 dst_sel:DWORD dst_unused:UNUSED_PAD src0_sel:BYTE_1 src1_sel:DWORD
	v_and_b32_e32 v84, 0xffff, v82
	v_and_b32_e32 v82, 0xffff, v83
	v_mul_lo_u32 v82, v91, v82
	v_mad_u64_u32 v[82:83], s[26:27], v81, v84, v[82:83]
	v_cvt_f32_f16_e32 v84, v90
	v_cvt_f32_f16_sdwa v85, v90 dst_sel:DWORD dst_unused:UNUSED_PAD src0_sel:WORD_1
	v_cvt_f32_i32_e32 v82, v82
	v_cvt_f32_i32_e32 v83, v86
	v_add_u32_e32 v81, 0x1080, v80
	v_mov_b32_e32 v93, 0
	v_add_u32_e32 v91, 0x4600, v47
	v_pk_mul_f32 v[82:83], v[84:85], v[82:83]
	ds_read2_b32 v[84:85], v81 offset1:1
	v_add_u32_e32 v91, s3, v91
	v_add_u32_e32 v79, 32, v79
	;; [unrolled: 1-line block ×3, first 2 shown]
	s_waitcnt lgkmcnt(0)
	v_ashrrev_i32_e32 v81, s2, v84
	v_ashrrev_i32_e32 v84, s2, v85
	v_and_b32_e32 v86, 0x3030303, v84
	v_add_u32_e32 v84, 0x1088, v80
	ds_read2_b32 v[84:85], v84 offset1:1
	v_and_b32_e32 v81, 0x3030303, v81
	v_dot4c_i32_i8_e32 v93, v81, v6
	v_mov_b32_e32 v81, 0
	v_dot4c_i32_i8_e32 v93, v86, v7
	s_waitcnt lgkmcnt(0)
	v_ashrrev_i32_e32 v84, s2, v84
	v_and_b32_e32 v87, 0x3030303, v84
	v_ashrrev_i32_e32 v84, s2, v85
	v_and_b32_e32 v88, 0x3030303, v84
	v_add_u32_e32 v84, 0x1090, v80
	ds_read2_b32 v[84:85], v84 offset1:1
	v_mov_b32_e32 v86, 0
	v_dot4c_i32_i8_e32 v93, v87, v8
	v_dot4c_i32_i8_e32 v93, v88, v9
	s_waitcnt lgkmcnt(0)
	v_ashrrev_i32_e32 v84, s2, v84
	v_and_b32_e32 v89, 0x3030303, v84
	v_ashrrev_i32_e32 v84, s2, v85
	v_and_b32_e32 v90, 0x3030303, v84
	v_add_u32_e32 v84, 0x1098, v80
	ds_read2_b32 v[84:85], v84 offset1:1
	v_dot4c_i32_i8_e32 v81, v89, v2
	v_dot4c_i32_i8_e32 v81, v90, v3
	v_add3_u32 v90, s16, v69, v73
	v_add_u32_e32 v89, 0x4a00, v49
	s_waitcnt lgkmcnt(0)
	v_ashrrev_i32_e32 v84, s2, v84
	v_and_b32_e32 v84, 0x3030303, v84
	v_dot4c_i32_i8_e32 v81, v84, v4
	ds_read_u16 v84, v91
	v_ashrrev_i32_e32 v85, s2, v85
	v_and_b32_e32 v85, 0x3030303, v85
	v_dot4c_i32_i8_e32 v81, v85, v5
	ds_read_b32 v90, v90
	s_waitcnt lgkmcnt(1)
	v_bfe_u32 v85, v84, 4, 4
	v_mul_lo_u32 v85, v85, s23
	v_dot4c_i32_i8_e32 v86, v85, v6
	v_dot4c_i32_i8_e32 v86, v85, v7
	;; [unrolled: 1-line block ×4, first 2 shown]
	v_lshrrev_b32_sdwa v85, v77, v84 dst_sel:DWORD dst_unused:UNUSED_PAD src0_sel:DWORD src1_sel:BYTE_1
	v_mul_lo_u32 v85, v85, s23
	v_dot4c_i32_i8_e32 v86, v85, v2
	v_dot4c_i32_i8_e32 v86, v85, v3
	;; [unrolled: 1-line block ×4, first 2 shown]
	v_and_b32_e32 v85, 15, v84
	v_and_b32_sdwa v84, v84, v78 dst_sel:DWORD dst_unused:UNUSED_PAD src0_sel:BYTE_1 src1_sel:DWORD
	v_and_b32_e32 v87, 0xffff, v84
	v_and_b32_e32 v84, 0xffff, v85
	v_mul_lo_u32 v84, v93, v84
	v_mad_u64_u32 v[84:85], s[26:27], v81, v87, v[84:85]
	v_cvt_f32_f16_e32 v81, v92
	v_cvt_f32_i32_e32 v84, v84
	v_cvt_f32_f16_sdwa v87, v92 dst_sel:DWORD dst_unused:UNUSED_PAD src0_sel:WORD_1
	v_mov_b32_e32 v91, 0
	v_add_u32_e32 v89, s3, v89
	v_mul_f32_e32 v85, v81, v84
	v_cvt_f32_i32_e32 v81, v86
	v_mov_b32_e32 v84, v82
	v_mov_b32_e32 v86, v83
	;; [unrolled: 1-line block ×3, first 2 shown]
	v_mul_f32_e32 v87, v87, v81
	v_pk_add_f32 v[82:83], v[84:85], v[86:87] neg_lo:[0,1] neg_hi:[0,1]
	v_add_u32_e32 v81, 0x2100, v80
	v_pk_fma_f32 v[28:29], v[72:73], v[82:83], v[28:29] op_sel_hi:[0,1,1]
	ds_read2_b32 v[82:83], v81 offset1:1
	s_waitcnt lgkmcnt(0)
	v_ashrrev_i32_e32 v81, s2, v82
	v_ashrrev_i32_e32 v82, s2, v83
	v_and_b32_e32 v84, 0x3030303, v82
	v_add_u32_e32 v82, 0x2108, v80
	ds_read2_b32 v[82:83], v82 offset1:1
	v_and_b32_e32 v81, 0x3030303, v81
	v_dot4c_i32_i8_e32 v91, v81, v6
	v_mov_b32_e32 v81, 0
	v_dot4c_i32_i8_e32 v91, v84, v7
	s_waitcnt lgkmcnt(0)
	v_ashrrev_i32_e32 v82, s2, v82
	v_and_b32_e32 v85, 0x3030303, v82
	v_ashrrev_i32_e32 v82, s2, v83
	v_and_b32_e32 v86, 0x3030303, v82
	v_add_u32_e32 v82, 0x2110, v80
	ds_read2_b32 v[82:83], v82 offset1:1
	v_dot4c_i32_i8_e32 v91, v85, v8
	v_dot4c_i32_i8_e32 v91, v86, v9
	v_mov_b32_e32 v86, 0
	v_cvt_f32_f16_sdwa v85, v90 dst_sel:DWORD dst_unused:UNUSED_PAD src0_sel:WORD_1
	s_waitcnt lgkmcnt(0)
	v_ashrrev_i32_e32 v82, s2, v82
	v_and_b32_e32 v87, 0x3030303, v82
	v_ashrrev_i32_e32 v82, s2, v83
	v_and_b32_e32 v88, 0x3030303, v82
	v_add_u32_e32 v82, 0x2118, v80
	ds_read2_b32 v[82:83], v82 offset1:1
	v_dot4c_i32_i8_e32 v81, v87, v2
	v_dot4c_i32_i8_e32 v81, v88, v3
	s_waitcnt lgkmcnt(0)
	v_ashrrev_i32_e32 v82, s2, v82
	v_and_b32_e32 v82, 0x3030303, v82
	v_dot4c_i32_i8_e32 v81, v82, v4
	ds_read_u16 v82, v89
	v_ashrrev_i32_e32 v83, s2, v83
	v_and_b32_e32 v83, 0x3030303, v83
	v_dot4c_i32_i8_e32 v81, v83, v5
	s_waitcnt lgkmcnt(0)
	v_bfe_u32 v83, v82, 4, 4
	v_mul_lo_u32 v83, v83, s23
	v_dot4c_i32_i8_e32 v86, v83, v6
	v_dot4c_i32_i8_e32 v86, v83, v7
	;; [unrolled: 1-line block ×4, first 2 shown]
	v_lshrrev_b32_sdwa v83, v77, v82 dst_sel:DWORD dst_unused:UNUSED_PAD src0_sel:DWORD src1_sel:BYTE_1
	v_mul_lo_u32 v83, v83, s23
	v_dot4c_i32_i8_e32 v86, v83, v2
	v_dot4c_i32_i8_e32 v86, v83, v3
	v_dot4c_i32_i8_e32 v86, v83, v4
	v_dot4c_i32_i8_e32 v86, v83, v5
	v_and_b32_e32 v83, 15, v82
	v_and_b32_sdwa v82, v82, v78 dst_sel:DWORD dst_unused:UNUSED_PAD src0_sel:BYTE_1 src1_sel:DWORD
	v_and_b32_e32 v84, 0xffff, v82
	v_and_b32_e32 v82, 0xffff, v83
	v_mul_lo_u32 v82, v91, v82
	v_mad_u64_u32 v[82:83], s[26:27], v81, v84, v[82:83]
	v_cvt_f32_f16_e32 v84, v90
	v_cvt_f32_i32_e32 v82, v82
	v_cvt_f32_i32_e32 v83, v86
	v_add_u32_e32 v81, 0x3180, v80
	v_add3_u32 v91, s16, v74, v75
	v_add_u32_e32 v90, 0x4e00, v51
	v_pk_mul_f32 v[82:83], v[84:85], v[82:83]
	ds_read2_b32 v[84:85], v81 offset1:1
	ds_read_b32 v91, v91
	v_add_u32_e32 v90, s3, v90
	s_add_i32 s3, s2, 2
	s_cmp_lt_u32 s2, 6
	s_waitcnt lgkmcnt(1)
	v_ashrrev_i32_e32 v81, s2, v84
	v_and_b32_e32 v86, 0x3030303, v81
	v_ashrrev_i32_e32 v81, s2, v85
	v_and_b32_e32 v87, 0x3030303, v81
	v_add_u32_e32 v81, 0x3188, v80
	ds_read2_b32 v[84:85], v81 offset1:1
	v_dot4c_i32_i8_e32 v92, v86, v6
	v_mov_b32_e32 v86, 0
	v_dot4c_i32_i8_e32 v92, v87, v7
	s_waitcnt lgkmcnt(0)
	v_ashrrev_i32_e32 v81, s2, v84
	v_and_b32_e32 v88, 0x3030303, v81
	v_ashrrev_i32_e32 v81, s2, v85
	v_and_b32_e32 v89, 0x3030303, v81
	v_add_u32_e32 v81, 0x3190, v80
	ds_read2_b32 v[84:85], v81 offset1:1
	v_add_u32_e32 v80, 0x3198, v80
	v_dot4c_i32_i8_e32 v92, v88, v8
	v_dot4c_i32_i8_e32 v92, v89, v9
	s_waitcnt lgkmcnt(0)
	v_ashrrev_i32_e32 v81, s2, v84
	v_and_b32_e32 v84, 0x3030303, v81
	v_ashrrev_i32_e32 v81, s2, v85
	v_and_b32_e32 v85, 0x3030303, v81
	ds_read2_b32 v[80:81], v80 offset1:1
	v_dot4c_i32_i8_e32 v86, v84, v2
	v_dot4c_i32_i8_e32 v86, v85, v3
	v_mov_b32_e32 v84, 0
	s_waitcnt lgkmcnt(0)
	v_ashrrev_i32_e32 v80, s2, v80
	v_and_b32_e32 v80, 0x3030303, v80
	v_dot4c_i32_i8_e32 v86, v80, v4
	ds_read_u16 v80, v90
	v_ashrrev_i32_e32 v81, s2, v81
	v_and_b32_e32 v81, 0x3030303, v81
	v_dot4c_i32_i8_e32 v86, v81, v5
	s_mov_b32 s2, s3
	s_waitcnt lgkmcnt(0)
	v_bfe_u32 v81, v80, 4, 4
	v_mul_lo_u32 v81, v81, s23
	v_dot4c_i32_i8_e32 v84, v81, v6
	v_dot4c_i32_i8_e32 v84, v81, v7
	;; [unrolled: 1-line block ×3, first 2 shown]
	v_lshrrev_b32_sdwa v6, v77, v80 dst_sel:DWORD dst_unused:UNUSED_PAD src0_sel:DWORD src1_sel:BYTE_1
	v_dot4c_i32_i8_e32 v84, v81, v9
	v_mul_lo_u32 v6, v6, s23
	v_dot4c_i32_i8_e32 v84, v6, v2
	v_and_b32_e32 v2, 15, v80
	v_dot4c_i32_i8_e32 v84, v6, v3
	v_and_b32_sdwa v3, v80, v78 dst_sel:DWORD dst_unused:UNUSED_PAD src0_sel:BYTE_1 src1_sel:DWORD
	v_and_b32_e32 v2, 0xffff, v2
	v_dot4c_i32_i8_e32 v84, v6, v4
	v_and_b32_e32 v3, 0xffff, v3
	v_mul_lo_u32 v2, v92, v2
	v_dot4c_i32_i8_e32 v84, v6, v5
	v_mad_u64_u32 v[2:3], s[16:17], v86, v3, v[2:3]
	v_cvt_f32_f16_e32 v4, v91
	v_cvt_f32_f16_sdwa v5, v91 dst_sel:DWORD dst_unused:UNUSED_PAD src0_sel:WORD_1
	v_cvt_f32_i32_e32 v2, v2
	v_cvt_f32_i32_e32 v3, v84
	v_pk_mul_f32 v[2:3], v[4:5], v[2:3]
	v_mov_b32_e32 v4, v82
	v_mov_b32_e32 v5, v2
	;; [unrolled: 1-line block ×3, first 2 shown]
	v_pk_add_f32 v[2:3], v[4:5], v[2:3] neg_lo:[0,1] neg_hi:[0,1]
	s_nop 0
	v_pk_fma_f32 v[26:27], v[72:73], v[2:3], v[26:27] op_sel_hi:[0,1,1]
	s_cbranch_scc1 .LBB207_11
; %bb.12:                               ;   in Loop: Header=BB207_5 Depth=1
	s_or_b32 s2, s24, 0x80
	s_cmp_ge_i32 s2, s15
	s_barrier
	s_cbranch_scc1 .LBB207_4
; %bb.13:                               ;   in Loop: Header=BB207_5 Depth=1
	v_add_u32_e32 v2, s25, v39
	v_cmp_gt_i32_e64 s[2:3], s5, v2
	s_and_b64 s[16:17], s[0:1], s[2:3]
	s_and_saveexec_b64 s[2:3], s[16:17]
	s_cbranch_execz .LBB207_15
; %bb.14:                               ;   in Loop: Header=BB207_5 Depth=1
	v_add_u32_e32 v2, v30, v2
	v_mad_i64_i32 v[2:3], s[16:17], v2, 36, v[32:33]
	global_load_dword v2, v[2:3], off offset:4
	s_waitcnt vmcnt(0)
	ds_write_b32 v25, v2
.LBB207_15:                             ;   in Loop: Header=BB207_5 Depth=1
	s_or_b64 exec, exec, s[2:3]
	s_and_saveexec_b64 s[16:17], vcc
	s_cbranch_execz .LBB207_18
; %bb.16:                               ;   in Loop: Header=BB207_5 Depth=1
	v_or_b32_e32 v2, 4, v70
	v_cmp_gt_i32_e64 s[2:3], s5, v2
	s_and_b64 s[2:3], s[0:1], s[2:3]
	s_and_b64 exec, exec, s[2:3]
	s_cbranch_execz .LBB207_18
; %bb.17:                               ;   in Loop: Header=BB207_5 Depth=1
	v_ashrrev_i32_e32 v71, 31, v70
	v_lshl_add_u64 v[2:3], v[30:31], 0, v[70:71]
	v_mad_u64_u32 v[4:5], s[2:3], v2, 36, s[10:11]
	v_mad_i32_i24 v5, v3, 36, v5
	global_load_dword v2, v[4:5], off offset:144
	s_waitcnt vmcnt(0)
	v_cvt_f32_f16_e32 v2, v2
	ds_write_b32 v37, v2
.LBB207_18:                             ;   in Loop: Header=BB207_5 Depth=1
	s_or_b64 exec, exec, s[16:17]
	s_mov_b32 s2, 8
	v_mov_b32_e32 v71, v23
	v_mov_b32_e32 v79, v35
	s_waitcnt lgkmcnt(0)
	s_barrier
.LBB207_19:                             ;   Parent Loop BB207_5 Depth=1
                                        ; =>  This Inner Loop Header: Depth=2
	s_and_b32 s17, s2, 0x3ffffff8
	v_lshl_add_u32 v80, s17, 2, v53
	ds_read_b32 v72, v79
	ds_read_b128 v[6:9], v71
	ds_read_b128 v[2:5], v71 offset:16
	ds_read2_b32 v[82:83], v80 offset1:1
	s_lshr_b32 s17, s2, 2
	s_and_b32 s17, s17, 0x3ffffffc
	s_addk_i32 s17, 0x5280
	s_add_i32 s3, s2, -8
	v_add3_u32 v90, s17, v76, v63
	ds_read_b32 v90, v90
	s_waitcnt lgkmcnt(1)
	v_ashrrev_i32_e32 v81, s3, v82
	v_ashrrev_i32_e32 v82, s3, v83
	v_and_b32_e32 v84, 0x3030303, v82
	ds_read2_b32 v[82:83], v80 offset0:2 offset1:3
	v_add3_u32 v92, s17, v65, v67
	ds_read_b32 v92, v92
	v_and_b32_e32 v81, 0x3030303, v81
	v_mov_b32_e32 v91, 0
	s_waitcnt lgkmcnt(1)
	v_ashrrev_i32_e32 v82, s3, v82
	v_and_b32_e32 v85, 0x3030303, v82
	v_ashrrev_i32_e32 v82, s3, v83
	v_and_b32_e32 v86, 0x3030303, v82
	ds_read2_b32 v[82:83], v80 offset0:4 offset1:5
	s_and_b32 s16, s2, -16
	v_dot4c_i32_i8_e32 v91, v81, v6
	v_mov_b32_e32 v81, 0
	s_add_i32 s16, s2, s16
	s_waitcnt lgkmcnt(0)
	v_ashrrev_i32_e32 v82, s3, v82
	v_and_b32_e32 v87, 0x3030303, v82
	v_ashrrev_i32_e32 v82, s3, v83
	v_and_b32_e32 v88, 0x3030303, v82
	ds_read2_b32 v[82:83], v80 offset0:6 offset1:7
	v_dot4c_i32_i8_e32 v81, v87, v2
	v_add_u32_e32 v89, s16, v45
	v_dot4c_i32_i8_e32 v81, v88, v3
	v_dot4c_i32_i8_e32 v91, v84, v7
	s_waitcnt lgkmcnt(0)
	v_ashrrev_i32_e32 v82, s3, v82
	v_and_b32_e32 v82, 0x3030303, v82
	v_dot4c_i32_i8_e32 v81, v82, v4
	ds_read_u16 v82, v89 offset:16896
	v_ashrrev_i32_e32 v83, s3, v83
	v_and_b32_e32 v83, 0x3030303, v83
	v_dot4c_i32_i8_e32 v91, v85, v8
	v_dot4c_i32_i8_e32 v81, v83, v5
	s_waitcnt lgkmcnt(0)
	v_bfe_u32 v83, v82, 4, 4
	v_dot4c_i32_i8_e32 v91, v86, v9
	v_mul_lo_u32 v83, v83, s23
	v_mov_b32_e32 v86, 0
	v_dot4c_i32_i8_e32 v86, v83, v6
	v_dot4c_i32_i8_e32 v86, v83, v7
	;; [unrolled: 1-line block ×4, first 2 shown]
	v_lshrrev_b32_sdwa v83, v77, v82 dst_sel:DWORD dst_unused:UNUSED_PAD src0_sel:DWORD src1_sel:BYTE_1
	v_mul_lo_u32 v83, v83, s23
	v_dot4c_i32_i8_e32 v86, v83, v2
	v_dot4c_i32_i8_e32 v86, v83, v3
	;; [unrolled: 1-line block ×4, first 2 shown]
	v_and_b32_e32 v83, 15, v82
	v_and_b32_sdwa v82, v82, v78 dst_sel:DWORD dst_unused:UNUSED_PAD src0_sel:BYTE_1 src1_sel:DWORD
	v_and_b32_e32 v84, 0xffff, v82
	v_and_b32_e32 v82, 0xffff, v83
	v_mul_lo_u32 v82, v91, v82
	v_mad_u64_u32 v[82:83], s[26:27], v81, v84, v[82:83]
	v_cvt_f32_f16_e32 v84, v90
	v_cvt_f32_f16_sdwa v85, v90 dst_sel:DWORD dst_unused:UNUSED_PAD src0_sel:WORD_1
	v_cvt_f32_i32_e32 v82, v82
	v_cvt_f32_i32_e32 v83, v86
	v_add_u32_e32 v81, 0x1080, v80
	v_mov_b32_e32 v93, 0
	v_add_u32_e32 v91, s16, v47
	v_pk_mul_f32 v[82:83], v[84:85], v[82:83]
	ds_read2_b32 v[84:85], v81 offset1:1
	v_add_u32_e32 v79, 4, v79
	v_add_u32_e32 v71, 32, v71
	s_waitcnt lgkmcnt(0)
	v_ashrrev_i32_e32 v81, s3, v84
	v_ashrrev_i32_e32 v84, s3, v85
	v_and_b32_e32 v86, 0x3030303, v84
	v_add_u32_e32 v84, 0x1088, v80
	ds_read2_b32 v[84:85], v84 offset1:1
	v_and_b32_e32 v81, 0x3030303, v81
	v_dot4c_i32_i8_e32 v93, v81, v6
	v_mov_b32_e32 v81, 0
	v_dot4c_i32_i8_e32 v93, v86, v7
	s_waitcnt lgkmcnt(0)
	v_ashrrev_i32_e32 v84, s3, v84
	v_and_b32_e32 v87, 0x3030303, v84
	v_ashrrev_i32_e32 v84, s3, v85
	v_and_b32_e32 v88, 0x3030303, v84
	v_add_u32_e32 v84, 0x1090, v80
	ds_read2_b32 v[84:85], v84 offset1:1
	v_mov_b32_e32 v86, 0
	v_dot4c_i32_i8_e32 v93, v87, v8
	v_dot4c_i32_i8_e32 v93, v88, v9
	s_waitcnt lgkmcnt(0)
	v_ashrrev_i32_e32 v84, s3, v84
	v_and_b32_e32 v89, 0x3030303, v84
	v_ashrrev_i32_e32 v84, s3, v85
	v_and_b32_e32 v90, 0x3030303, v84
	v_add_u32_e32 v84, 0x1098, v80
	ds_read2_b32 v[84:85], v84 offset1:1
	v_dot4c_i32_i8_e32 v81, v89, v2
	v_dot4c_i32_i8_e32 v81, v90, v3
	v_add3_u32 v90, s17, v69, v73
	v_add_u32_e32 v89, s16, v49
	s_waitcnt lgkmcnt(0)
	v_ashrrev_i32_e32 v84, s3, v84
	v_and_b32_e32 v84, 0x3030303, v84
	v_dot4c_i32_i8_e32 v81, v84, v4
	ds_read_u16 v84, v91 offset:17920
	v_ashrrev_i32_e32 v85, s3, v85
	v_and_b32_e32 v85, 0x3030303, v85
	v_dot4c_i32_i8_e32 v81, v85, v5
	ds_read_b32 v90, v90
	s_waitcnt lgkmcnt(1)
	v_bfe_u32 v85, v84, 4, 4
	v_mul_lo_u32 v85, v85, s23
	v_dot4c_i32_i8_e32 v86, v85, v6
	v_dot4c_i32_i8_e32 v86, v85, v7
	;; [unrolled: 1-line block ×4, first 2 shown]
	v_lshrrev_b32_sdwa v85, v77, v84 dst_sel:DWORD dst_unused:UNUSED_PAD src0_sel:DWORD src1_sel:BYTE_1
	v_mul_lo_u32 v85, v85, s23
	v_dot4c_i32_i8_e32 v86, v85, v2
	v_dot4c_i32_i8_e32 v86, v85, v3
	;; [unrolled: 1-line block ×4, first 2 shown]
	v_and_b32_e32 v85, 15, v84
	v_and_b32_sdwa v84, v84, v78 dst_sel:DWORD dst_unused:UNUSED_PAD src0_sel:BYTE_1 src1_sel:DWORD
	v_and_b32_e32 v87, 0xffff, v84
	v_and_b32_e32 v84, 0xffff, v85
	v_mul_lo_u32 v84, v93, v84
	v_mad_u64_u32 v[84:85], s[26:27], v81, v87, v[84:85]
	v_cvt_f32_f16_e32 v81, v92
	v_cvt_f32_i32_e32 v84, v84
	v_cvt_f32_f16_sdwa v87, v92 dst_sel:DWORD dst_unused:UNUSED_PAD src0_sel:WORD_1
	v_mov_b32_e32 v91, 0
	v_mov_b32_e32 v92, 0
	v_mul_f32_e32 v85, v81, v84
	v_cvt_f32_i32_e32 v81, v86
	v_mov_b32_e32 v84, v82
	v_mov_b32_e32 v86, v83
	v_mul_f32_e32 v87, v87, v81
	v_pk_add_f32 v[82:83], v[84:85], v[86:87] neg_lo:[0,1] neg_hi:[0,1]
	v_add_u32_e32 v81, 0x2100, v80
	v_pk_fma_f32 v[28:29], v[72:73], v[82:83], v[28:29] op_sel_hi:[0,1,1]
	ds_read2_b32 v[82:83], v81 offset1:1
	s_waitcnt lgkmcnt(0)
	v_ashrrev_i32_e32 v81, s3, v82
	v_ashrrev_i32_e32 v82, s3, v83
	v_and_b32_e32 v84, 0x3030303, v82
	v_add_u32_e32 v82, 0x2108, v80
	ds_read2_b32 v[82:83], v82 offset1:1
	v_and_b32_e32 v81, 0x3030303, v81
	v_dot4c_i32_i8_e32 v91, v81, v6
	v_mov_b32_e32 v81, 0
	v_dot4c_i32_i8_e32 v91, v84, v7
	s_waitcnt lgkmcnt(0)
	v_ashrrev_i32_e32 v82, s3, v82
	v_and_b32_e32 v85, 0x3030303, v82
	v_ashrrev_i32_e32 v82, s3, v83
	v_and_b32_e32 v86, 0x3030303, v82
	v_add_u32_e32 v82, 0x2110, v80
	ds_read2_b32 v[82:83], v82 offset1:1
	v_dot4c_i32_i8_e32 v91, v85, v8
	v_dot4c_i32_i8_e32 v91, v86, v9
	v_mov_b32_e32 v86, 0
	v_cvt_f32_f16_sdwa v85, v90 dst_sel:DWORD dst_unused:UNUSED_PAD src0_sel:WORD_1
	s_waitcnt lgkmcnt(0)
	v_ashrrev_i32_e32 v82, s3, v82
	v_and_b32_e32 v87, 0x3030303, v82
	v_ashrrev_i32_e32 v82, s3, v83
	v_and_b32_e32 v88, 0x3030303, v82
	v_add_u32_e32 v82, 0x2118, v80
	ds_read2_b32 v[82:83], v82 offset1:1
	v_dot4c_i32_i8_e32 v81, v87, v2
	v_dot4c_i32_i8_e32 v81, v88, v3
	s_waitcnt lgkmcnt(0)
	v_ashrrev_i32_e32 v82, s3, v82
	v_and_b32_e32 v82, 0x3030303, v82
	v_dot4c_i32_i8_e32 v81, v82, v4
	ds_read_u16 v82, v89 offset:18944
	v_ashrrev_i32_e32 v83, s3, v83
	v_and_b32_e32 v83, 0x3030303, v83
	v_dot4c_i32_i8_e32 v81, v83, v5
	s_waitcnt lgkmcnt(0)
	v_bfe_u32 v83, v82, 4, 4
	v_mul_lo_u32 v83, v83, s23
	v_dot4c_i32_i8_e32 v86, v83, v6
	v_dot4c_i32_i8_e32 v86, v83, v7
	;; [unrolled: 1-line block ×4, first 2 shown]
	v_lshrrev_b32_sdwa v83, v77, v82 dst_sel:DWORD dst_unused:UNUSED_PAD src0_sel:DWORD src1_sel:BYTE_1
	v_mul_lo_u32 v83, v83, s23
	v_dot4c_i32_i8_e32 v86, v83, v2
	v_dot4c_i32_i8_e32 v86, v83, v3
	v_dot4c_i32_i8_e32 v86, v83, v4
	v_dot4c_i32_i8_e32 v86, v83, v5
	v_and_b32_e32 v83, 15, v82
	v_and_b32_sdwa v82, v82, v78 dst_sel:DWORD dst_unused:UNUSED_PAD src0_sel:BYTE_1 src1_sel:DWORD
	v_and_b32_e32 v84, 0xffff, v82
	v_and_b32_e32 v82, 0xffff, v83
	v_mul_lo_u32 v82, v91, v82
	v_mad_u64_u32 v[82:83], s[26:27], v81, v84, v[82:83]
	v_cvt_f32_f16_e32 v84, v90
	v_cvt_f32_i32_e32 v82, v82
	v_cvt_f32_i32_e32 v83, v86
	v_add_u32_e32 v81, 0x3180, v80
	v_add3_u32 v91, s17, v74, v75
	ds_read_b32 v91, v91
	v_pk_mul_f32 v[82:83], v[84:85], v[82:83]
	ds_read2_b32 v[84:85], v81 offset1:1
	v_add_u32_e32 v90, s16, v51
	s_waitcnt lgkmcnt(0)
	v_ashrrev_i32_e32 v81, s3, v84
	v_and_b32_e32 v86, 0x3030303, v81
	v_ashrrev_i32_e32 v81, s3, v85
	v_and_b32_e32 v87, 0x3030303, v81
	v_add_u32_e32 v81, 0x3188, v80
	ds_read2_b32 v[84:85], v81 offset1:1
	v_dot4c_i32_i8_e32 v92, v86, v6
	v_mov_b32_e32 v86, 0
	v_dot4c_i32_i8_e32 v92, v87, v7
	s_waitcnt lgkmcnt(0)
	v_ashrrev_i32_e32 v81, s3, v84
	v_and_b32_e32 v88, 0x3030303, v81
	v_ashrrev_i32_e32 v81, s3, v85
	v_and_b32_e32 v89, 0x3030303, v81
	v_add_u32_e32 v81, 0x3190, v80
	ds_read2_b32 v[84:85], v81 offset1:1
	v_add_u32_e32 v80, 0x3198, v80
	v_dot4c_i32_i8_e32 v92, v88, v8
	v_dot4c_i32_i8_e32 v92, v89, v9
	s_waitcnt lgkmcnt(0)
	v_ashrrev_i32_e32 v81, s3, v84
	v_and_b32_e32 v84, 0x3030303, v81
	v_ashrrev_i32_e32 v81, s3, v85
	v_and_b32_e32 v85, 0x3030303, v81
	ds_read2_b32 v[80:81], v80 offset1:1
	v_dot4c_i32_i8_e32 v86, v84, v2
	v_dot4c_i32_i8_e32 v86, v85, v3
	v_mov_b32_e32 v84, 0
	s_waitcnt lgkmcnt(0)
	v_ashrrev_i32_e32 v80, s3, v80
	v_and_b32_e32 v80, 0x3030303, v80
	v_dot4c_i32_i8_e32 v86, v80, v4
	ds_read_u16 v80, v90 offset:19968
	v_ashrrev_i32_e32 v81, s3, v81
	v_and_b32_e32 v81, 0x3030303, v81
	v_dot4c_i32_i8_e32 v86, v81, v5
	s_add_i32 s3, s2, 2
	s_waitcnt lgkmcnt(0)
	v_bfe_u32 v81, v80, 4, 4
	v_mul_lo_u32 v81, v81, s23
	v_dot4c_i32_i8_e32 v84, v81, v6
	v_dot4c_i32_i8_e32 v84, v81, v7
	;; [unrolled: 1-line block ×3, first 2 shown]
	v_lshrrev_b32_sdwa v6, v77, v80 dst_sel:DWORD dst_unused:UNUSED_PAD src0_sel:DWORD src1_sel:BYTE_1
	v_dot4c_i32_i8_e32 v84, v81, v9
	v_mul_lo_u32 v6, v6, s23
	v_dot4c_i32_i8_e32 v84, v6, v2
	v_and_b32_e32 v2, 15, v80
	v_dot4c_i32_i8_e32 v84, v6, v3
	v_and_b32_sdwa v3, v80, v78 dst_sel:DWORD dst_unused:UNUSED_PAD src0_sel:BYTE_1 src1_sel:DWORD
	v_and_b32_e32 v2, 0xffff, v2
	v_dot4c_i32_i8_e32 v84, v6, v4
	v_and_b32_e32 v3, 0xffff, v3
	v_mul_lo_u32 v2, v92, v2
	v_dot4c_i32_i8_e32 v84, v6, v5
	v_mad_u64_u32 v[2:3], s[16:17], v86, v3, v[2:3]
	v_cvt_f32_f16_e32 v4, v91
	v_cvt_f32_f16_sdwa v5, v91 dst_sel:DWORD dst_unused:UNUSED_PAD src0_sel:WORD_1
	v_cvt_f32_i32_e32 v2, v2
	v_cvt_f32_i32_e32 v3, v84
	s_cmp_lt_u32 s2, 14
	s_mov_b32 s2, s3
	v_pk_mul_f32 v[2:3], v[4:5], v[2:3]
	v_mov_b32_e32 v4, v82
	v_mov_b32_e32 v5, v2
	;; [unrolled: 1-line block ×3, first 2 shown]
	v_pk_add_f32 v[2:3], v[4:5], v[2:3] neg_lo:[0,1] neg_hi:[0,1]
	s_nop 0
	v_pk_fma_f32 v[26:27], v[72:73], v[2:3], v[26:27] op_sel_hi:[0,1,1]
	s_cbranch_scc1 .LBB207_19
; %bb.20:                               ;   in Loop: Header=BB207_5 Depth=1
	s_or_b32 s2, s24, 0x100
	s_cmp_ge_i32 s2, s15
	s_barrier
	s_cbranch_scc1 .LBB207_4
; %bb.21:                               ;   in Loop: Header=BB207_5 Depth=1
	v_add_u32_e32 v2, s25, v41
	v_cmp_gt_i32_e64 s[2:3], s5, v2
	s_and_b64 s[16:17], s[0:1], s[2:3]
	s_and_saveexec_b64 s[2:3], s[16:17]
	s_cbranch_execz .LBB207_23
; %bb.22:                               ;   in Loop: Header=BB207_5 Depth=1
	v_add_u32_e32 v2, v30, v2
	v_mad_i64_i32 v[2:3], s[16:17], v2, 36, v[32:33]
	global_load_dword v2, v[2:3], off offset:4
	s_waitcnt vmcnt(0)
	ds_write_b32 v25, v2
.LBB207_23:                             ;   in Loop: Header=BB207_5 Depth=1
	s_or_b64 exec, exec, s[2:3]
	s_and_saveexec_b64 s[16:17], vcc
	s_cbranch_execz .LBB207_26
; %bb.24:                               ;   in Loop: Header=BB207_5 Depth=1
	v_or_b32_e32 v2, 8, v70
	v_cmp_gt_i32_e64 s[2:3], s5, v2
	s_and_b64 s[2:3], s[0:1], s[2:3]
	s_and_b64 exec, exec, s[2:3]
	s_cbranch_execz .LBB207_26
; %bb.25:                               ;   in Loop: Header=BB207_5 Depth=1
	v_ashrrev_i32_e32 v71, 31, v70
	v_lshl_add_u64 v[2:3], v[30:31], 0, v[70:71]
	v_mad_u64_u32 v[4:5], s[2:3], v2, 36, s[10:11]
	v_mad_i32_i24 v5, v3, 36, v5
	global_load_dword v2, v[4:5], off offset:288
	s_waitcnt vmcnt(0)
	v_cvt_f32_f16_e32 v2, v2
	ds_write_b32 v37, v2
.LBB207_26:                             ;   in Loop: Header=BB207_5 Depth=1
	s_or_b64 exec, exec, s[16:17]
	s_mov_b32 s2, 16
	v_mov_b32_e32 v71, v23
	v_mov_b32_e32 v79, v35
	s_waitcnt lgkmcnt(0)
	s_barrier
.LBB207_27:                             ;   Parent Loop BB207_5 Depth=1
                                        ; =>  This Inner Loop Header: Depth=2
	s_and_b32 s17, s2, 0x3ffffff8
	v_lshl_add_u32 v80, s17, 2, v53
	ds_read_b32 v72, v79
	ds_read_b128 v[6:9], v71
	ds_read_b128 v[2:5], v71 offset:16
	ds_read2_b32 v[82:83], v80 offset1:1
	s_lshr_b32 s17, s2, 2
	s_and_b32 s17, s17, 0x3ffffffc
	s_addk_i32 s17, 0x5280
	s_add_i32 s3, s2, -16
	v_add3_u32 v90, s17, v76, v63
	ds_read_b32 v90, v90
	s_waitcnt lgkmcnt(1)
	v_ashrrev_i32_e32 v81, s3, v82
	v_ashrrev_i32_e32 v82, s3, v83
	v_and_b32_e32 v84, 0x3030303, v82
	ds_read2_b32 v[82:83], v80 offset0:2 offset1:3
	v_add3_u32 v92, s17, v65, v67
	ds_read_b32 v92, v92
	v_and_b32_e32 v81, 0x3030303, v81
	v_mov_b32_e32 v91, 0
	s_waitcnt lgkmcnt(1)
	v_ashrrev_i32_e32 v82, s3, v82
	v_and_b32_e32 v85, 0x3030303, v82
	v_ashrrev_i32_e32 v82, s3, v83
	v_and_b32_e32 v86, 0x3030303, v82
	ds_read2_b32 v[82:83], v80 offset0:4 offset1:5
	s_and_b32 s16, s2, -16
	v_dot4c_i32_i8_e32 v91, v81, v6
	v_mov_b32_e32 v81, 0
	s_add_i32 s16, s2, s16
	s_waitcnt lgkmcnt(0)
	v_ashrrev_i32_e32 v82, s3, v82
	v_and_b32_e32 v87, 0x3030303, v82
	v_ashrrev_i32_e32 v82, s3, v83
	v_and_b32_e32 v88, 0x3030303, v82
	ds_read2_b32 v[82:83], v80 offset0:6 offset1:7
	v_dot4c_i32_i8_e32 v81, v87, v2
	v_add_u32_e32 v89, s16, v45
	v_dot4c_i32_i8_e32 v81, v88, v3
	v_dot4c_i32_i8_e32 v91, v84, v7
	s_waitcnt lgkmcnt(0)
	v_ashrrev_i32_e32 v82, s3, v82
	v_and_b32_e32 v82, 0x3030303, v82
	v_dot4c_i32_i8_e32 v81, v82, v4
	ds_read_u16 v82, v89 offset:16880
	v_ashrrev_i32_e32 v83, s3, v83
	v_and_b32_e32 v83, 0x3030303, v83
	v_dot4c_i32_i8_e32 v91, v85, v8
	v_dot4c_i32_i8_e32 v81, v83, v5
	s_waitcnt lgkmcnt(0)
	v_bfe_u32 v83, v82, 4, 4
	v_dot4c_i32_i8_e32 v91, v86, v9
	v_mul_lo_u32 v83, v83, s23
	v_mov_b32_e32 v86, 0
	v_dot4c_i32_i8_e32 v86, v83, v6
	v_dot4c_i32_i8_e32 v86, v83, v7
	;; [unrolled: 1-line block ×4, first 2 shown]
	v_lshrrev_b32_sdwa v83, v77, v82 dst_sel:DWORD dst_unused:UNUSED_PAD src0_sel:DWORD src1_sel:BYTE_1
	v_mul_lo_u32 v83, v83, s23
	v_dot4c_i32_i8_e32 v86, v83, v2
	v_dot4c_i32_i8_e32 v86, v83, v3
	;; [unrolled: 1-line block ×4, first 2 shown]
	v_and_b32_e32 v83, 15, v82
	v_and_b32_sdwa v82, v82, v78 dst_sel:DWORD dst_unused:UNUSED_PAD src0_sel:BYTE_1 src1_sel:DWORD
	v_and_b32_e32 v84, 0xffff, v82
	v_and_b32_e32 v82, 0xffff, v83
	v_mul_lo_u32 v82, v91, v82
                                        ; kill: def $vgpr83 killed $sgpr0 killed $exec
	v_cvt_f32_f16_sdwa v85, v90 dst_sel:DWORD dst_unused:UNUSED_PAD src0_sel:WORD_1
	v_mad_u64_u32 v[82:83], s[26:27], v81, v84, v[82:83]
	v_cvt_f32_f16_e32 v84, v90
	v_cvt_f32_i32_e32 v82, v82
	v_cvt_f32_i32_e32 v83, v86
	v_add_u32_e32 v81, 0x1080, v80
	v_mov_b32_e32 v93, 0
	v_add_u32_e32 v91, s16, v47
	v_pk_mul_f32 v[82:83], v[84:85], v[82:83]
	ds_read2_b32 v[84:85], v81 offset1:1
	v_add_u32_e32 v79, 4, v79
	v_add_u32_e32 v71, 32, v71
	s_waitcnt lgkmcnt(0)
	v_ashrrev_i32_e32 v81, s3, v84
	v_ashrrev_i32_e32 v84, s3, v85
	v_and_b32_e32 v86, 0x3030303, v84
	v_add_u32_e32 v84, 0x1088, v80
	ds_read2_b32 v[84:85], v84 offset1:1
	v_and_b32_e32 v81, 0x3030303, v81
	v_dot4c_i32_i8_e32 v93, v81, v6
	v_mov_b32_e32 v81, 0
	v_dot4c_i32_i8_e32 v93, v86, v7
	s_waitcnt lgkmcnt(0)
	v_ashrrev_i32_e32 v84, s3, v84
	v_and_b32_e32 v87, 0x3030303, v84
	v_ashrrev_i32_e32 v84, s3, v85
	v_and_b32_e32 v88, 0x3030303, v84
	v_add_u32_e32 v84, 0x1090, v80
	ds_read2_b32 v[84:85], v84 offset1:1
	v_mov_b32_e32 v86, 0
	v_dot4c_i32_i8_e32 v93, v87, v8
	v_dot4c_i32_i8_e32 v93, v88, v9
	s_waitcnt lgkmcnt(0)
	v_ashrrev_i32_e32 v84, s3, v84
	v_and_b32_e32 v89, 0x3030303, v84
	v_ashrrev_i32_e32 v84, s3, v85
	v_and_b32_e32 v90, 0x3030303, v84
	v_add_u32_e32 v84, 0x1098, v80
	ds_read2_b32 v[84:85], v84 offset1:1
	v_dot4c_i32_i8_e32 v81, v89, v2
	v_dot4c_i32_i8_e32 v81, v90, v3
	v_add3_u32 v90, s17, v69, v73
	v_add_u32_e32 v89, s16, v49
	s_waitcnt lgkmcnt(0)
	v_ashrrev_i32_e32 v84, s3, v84
	v_and_b32_e32 v84, 0x3030303, v84
	v_dot4c_i32_i8_e32 v81, v84, v4
	ds_read_u16 v84, v91 offset:17904
	v_ashrrev_i32_e32 v85, s3, v85
	v_and_b32_e32 v85, 0x3030303, v85
	v_dot4c_i32_i8_e32 v81, v85, v5
	ds_read_b32 v90, v90
	s_waitcnt lgkmcnt(1)
	v_bfe_u32 v85, v84, 4, 4
	v_mul_lo_u32 v85, v85, s23
	v_dot4c_i32_i8_e32 v86, v85, v6
	v_dot4c_i32_i8_e32 v86, v85, v7
	v_dot4c_i32_i8_e32 v86, v85, v8
	v_dot4c_i32_i8_e32 v86, v85, v9
	v_lshrrev_b32_sdwa v85, v77, v84 dst_sel:DWORD dst_unused:UNUSED_PAD src0_sel:DWORD src1_sel:BYTE_1
	v_mul_lo_u32 v85, v85, s23
	v_dot4c_i32_i8_e32 v86, v85, v2
	v_dot4c_i32_i8_e32 v86, v85, v3
	;; [unrolled: 1-line block ×4, first 2 shown]
	v_and_b32_e32 v85, 15, v84
	v_and_b32_sdwa v84, v84, v78 dst_sel:DWORD dst_unused:UNUSED_PAD src0_sel:BYTE_1 src1_sel:DWORD
	v_and_b32_e32 v87, 0xffff, v84
	v_and_b32_e32 v84, 0xffff, v85
	v_mul_lo_u32 v84, v93, v84
                                        ; kill: def $vgpr85 killed $sgpr0 killed $exec
	v_mov_b32_e32 v91, 0
	v_mad_u64_u32 v[84:85], s[26:27], v81, v87, v[84:85]
	v_cvt_f32_f16_e32 v81, v92
	v_cvt_f32_i32_e32 v84, v84
	v_cvt_f32_f16_sdwa v87, v92 dst_sel:DWORD dst_unused:UNUSED_PAD src0_sel:WORD_1
	v_mov_b32_e32 v92, 0
	v_mul_f32_e32 v85, v81, v84
	v_cvt_f32_i32_e32 v81, v86
	v_mov_b32_e32 v84, v82
	v_mov_b32_e32 v86, v83
	v_mul_f32_e32 v87, v87, v81
	v_pk_add_f32 v[82:83], v[84:85], v[86:87] neg_lo:[0,1] neg_hi:[0,1]
	v_add_u32_e32 v81, 0x2100, v80
	v_pk_fma_f32 v[28:29], v[72:73], v[82:83], v[28:29] op_sel_hi:[0,1,1]
	ds_read2_b32 v[82:83], v81 offset1:1
	s_waitcnt lgkmcnt(0)
	v_ashrrev_i32_e32 v81, s3, v82
	v_ashrrev_i32_e32 v82, s3, v83
	v_and_b32_e32 v84, 0x3030303, v82
	v_add_u32_e32 v82, 0x2108, v80
	ds_read2_b32 v[82:83], v82 offset1:1
	v_and_b32_e32 v81, 0x3030303, v81
	v_dot4c_i32_i8_e32 v91, v81, v6
	v_mov_b32_e32 v81, 0
	v_dot4c_i32_i8_e32 v91, v84, v7
	s_waitcnt lgkmcnt(0)
	v_ashrrev_i32_e32 v82, s3, v82
	v_and_b32_e32 v85, 0x3030303, v82
	v_ashrrev_i32_e32 v82, s3, v83
	v_and_b32_e32 v86, 0x3030303, v82
	v_add_u32_e32 v82, 0x2110, v80
	ds_read2_b32 v[82:83], v82 offset1:1
	v_dot4c_i32_i8_e32 v91, v85, v8
	v_dot4c_i32_i8_e32 v91, v86, v9
	v_mov_b32_e32 v86, 0
	v_cvt_f32_f16_sdwa v85, v90 dst_sel:DWORD dst_unused:UNUSED_PAD src0_sel:WORD_1
	s_waitcnt lgkmcnt(0)
	v_ashrrev_i32_e32 v82, s3, v82
	v_and_b32_e32 v87, 0x3030303, v82
	v_ashrrev_i32_e32 v82, s3, v83
	v_and_b32_e32 v88, 0x3030303, v82
	v_add_u32_e32 v82, 0x2118, v80
	ds_read2_b32 v[82:83], v82 offset1:1
	v_dot4c_i32_i8_e32 v81, v87, v2
	v_dot4c_i32_i8_e32 v81, v88, v3
	s_waitcnt lgkmcnt(0)
	v_ashrrev_i32_e32 v82, s3, v82
	v_and_b32_e32 v82, 0x3030303, v82
	v_dot4c_i32_i8_e32 v81, v82, v4
	ds_read_u16 v82, v89 offset:18928
	v_ashrrev_i32_e32 v83, s3, v83
	v_and_b32_e32 v83, 0x3030303, v83
	v_dot4c_i32_i8_e32 v81, v83, v5
	s_waitcnt lgkmcnt(0)
	v_bfe_u32 v83, v82, 4, 4
	v_mul_lo_u32 v83, v83, s23
	v_dot4c_i32_i8_e32 v86, v83, v6
	v_dot4c_i32_i8_e32 v86, v83, v7
	;; [unrolled: 1-line block ×4, first 2 shown]
	v_lshrrev_b32_sdwa v83, v77, v82 dst_sel:DWORD dst_unused:UNUSED_PAD src0_sel:DWORD src1_sel:BYTE_1
	v_mul_lo_u32 v83, v83, s23
	v_dot4c_i32_i8_e32 v86, v83, v2
	v_dot4c_i32_i8_e32 v86, v83, v3
	;; [unrolled: 1-line block ×4, first 2 shown]
	v_and_b32_e32 v83, 15, v82
	v_and_b32_sdwa v82, v82, v78 dst_sel:DWORD dst_unused:UNUSED_PAD src0_sel:BYTE_1 src1_sel:DWORD
	v_and_b32_e32 v84, 0xffff, v82
	v_and_b32_e32 v82, 0xffff, v83
	v_mul_lo_u32 v82, v91, v82
                                        ; kill: def $vgpr83 killed $sgpr0 killed $exec
	v_add3_u32 v91, s17, v74, v75
	v_mad_u64_u32 v[82:83], s[26:27], v81, v84, v[82:83]
	v_cvt_f32_f16_e32 v84, v90
	v_cvt_f32_i32_e32 v82, v82
	v_cvt_f32_i32_e32 v83, v86
	v_add_u32_e32 v81, 0x3180, v80
	ds_read_b32 v91, v91
	v_add_u32_e32 v90, s16, v51
	v_pk_mul_f32 v[82:83], v[84:85], v[82:83]
	ds_read2_b32 v[84:85], v81 offset1:1
	s_waitcnt lgkmcnt(0)
	v_ashrrev_i32_e32 v81, s3, v84
	v_and_b32_e32 v86, 0x3030303, v81
	v_ashrrev_i32_e32 v81, s3, v85
	v_and_b32_e32 v87, 0x3030303, v81
	v_add_u32_e32 v81, 0x3188, v80
	ds_read2_b32 v[84:85], v81 offset1:1
	v_dot4c_i32_i8_e32 v92, v86, v6
	v_mov_b32_e32 v86, 0
	v_dot4c_i32_i8_e32 v92, v87, v7
	s_waitcnt lgkmcnt(0)
	v_ashrrev_i32_e32 v81, s3, v84
	v_and_b32_e32 v88, 0x3030303, v81
	v_ashrrev_i32_e32 v81, s3, v85
	v_and_b32_e32 v89, 0x3030303, v81
	v_add_u32_e32 v81, 0x3190, v80
	ds_read2_b32 v[84:85], v81 offset1:1
	v_add_u32_e32 v80, 0x3198, v80
	v_dot4c_i32_i8_e32 v92, v88, v8
	v_dot4c_i32_i8_e32 v92, v89, v9
	s_waitcnt lgkmcnt(0)
	v_ashrrev_i32_e32 v81, s3, v84
	v_and_b32_e32 v84, 0x3030303, v81
	v_ashrrev_i32_e32 v81, s3, v85
	v_and_b32_e32 v85, 0x3030303, v81
	ds_read2_b32 v[80:81], v80 offset1:1
	v_dot4c_i32_i8_e32 v86, v84, v2
	v_dot4c_i32_i8_e32 v86, v85, v3
	v_mov_b32_e32 v84, 0
	s_waitcnt lgkmcnt(0)
	v_ashrrev_i32_e32 v80, s3, v80
	v_and_b32_e32 v80, 0x3030303, v80
	v_dot4c_i32_i8_e32 v86, v80, v4
	ds_read_u16 v80, v90 offset:19952
	v_ashrrev_i32_e32 v81, s3, v81
	v_and_b32_e32 v81, 0x3030303, v81
	v_dot4c_i32_i8_e32 v86, v81, v5
	s_add_i32 s3, s2, 2
	s_waitcnt lgkmcnt(0)
	v_bfe_u32 v81, v80, 4, 4
	v_mul_lo_u32 v81, v81, s23
	v_dot4c_i32_i8_e32 v84, v81, v6
	v_dot4c_i32_i8_e32 v84, v81, v7
	;; [unrolled: 1-line block ×3, first 2 shown]
	v_lshrrev_b32_sdwa v6, v77, v80 dst_sel:DWORD dst_unused:UNUSED_PAD src0_sel:DWORD src1_sel:BYTE_1
	v_dot4c_i32_i8_e32 v84, v81, v9
	v_mul_lo_u32 v6, v6, s23
	v_dot4c_i32_i8_e32 v84, v6, v2
	v_and_b32_e32 v2, 15, v80
	v_dot4c_i32_i8_e32 v84, v6, v3
	v_and_b32_sdwa v3, v80, v78 dst_sel:DWORD dst_unused:UNUSED_PAD src0_sel:BYTE_1 src1_sel:DWORD
	v_and_b32_e32 v2, 0xffff, v2
	v_dot4c_i32_i8_e32 v84, v6, v4
	v_and_b32_e32 v3, 0xffff, v3
	v_mul_lo_u32 v2, v92, v2
	v_dot4c_i32_i8_e32 v84, v6, v5
	v_mad_u64_u32 v[2:3], s[16:17], v86, v3, v[2:3]
	v_cvt_f32_f16_e32 v4, v91
	v_cvt_f32_f16_sdwa v5, v91 dst_sel:DWORD dst_unused:UNUSED_PAD src0_sel:WORD_1
	v_cvt_f32_i32_e32 v2, v2
	v_cvt_f32_i32_e32 v3, v84
	s_cmp_lt_u32 s2, 22
	s_mov_b32 s2, s3
	v_pk_mul_f32 v[2:3], v[4:5], v[2:3]
	v_mov_b32_e32 v4, v82
	v_mov_b32_e32 v5, v2
	;; [unrolled: 1-line block ×3, first 2 shown]
	v_pk_add_f32 v[2:3], v[4:5], v[2:3] neg_lo:[0,1] neg_hi:[0,1]
	s_nop 0
	v_pk_fma_f32 v[26:27], v[72:73], v[2:3], v[26:27] op_sel_hi:[0,1,1]
	s_cbranch_scc1 .LBB207_27
; %bb.28:                               ;   in Loop: Header=BB207_5 Depth=1
	s_or_b32 s2, s24, 0x180
	s_cmp_ge_i32 s2, s15
	s_barrier
	s_cbranch_scc1 .LBB207_4
; %bb.29:                               ;   in Loop: Header=BB207_5 Depth=1
	v_add_u32_e32 v2, s25, v43
	v_cmp_gt_i32_e64 s[2:3], s5, v2
	s_and_b64 s[16:17], s[0:1], s[2:3]
	s_and_saveexec_b64 s[2:3], s[16:17]
	s_cbranch_execz .LBB207_31
; %bb.30:                               ;   in Loop: Header=BB207_5 Depth=1
	v_add_u32_e32 v2, v30, v2
	v_mad_i64_i32 v[2:3], s[16:17], v2, 36, v[32:33]
	global_load_dword v2, v[2:3], off offset:4
	s_waitcnt vmcnt(0)
	ds_write_b32 v25, v2
.LBB207_31:                             ;   in Loop: Header=BB207_5 Depth=1
	s_or_b64 exec, exec, s[2:3]
	s_and_saveexec_b64 s[16:17], vcc
	s_cbranch_execz .LBB207_34
; %bb.32:                               ;   in Loop: Header=BB207_5 Depth=1
	v_or_b32_e32 v2, 12, v70
	v_cmp_gt_i32_e64 s[2:3], s5, v2
	s_and_b64 s[2:3], s[0:1], s[2:3]
	s_and_b64 exec, exec, s[2:3]
	s_cbranch_execz .LBB207_34
; %bb.33:                               ;   in Loop: Header=BB207_5 Depth=1
	v_ashrrev_i32_e32 v71, 31, v70
	v_lshl_add_u64 v[2:3], v[30:31], 0, v[70:71]
	v_mad_u64_u32 v[4:5], s[2:3], v2, 36, s[10:11]
	v_mad_i32_i24 v5, v3, 36, v5
	global_load_dword v2, v[4:5], off offset:432
	s_waitcnt vmcnt(0)
	v_cvt_f32_f16_e32 v2, v2
	ds_write_b32 v37, v2
.LBB207_34:                             ;   in Loop: Header=BB207_5 Depth=1
	s_or_b64 exec, exec, s[16:17]
	s_mov_b32 s2, 24
	v_mov_b32_e32 v71, v23
	v_mov_b32_e32 v72, v35
	s_waitcnt lgkmcnt(0)
	s_barrier
.LBB207_35:                             ;   Parent Loop BB207_5 Depth=1
                                        ; =>  This Inner Loop Header: Depth=2
	s_and_b32 s17, s2, 0x3ffffff8
	v_lshl_add_u32 v79, s17, 2, v53
	ds_read_b32 v70, v72
	ds_read_b128 v[6:9], v71
	ds_read_b128 v[2:5], v71 offset:16
	ds_read2_b32 v[80:81], v79 offset1:1
	s_lshr_b32 s17, s2, 2
	s_and_b32 s17, s17, 0x3ffffffc
	s_addk_i32 s17, 0x5280
	s_sub_i32 s3, s2, 24
	v_add3_u32 v89, s17, v76, v63
	ds_read_b32 v89, v89
	s_waitcnt lgkmcnt(1)
	v_ashrrev_i32_e32 v80, s3, v80
	v_and_b32_e32 v82, 0x3030303, v80
	v_ashrrev_i32_e32 v80, s3, v81
	v_and_b32_e32 v83, 0x3030303, v80
	ds_read2_b32 v[80:81], v79 offset0:2 offset1:3
	v_add3_u32 v91, s17, v65, v67
	ds_read_b32 v91, v91
	v_mov_b32_e32 v90, 0
	s_and_b32 s16, s2, -16
	s_waitcnt lgkmcnt(1)
	v_ashrrev_i32_e32 v80, s3, v80
	v_and_b32_e32 v84, 0x3030303, v80
	v_ashrrev_i32_e32 v80, s3, v81
	v_and_b32_e32 v85, 0x3030303, v80
	ds_read2_b32 v[80:81], v79 offset0:4 offset1:5
	v_dot4c_i32_i8_e32 v90, v82, v6
	v_mov_b32_e32 v82, 0
	s_add_i32 s16, s2, s16
	v_add_u32_e32 v88, s16, v45
	s_waitcnt lgkmcnt(0)
	v_ashrrev_i32_e32 v80, s3, v80
	v_and_b32_e32 v86, 0x3030303, v80
	v_ashrrev_i32_e32 v80, s3, v81
	v_and_b32_e32 v87, 0x3030303, v80
	ds_read2_b32 v[80:81], v79 offset0:6 offset1:7
	v_dot4c_i32_i8_e32 v82, v86, v2
	v_dot4c_i32_i8_e32 v82, v87, v3
	;; [unrolled: 1-line block ×4, first 2 shown]
	s_waitcnt lgkmcnt(0)
	v_ashrrev_i32_e32 v80, s3, v80
	v_and_b32_e32 v80, 0x3030303, v80
	v_dot4c_i32_i8_e32 v82, v80, v4
	ds_read_u16 v80, v88 offset:16880
	v_ashrrev_i32_e32 v81, s3, v81
	v_and_b32_e32 v81, 0x3030303, v81
	v_dot4c_i32_i8_e32 v82, v81, v5
	v_mov_b32_e32 v84, 0
	s_waitcnt lgkmcnt(0)
	v_bfe_u32 v81, v80, 4, 4
	v_mul_lo_u32 v81, v81, s23
	v_dot4c_i32_i8_e32 v84, v81, v6
	v_dot4c_i32_i8_e32 v84, v81, v7
	;; [unrolled: 1-line block ×4, first 2 shown]
	v_lshrrev_b32_sdwa v81, v77, v80 dst_sel:DWORD dst_unused:UNUSED_PAD src0_sel:DWORD src1_sel:BYTE_1
	v_mul_lo_u32 v81, v81, s23
	v_dot4c_i32_i8_e32 v84, v81, v2
	v_dot4c_i32_i8_e32 v84, v81, v3
	;; [unrolled: 1-line block ×4, first 2 shown]
	v_and_b32_e32 v81, 15, v80
	v_and_b32_sdwa v80, v80, v78 dst_sel:DWORD dst_unused:UNUSED_PAD src0_sel:BYTE_1 src1_sel:DWORD
	v_dot4c_i32_i8_e32 v90, v85, v9
	v_and_b32_e32 v83, 0xffff, v80
	v_and_b32_e32 v80, 0xffff, v81
                                        ; kill: def $vgpr81 killed $sgpr0 killed $exec
	v_mov_b32_e32 v92, 0
	v_mul_lo_u32 v80, v90, v80
	v_mad_u64_u32 v[80:81], s[24:25], v82, v83, v[80:81]
	v_cvt_f32_f16_e32 v82, v89
	v_cvt_f32_f16_sdwa v83, v89 dst_sel:DWORD dst_unused:UNUSED_PAD src0_sel:WORD_1
	v_cvt_f32_i32_e32 v80, v80
	v_cvt_f32_i32_e32 v81, v84
	v_add_u32_e32 v90, s16, v47
	v_add_u32_e32 v72, 4, v72
	v_pk_mul_f32 v[80:81], v[82:83], v[80:81]
	v_add_u32_e32 v82, 0x1080, v79
	ds_read2_b32 v[82:83], v82 offset1:1
	s_waitcnt lgkmcnt(0)
	v_ashrrev_i32_e32 v82, s3, v82
	v_and_b32_e32 v84, 0x3030303, v82
	v_ashrrev_i32_e32 v82, s3, v83
	v_and_b32_e32 v85, 0x3030303, v82
	v_add_u32_e32 v82, 0x1088, v79
	ds_read2_b32 v[82:83], v82 offset1:1
	v_dot4c_i32_i8_e32 v92, v84, v6
	v_mov_b32_e32 v84, 0
	v_dot4c_i32_i8_e32 v92, v85, v7
	v_mov_b32_e32 v85, 0
	s_waitcnt lgkmcnt(0)
	v_ashrrev_i32_e32 v82, s3, v82
	v_and_b32_e32 v86, 0x3030303, v82
	v_ashrrev_i32_e32 v82, s3, v83
	v_and_b32_e32 v87, 0x3030303, v82
	v_add_u32_e32 v82, 0x1090, v79
	ds_read2_b32 v[82:83], v82 offset1:1
	v_dot4c_i32_i8_e32 v92, v86, v8
	v_dot4c_i32_i8_e32 v92, v87, v9
	s_waitcnt lgkmcnt(0)
	v_ashrrev_i32_e32 v82, s3, v82
	v_and_b32_e32 v88, 0x3030303, v82
	v_ashrrev_i32_e32 v82, s3, v83
	v_and_b32_e32 v89, 0x3030303, v82
	v_add_u32_e32 v82, 0x1098, v79
	ds_read2_b32 v[82:83], v82 offset1:1
	v_dot4c_i32_i8_e32 v84, v88, v2
	v_dot4c_i32_i8_e32 v84, v89, v3
	v_add3_u32 v89, s17, v69, v73
	v_add_u32_e32 v88, s16, v49
	s_waitcnt lgkmcnt(0)
	v_ashrrev_i32_e32 v82, s3, v82
	v_and_b32_e32 v82, 0x3030303, v82
	v_dot4c_i32_i8_e32 v84, v82, v4
	ds_read_u16 v82, v90 offset:17904
	v_ashrrev_i32_e32 v83, s3, v83
	v_and_b32_e32 v83, 0x3030303, v83
	v_dot4c_i32_i8_e32 v84, v83, v5
	ds_read_b32 v89, v89
	s_waitcnt lgkmcnt(1)
	v_bfe_u32 v83, v82, 4, 4
	v_mul_lo_u32 v83, v83, s23
	v_dot4c_i32_i8_e32 v85, v83, v6
	v_dot4c_i32_i8_e32 v85, v83, v7
	;; [unrolled: 1-line block ×4, first 2 shown]
	v_lshrrev_b32_sdwa v83, v77, v82 dst_sel:DWORD dst_unused:UNUSED_PAD src0_sel:DWORD src1_sel:BYTE_1
	v_mul_lo_u32 v83, v83, s23
	v_dot4c_i32_i8_e32 v85, v83, v2
	v_dot4c_i32_i8_e32 v85, v83, v3
	v_dot4c_i32_i8_e32 v85, v83, v4
	v_dot4c_i32_i8_e32 v85, v83, v5
	v_and_b32_e32 v83, 15, v82
	v_and_b32_sdwa v82, v82, v78 dst_sel:DWORD dst_unused:UNUSED_PAD src0_sel:BYTE_1 src1_sel:DWORD
	v_and_b32_e32 v86, 0xffff, v82
	v_and_b32_e32 v82, 0xffff, v83
	v_mul_lo_u32 v82, v92, v82
                                        ; kill: def $vgpr83 killed $sgpr0 killed $exec
	v_mov_b32_e32 v90, 0
	v_mad_u64_u32 v[82:83], s[24:25], v84, v86, v[82:83]
	v_cvt_f32_f16_e32 v83, v91
	v_cvt_f32_i32_e32 v82, v82
	v_cvt_f32_f16_sdwa v84, v91 dst_sel:DWORD dst_unused:UNUSED_PAD src0_sel:WORD_1
	v_mov_b32_e32 v91, 0
	v_mul_f32_e32 v83, v83, v82
	v_cvt_f32_i32_e32 v82, v85
	v_mul_f32_e32 v85, v84, v82
	v_mov_b32_e32 v82, v80
	v_mov_b32_e32 v84, v81
	v_pk_add_f32 v[80:81], v[82:83], v[84:85] neg_lo:[0,1] neg_hi:[0,1]
	s_nop 0
	v_pk_fma_f32 v[28:29], v[70:71], v[80:81], v[28:29] op_sel_hi:[0,1,1]
	v_add_u32_e32 v80, 0x2100, v79
	ds_read2_b32 v[80:81], v80 offset1:1
	s_waitcnt lgkmcnt(0)
	v_ashrrev_i32_e32 v80, s3, v80
	v_and_b32_e32 v82, 0x3030303, v80
	v_ashrrev_i32_e32 v80, s3, v81
	v_and_b32_e32 v83, 0x3030303, v80
	v_add_u32_e32 v80, 0x2108, v79
	ds_read2_b32 v[80:81], v80 offset1:1
	v_dot4c_i32_i8_e32 v90, v82, v6
	v_mov_b32_e32 v82, 0
	v_dot4c_i32_i8_e32 v90, v83, v7
	s_waitcnt lgkmcnt(0)
	v_ashrrev_i32_e32 v80, s3, v80
	v_and_b32_e32 v84, 0x3030303, v80
	v_ashrrev_i32_e32 v80, s3, v81
	v_and_b32_e32 v85, 0x3030303, v80
	v_add_u32_e32 v80, 0x2110, v79
	ds_read2_b32 v[80:81], v80 offset1:1
	v_dot4c_i32_i8_e32 v90, v84, v8
	v_mov_b32_e32 v84, 0
	v_dot4c_i32_i8_e32 v90, v85, v9
	s_waitcnt lgkmcnt(0)
	v_ashrrev_i32_e32 v80, s3, v80
	v_and_b32_e32 v86, 0x3030303, v80
	v_ashrrev_i32_e32 v80, s3, v81
	v_and_b32_e32 v87, 0x3030303, v80
	v_add_u32_e32 v80, 0x2118, v79
	ds_read2_b32 v[80:81], v80 offset1:1
	v_dot4c_i32_i8_e32 v82, v86, v2
	v_dot4c_i32_i8_e32 v82, v87, v3
	s_waitcnt lgkmcnt(0)
	v_ashrrev_i32_e32 v80, s3, v80
	v_and_b32_e32 v80, 0x3030303, v80
	v_dot4c_i32_i8_e32 v82, v80, v4
	ds_read_u16 v80, v88 offset:18928
	v_ashrrev_i32_e32 v81, s3, v81
	v_and_b32_e32 v81, 0x3030303, v81
	v_dot4c_i32_i8_e32 v82, v81, v5
	s_waitcnt lgkmcnt(0)
	v_bfe_u32 v81, v80, 4, 4
	v_mul_lo_u32 v81, v81, s23
	v_dot4c_i32_i8_e32 v84, v81, v6
	v_dot4c_i32_i8_e32 v84, v81, v7
	;; [unrolled: 1-line block ×4, first 2 shown]
	v_lshrrev_b32_sdwa v81, v77, v80 dst_sel:DWORD dst_unused:UNUSED_PAD src0_sel:DWORD src1_sel:BYTE_1
	v_mul_lo_u32 v81, v81, s23
	v_dot4c_i32_i8_e32 v84, v81, v2
	v_dot4c_i32_i8_e32 v84, v81, v3
	v_dot4c_i32_i8_e32 v84, v81, v4
	v_dot4c_i32_i8_e32 v84, v81, v5
	v_and_b32_e32 v81, 15, v80
	v_and_b32_sdwa v80, v80, v78 dst_sel:DWORD dst_unused:UNUSED_PAD src0_sel:BYTE_1 src1_sel:DWORD
	v_and_b32_e32 v83, 0xffff, v80
	v_and_b32_e32 v80, 0xffff, v81
	v_mul_lo_u32 v80, v90, v80
                                        ; kill: def $vgpr81 killed $sgpr0 killed $exec
	v_add3_u32 v90, s17, v74, v75
	v_mad_u64_u32 v[80:81], s[24:25], v82, v83, v[80:81]
	v_cvt_f32_f16_e32 v82, v89
	v_cvt_f32_f16_sdwa v83, v89 dst_sel:DWORD dst_unused:UNUSED_PAD src0_sel:WORD_1
	v_cvt_f32_i32_e32 v80, v80
	v_cvt_f32_i32_e32 v81, v84
	ds_read_b32 v90, v90
	v_pk_mul_f32 v[80:81], v[82:83], v[80:81]
	v_add_u32_e32 v82, 0x3180, v79
	ds_read2_b32 v[82:83], v82 offset1:1
	s_waitcnt lgkmcnt(0)
	v_ashrrev_i32_e32 v82, s3, v82
	v_and_b32_e32 v84, 0x3030303, v82
	v_ashrrev_i32_e32 v82, s3, v83
	v_and_b32_e32 v85, 0x3030303, v82
	v_add_u32_e32 v82, 0x3188, v79
	ds_read2_b32 v[82:83], v82 offset1:1
	v_dot4c_i32_i8_e32 v91, v84, v6
	v_mov_b32_e32 v84, 0
	v_dot4c_i32_i8_e32 v91, v85, v7
	s_waitcnt lgkmcnt(0)
	v_ashrrev_i32_e32 v82, s3, v82
	v_and_b32_e32 v86, 0x3030303, v82
	v_ashrrev_i32_e32 v82, s3, v83
	v_and_b32_e32 v87, 0x3030303, v82
	v_add_u32_e32 v82, 0x3190, v79
	ds_read2_b32 v[82:83], v82 offset1:1
	v_add_u32_e32 v79, 0x3198, v79
	v_dot4c_i32_i8_e32 v91, v86, v8
	v_dot4c_i32_i8_e32 v91, v87, v9
	s_waitcnt lgkmcnt(0)
	v_ashrrev_i32_e32 v82, s3, v82
	v_and_b32_e32 v88, 0x3030303, v82
	v_ashrrev_i32_e32 v82, s3, v83
	v_and_b32_e32 v89, 0x3030303, v82
	ds_read2_b32 v[82:83], v79 offset1:1
	v_dot4c_i32_i8_e32 v84, v88, v2
	v_dot4c_i32_i8_e32 v84, v89, v3
	s_waitcnt lgkmcnt(0)
	v_ashrrev_i32_e32 v79, s3, v82
	v_and_b32_e32 v79, 0x3030303, v79
	v_ashrrev_i32_e32 v82, s3, v83
	v_add_u32_e32 v83, s16, v51
	v_dot4c_i32_i8_e32 v84, v79, v4
	ds_read_u16 v79, v83 offset:19952
	v_and_b32_e32 v82, 0x3030303, v82
	v_dot4c_i32_i8_e32 v84, v82, v5
	v_mov_b32_e32 v83, 0
	s_add_i32 s3, s2, 2
	s_waitcnt lgkmcnt(0)
	v_bfe_u32 v82, v79, 4, 4
	v_mul_lo_u32 v82, v82, s23
	v_dot4c_i32_i8_e32 v83, v82, v6
	v_dot4c_i32_i8_e32 v83, v82, v7
	;; [unrolled: 1-line block ×3, first 2 shown]
	v_lshrrev_b32_sdwa v6, v77, v79 dst_sel:DWORD dst_unused:UNUSED_PAD src0_sel:DWORD src1_sel:BYTE_1
	v_dot4c_i32_i8_e32 v83, v82, v9
	v_mul_lo_u32 v6, v6, s23
	v_dot4c_i32_i8_e32 v83, v6, v2
	v_and_b32_e32 v2, 15, v79
	v_dot4c_i32_i8_e32 v83, v6, v3
	v_and_b32_sdwa v3, v79, v78 dst_sel:DWORD dst_unused:UNUSED_PAD src0_sel:BYTE_1 src1_sel:DWORD
	v_and_b32_e32 v2, 0xffff, v2
	v_dot4c_i32_i8_e32 v83, v6, v4
	v_and_b32_e32 v3, 0xffff, v3
	v_mul_lo_u32 v2, v91, v2
	v_dot4c_i32_i8_e32 v83, v6, v5
	v_mad_u64_u32 v[2:3], s[16:17], v84, v3, v[2:3]
	v_cvt_f32_f16_e32 v4, v90
	v_cvt_f32_f16_sdwa v5, v90 dst_sel:DWORD dst_unused:UNUSED_PAD src0_sel:WORD_1
	v_cvt_f32_i32_e32 v2, v2
	v_cvt_f32_i32_e32 v3, v83
	s_cmp_lt_u32 s2, 30
	s_mov_b32 s2, s3
	v_pk_mul_f32 v[2:3], v[4:5], v[2:3]
	v_mov_b32_e32 v4, v80
	v_mov_b32_e32 v5, v2
	;; [unrolled: 1-line block ×3, first 2 shown]
	v_pk_add_f32 v[2:3], v[4:5], v[2:3] neg_lo:[0,1] neg_hi:[0,1]
	s_nop 0
	v_pk_fma_f32 v[26:27], v[70:71], v[2:3], v[26:27] op_sel_hi:[0,1,1]
	v_add_u32_e32 v71, 32, v71
	s_cbranch_scc1 .LBB207_35
; %bb.36:                               ;   in Loop: Header=BB207_5 Depth=1
	s_barrier
	s_branch .LBB207_4
.LBB207_37:
	s_mul_i32 s0, s7, s4
	s_waitcnt vmcnt(0)
	v_cmp_gt_i32_e32 vcc, s0, v1
	s_and_saveexec_b64 s[0:1], vcc
	s_cbranch_execz .LBB207_46
; %bb.38:
	v_and_b32_e32 v0, 0x3ff, v0
	v_add_u32_e32 v2, s18, v0
	v_mul_lo_u32 v0, v1, s6
	v_cmp_gt_u32_e32 vcc, s6, v2
	s_and_saveexec_b64 s[0:1], vcc
	s_cbranch_execz .LBB207_40
; %bb.39:
	v_cvt_f16_f32_e32 v1, v28
	v_add_u32_e32 v4, v0, v2
	v_mov_b32_e32 v5, 0
	v_lshl_add_u64 v[4:5], v[4:5], 1, s[12:13]
	global_store_short v[4:5], v1, off
.LBB207_40:
	s_or_b64 exec, exec, s[0:1]
	v_add_u32_e32 v1, 32, v2
	v_cmp_gt_u32_e32 vcc, s6, v1
	s_and_saveexec_b64 s[0:1], vcc
	s_cbranch_execz .LBB207_42
; %bb.41:
	v_cvt_f16_f32_e32 v3, v29
	v_add_u32_e32 v4, v0, v1
	v_mov_b32_e32 v5, 0
	v_lshl_add_u64 v[4:5], v[4:5], 1, s[12:13]
	global_store_short v[4:5], v3, off
.LBB207_42:
	s_or_b64 exec, exec, s[0:1]
	v_add_u32_e32 v1, 64, v2
	;; [unrolled: 12-line block ×3, first 2 shown]
	v_cmp_gt_u32_e32 vcc, s6, v1
	s_and_b64 exec, exec, vcc
	s_cbranch_execz .LBB207_46
; %bb.45:
	v_cvt_f16_f32_e32 v2, v27
	v_add_u32_e32 v0, v0, v1
	v_mov_b32_e32 v1, 0
	v_lshl_add_u64 v[0:1], v[0:1], 1, s[12:13]
	global_store_short v[0:1], v2, off
.LBB207_46:
	s_endpgm
	.section	.rodata,"a",@progbits
	.p2align	6, 0x0
	.amdhsa_kernel _ZL8moe_q2_KIN3c104HalfELb0EEvPKvS3_PT_PKiS7_S7_iiiiiii
		.amdhsa_group_segment_fixed_size 23328
		.amdhsa_private_segment_fixed_size 0
		.amdhsa_kernarg_size 76
		.amdhsa_user_sgpr_count 2
		.amdhsa_user_sgpr_dispatch_ptr 0
		.amdhsa_user_sgpr_queue_ptr 0
		.amdhsa_user_sgpr_kernarg_segment_ptr 1
		.amdhsa_user_sgpr_dispatch_id 0
		.amdhsa_user_sgpr_kernarg_preload_length 0
		.amdhsa_user_sgpr_kernarg_preload_offset 0
		.amdhsa_user_sgpr_private_segment_size 0
		.amdhsa_uses_dynamic_stack 0
		.amdhsa_enable_private_segment 0
		.amdhsa_system_sgpr_workgroup_id_x 1
		.amdhsa_system_sgpr_workgroup_id_y 1
		.amdhsa_system_sgpr_workgroup_id_z 0
		.amdhsa_system_sgpr_workgroup_info 0
		.amdhsa_system_vgpr_workitem_id 1
		.amdhsa_next_free_vgpr 102
		.amdhsa_next_free_sgpr 75
		.amdhsa_accum_offset 104
		.amdhsa_reserve_vcc 1
		.amdhsa_float_round_mode_32 0
		.amdhsa_float_round_mode_16_64 0
		.amdhsa_float_denorm_mode_32 3
		.amdhsa_float_denorm_mode_16_64 3
		.amdhsa_dx10_clamp 1
		.amdhsa_ieee_mode 1
		.amdhsa_fp16_overflow 0
		.amdhsa_tg_split 0
		.amdhsa_exception_fp_ieee_invalid_op 0
		.amdhsa_exception_fp_denorm_src 0
		.amdhsa_exception_fp_ieee_div_zero 0
		.amdhsa_exception_fp_ieee_overflow 0
		.amdhsa_exception_fp_ieee_underflow 0
		.amdhsa_exception_fp_ieee_inexact 0
		.amdhsa_exception_int_div_zero 0
	.end_amdhsa_kernel
	.section	.text._ZL8moe_q2_KIN3c104HalfELb0EEvPKvS3_PT_PKiS7_S7_iiiiiii,"axG",@progbits,_ZL8moe_q2_KIN3c104HalfELb0EEvPKvS3_PT_PKiS7_S7_iiiiiii,comdat
.Lfunc_end207:
	.size	_ZL8moe_q2_KIN3c104HalfELb0EEvPKvS3_PT_PKiS7_S7_iiiiiii, .Lfunc_end207-_ZL8moe_q2_KIN3c104HalfELb0EEvPKvS3_PT_PKiS7_S7_iiiiiii
                                        ; -- End function
	.set _ZL8moe_q2_KIN3c104HalfELb0EEvPKvS3_PT_PKiS7_S7_iiiiiii.num_vgpr, 102
	.set _ZL8moe_q2_KIN3c104HalfELb0EEvPKvS3_PT_PKiS7_S7_iiiiiii.num_agpr, 0
	.set _ZL8moe_q2_KIN3c104HalfELb0EEvPKvS3_PT_PKiS7_S7_iiiiiii.numbered_sgpr, 28
	.set _ZL8moe_q2_KIN3c104HalfELb0EEvPKvS3_PT_PKiS7_S7_iiiiiii.num_named_barrier, 0
	.set _ZL8moe_q2_KIN3c104HalfELb0EEvPKvS3_PT_PKiS7_S7_iiiiiii.private_seg_size, 0
	.set _ZL8moe_q2_KIN3c104HalfELb0EEvPKvS3_PT_PKiS7_S7_iiiiiii.uses_vcc, 1
	.set _ZL8moe_q2_KIN3c104HalfELb0EEvPKvS3_PT_PKiS7_S7_iiiiiii.uses_flat_scratch, 0
	.set _ZL8moe_q2_KIN3c104HalfELb0EEvPKvS3_PT_PKiS7_S7_iiiiiii.has_dyn_sized_stack, 0
	.set _ZL8moe_q2_KIN3c104HalfELb0EEvPKvS3_PT_PKiS7_S7_iiiiiii.has_recursion, 0
	.set _ZL8moe_q2_KIN3c104HalfELb0EEvPKvS3_PT_PKiS7_S7_iiiiiii.has_indirect_call, 0
	.section	.AMDGPU.csdata,"",@progbits
; Kernel info:
; codeLenInByte = 9636
; TotalNumSgprs: 34
; NumVgprs: 102
; NumAgprs: 0
; TotalNumVgprs: 102
; ScratchSize: 0
; MemoryBound: 0
; FloatMode: 240
; IeeeMode: 1
; LDSByteSize: 23328 bytes/workgroup (compile time only)
; SGPRBlocks: 10
; VGPRBlocks: 12
; NumSGPRsForWavesPerEU: 81
; NumVGPRsForWavesPerEU: 102
; AccumOffset: 104
; Occupancy: 4
; WaveLimiterHint : 1
; COMPUTE_PGM_RSRC2:SCRATCH_EN: 0
; COMPUTE_PGM_RSRC2:USER_SGPR: 2
; COMPUTE_PGM_RSRC2:TRAP_HANDLER: 0
; COMPUTE_PGM_RSRC2:TGID_X_EN: 1
; COMPUTE_PGM_RSRC2:TGID_Y_EN: 1
; COMPUTE_PGM_RSRC2:TGID_Z_EN: 0
; COMPUTE_PGM_RSRC2:TIDIG_COMP_CNT: 1
; COMPUTE_PGM_RSRC3_GFX90A:ACCUM_OFFSET: 25
; COMPUTE_PGM_RSRC3_GFX90A:TG_SPLIT: 0
	.section	.text._ZL8moe_q2_KIN3c104HalfELb1EEvPKvS3_PT_PKiS7_S7_iiiiiii,"axG",@progbits,_ZL8moe_q2_KIN3c104HalfELb1EEvPKvS3_PT_PKiS7_S7_iiiiiii,comdat
	.globl	_ZL8moe_q2_KIN3c104HalfELb1EEvPKvS3_PT_PKiS7_S7_iiiiiii ; -- Begin function _ZL8moe_q2_KIN3c104HalfELb1EEvPKvS3_PT_PKiS7_S7_iiiiiii
	.p2align	8
	.type	_ZL8moe_q2_KIN3c104HalfELb1EEvPKvS3_PT_PKiS7_S7_iiiiiii,@function
_ZL8moe_q2_KIN3c104HalfELb1EEvPKvS3_PT_PKiS7_S7_iiiiiii: ; @_ZL8moe_q2_KIN3c104HalfELb1EEvPKvS3_PT_PKiS7_S7_iiiiiii
; %bb.0:
	s_load_dwordx4 s[4:7], s[0:1], 0x18
	s_mov_b32 s8, s3
	s_mov_b32 s9, 0
	s_lshl_b64 s[10:11], s[8:9], 2
	s_waitcnt lgkmcnt(0)
	s_add_u32 s6, s6, s10
	s_addc_u32 s7, s7, s11
	s_load_dword s3, s[6:7], 0x0
	s_waitcnt lgkmcnt(0)
	s_cmpk_gt_u32 s3, 0xff
	s_cbranch_scc1 .LBB208_46
; %bb.1:
	s_load_dwordx2 s[6:7], s[0:1], 0x28
	s_waitcnt lgkmcnt(0)
	s_load_dword s7, s[6:7], 0x0
	s_lshl_b32 s6, s8, 3
	s_waitcnt lgkmcnt(0)
	s_cmp_gt_u32 s6, s7
	s_cbranch_scc1 .LBB208_46
; %bb.2:
	v_bfe_u32 v2, v0, 10, 10
	v_mov_b32_e32 v4, s4
	v_mov_b32_e32 v5, s5
	v_add_u32_e32 v34, s6, v2
	v_mov_b32_e32 v35, 0
	v_lshl_add_u64 v[4:5], v[34:35], 2, v[4:5]
	global_load_dword v1, v[4:5], off
	s_load_dwordx8 s[4:11], s[0:1], 0x30
	s_load_dwordx2 s[16:17], s[0:1], 0x10
	s_waitcnt lgkmcnt(0)
	s_lshl_b32 s11, s2, 7
	v_mov_b32_e32 v34, v35
	v_mov_b32_e32 v37, v35
	s_cmpk_lt_i32 s5, 0x100
	v_mov_b32_e32 v36, v35
	s_cbranch_scc1 .LBB208_37
; %bb.3:
	s_load_dwordx4 s[12:15], s[0:1], 0x0
	s_ashr_i32 s0, s5, 31
	s_lshr_b32 s0, s0, 24
	s_add_i32 s0, s5, s0
	s_ashr_i32 s20, s0, 8
	s_ashr_i32 s0, s8, 31
	s_lshr_b32 s0, s0, 27
	s_add_i32 s0, s8, s0
	s_mul_i32 s3, s3, s4
	s_ashr_i32 s8, s0, 5
	s_ashr_i32 s0, s3, 31
	s_waitcnt lgkmcnt(0)
	s_add_u32 s1, s12, s3
	s_mul_i32 s2, s20, s11
	s_addc_u32 s0, s13, s0
	s_mul_hi_i32 s3, s2, 0x54
	s_mulk_i32 s2, 0x54
	s_add_u32 s21, s1, s2
	s_addc_u32 s22, s0, s3
	s_not_b32 s0, s11
	s_add_i32 s1, s6, s0
	v_add_u32_e32 v3, 8, v2
	v_min_i32_e32 v6, s1, v3
	v_add_u32_e32 v3, 16, v2
	v_min_i32_e32 v7, s1, v3
	;; [unrolled: 2-line block ×11, first 2 shown]
	v_add_u32_e32 v3, 0x60, v2
	v_and_b32_e32 v33, 0x3ff, v0
	v_min_i32_e32 v79, s1, v3
	v_add_u32_e32 v3, 0x68, v2
	v_lshlrev_b32_e32 v4, 2, v33
	v_min_i32_e32 v5, s1, v2
	s_movk_i32 s0, 0x84
	v_min_i32_e32 v81, s1, v3
	v_add_u32_e32 v3, 0x70, v2
	v_mad_u64_u32 v[12:13], s[2:3], v5, s0, v[4:5]
	v_min_i32_e32 v83, s1, v3
	v_add_u32_e32 v3, 0x78, v2
	v_min_i32_e32 v85, s1, v3
	v_lshlrev_b32_e32 v3, 4, v2
	v_bfe_u32 v13, v0, 1, 9
	v_add_u32_e32 v13, v13, v3
	v_and_b32_e32 v13, 0x7f, v13
	v_min_i32_e32 v87, s1, v13
	v_ashrrev_i32_e32 v13, 31, v87
	v_lshrrev_b32_e32 v13, 28, v13
	v_add_u32_e32 v13, v87, v13
	v_mad_u64_u32 v[14:15], s[2:3], v6, s0, v[4:5]
	v_mad_u64_u32 v[16:17], s[2:3], v7, s0, v[4:5]
	v_mad_u64_u32 v[18:19], s[2:3], v8, s0, v[4:5]
	v_mad_u64_u32 v[20:21], s[2:3], v9, s0, v[4:5]
	v_mad_u64_u32 v[22:23], s[2:3], v66, s0, v[4:5]
	v_mad_u64_u32 v[24:25], s[2:3], v68, s0, v[4:5]
	v_mad_u64_u32 v[26:27], s[2:3], v70, s0, v[4:5]
	v_mad_u64_u32 v[28:29], s[2:3], v72, s0, v[4:5]
	v_mad_u64_u32 v[30:31], s[2:3], v74, s0, v[4:5]
	v_and_b32_e32 v32, 1, v0
	v_ashrrev_i32_e32 v13, 4, v13
	v_lshlrev_b32_e32 v13, 2, v13
	v_lshlrev_b32_e32 v15, 2, v32
	s_movk_i32 s2, 0x5280
	v_add3_u32 v25, v13, v15, s2
	v_bfe_u32 v13, v0, 3, 7
	v_lshl_add_u32 v15, v2, 2, v13
	v_min_i32_e32 v89, s1, v15
	v_ashrrev_i32_e32 v19, 31, v89
	v_lshrrev_b32_e32 v19, 30, v19
	v_and_b32_e32 v17, 7, v0
	v_add_u32_e32 v19, v89, v19
	v_cmp_lt_u32_e64 s[2:3], 3, v17
	v_and_b32_e32 v19, -4, v19
	v_lshlrev_b32_e32 v17, 2, v17
	s_movk_i32 s12, 0x4200
	v_add3_u32 v29, v19, v17, s12
	v_add_u32_e32 v19, 32, v15
	v_min_i32_e32 v91, s1, v19
	v_ashrrev_i32_e32 v19, 31, v91
	v_lshrrev_b32_e32 v19, 30, v19
	v_add_u32_e32 v19, v91, v19
	v_and_b32_e32 v19, -4, v19
	v_add3_u32 v31, v19, v17, s12
	v_add_u32_e32 v19, 64, v15
	v_add_u32_e32 v15, 0x60, v15
	v_min_i32_e32 v93, s1, v19
	v_min_i32_e32 v95, s1, v15
	v_ashrrev_i32_e32 v19, 31, v93
	v_ashrrev_i32_e32 v15, 31, v95
	v_lshrrev_b32_e32 v19, 30, v19
	v_lshrrev_b32_e32 v15, 30, v15
	v_add_u32_e32 v19, v93, v19
	v_add_u32_e32 v15, v95, v15
	v_and_b32_e32 v19, -4, v19
	v_and_b32_e32 v15, -4, v15
	s_abs_i32 s1, s10
	v_add3_u32 v34, v19, v17, s12
	v_add3_u32 v35, v15, v17, s12
	v_cvt_f32_u32_e32 v17, s1
	v_mov_b32_e32 v15, 0x56a0
	v_lshl_add_u32 v15, v2, 7, v15
	s_sub_i32 s12, 0, s1
	v_rcp_iflag_f32_e32 v2, v17
	s_waitcnt vmcnt(0)
	v_sub_u32_e32 v19, 0, v1
	v_max_i32_e32 v19, v1, v19
	v_xor_b32_e32 v17, s10, v1
	v_mul_f32_e32 v2, 0x4f7ffffe, v2
	v_cvt_u32_f32_e32 v2, v2
	v_ashrrev_i32_e32 v17, 31, v17
	v_add_u32_e32 v36, 32, v33
	v_add_u32_e32 v37, 64, v33
	v_mul_lo_u32 v21, s12, v2
	v_mul_hi_u32 v21, v2, v21
	v_add_u32_e32 v2, v2, v21
	v_mul_hi_u32 v2, v19, v2
	v_mul_lo_u32 v21, v2, s1
	v_sub_u32_e32 v19, v19, v21
	v_add_u32_e32 v21, 1, v2
	v_cmp_le_u32_e32 vcc, s1, v19
	v_add_u32_e32 v52, 0x60, v33
	v_and_b32_e32 v23, 0x1fc, v52
	v_cndmask_b32_e32 v2, v2, v21, vcc
	v_subrev_u32_e32 v21, s1, v19
	v_cndmask_b32_e32 v19, v19, v21, vcc
	v_add_u32_e32 v21, 1, v2
	v_cmp_le_u32_e32 vcc, s1, v19
	v_and_b32_e32 v19, 0x1fc, v36
	v_lshlrev_b32_e32 v27, 3, v87
	v_cndmask_b32_e32 v2, v2, v21, vcc
	v_xor_b32_e32 v2, v2, v17
	v_sub_u32_e32 v54, v2, v17
	v_lshlrev_b32_e32 v2, 5, v33
	v_and_b32_e32 v17, 0xfc, v0
	v_and_b32_e32 v21, 0x1fc, v37
	v_add_u32_e32 v17, v2, v17
	v_add_u32_e32 v19, v2, v19
	;; [unrolled: 1-line block ×4, first 2 shown]
	v_lshlrev_b32_e32 v2, 5, v89
	v_lshlrev_b32_e32 v38, 5, v91
	v_mov_b32_e32 v11, 0
	v_add_u32_e32 v25, v25, v27
	v_add_u32_e32 v27, v29, v2
	v_lshlrev_b32_e32 v2, 5, v93
	v_add_u32_e32 v29, v31, v38
	v_lshlrev_b32_e32 v38, 5, v95
	v_add_u32_e32 v59, 0x5aa0, v3
	v_and_b32_e32 v10, 60, v4
	v_add_u32_e32 v31, v34, v2
	v_add_u32_e32 v57, v35, v38
	v_and_b32_e32 v38, 12, v4
	v_add_u32_e32 v61, v59, v4
	v_mad_u64_u32 v[40:41], s[12:13], v75, s0, v[4:5]
	v_mad_u64_u32 v[42:43], s[12:13], v77, s0, v[4:5]
	;; [unrolled: 1-line block ×6, first 2 shown]
	v_and_b32_e32 v2, 28, v4
	v_mov_b32_e32 v3, v11
	v_and_b32_e32 v4, 31, v0
	v_lshl_add_u32 v41, v4, 2, v15
	v_lshlrev_b32_e32 v4, 1, v36
	v_lshrrev_b32_e32 v34, 4, v36
	v_lshrrev_b32_e32 v43, 3, v36
	v_lshlrev_b32_e32 v35, 1, v37
	v_lshrrev_b32_e32 v36, 4, v37
	v_lshrrev_b32_e32 v45, 3, v37
	;; [unrolled: 3-line block ×3, first 2 shown]
	v_lshl_add_u64 v[52:53], s[14:15], 0, v[2:3]
	v_mul_u32_u24_e32 v2, 33, v33
	v_cmp_gt_u32_e32 vcc, 4, v33
	v_cmp_gt_i32_e64 s[0:1], s7, v54
	v_lshlrev_b32_e32 v49, 2, v2
	v_mul_lo_u32 v54, v54, s8
	v_lshlrev_b32_e32 v2, 1, v33
	v_bfe_u32 v98, v0, 4, 6
	s_movk_i32 s4, 0x54
	s_mov_b32 s6, 0
	v_mov_b32_e32 v39, v11
	s_and_b64 s[12:13], vcc, s[0:1]
	v_ashrrev_i32_e32 v55, 31, v54
	v_lshlrev_b32_e32 v51, 2, v2
	s_mov_b32 s23, 0x1010101
	v_lshlrev_b32_e32 v63, 2, v34
	v_lshlrev_b32_e32 v65, 2, v4
	;; [unrolled: 1-line block ×6, first 2 shown]
	v_mov_b32_e32 v36, v11
	v_mov_b32_e32 v37, v11
	;; [unrolled: 1-line block ×4, first 2 shown]
	v_mul_lo_u32 v56, v5, s20
	v_mul_lo_u32 v58, v6, s20
	;; [unrolled: 1-line block ×21, first 2 shown]
	v_add_u32_e32 v75, 0x4200, v17
	v_add_u32_e32 v77, 0x4600, v19
	v_add_u32_e32 v79, 0x4a00, v21
	v_add_u32_e32 v81, 0x4e00, v23
	v_lshlrev_b32_e32 v83, 2, v98
	v_mov_b32_e32 v85, 4
	v_mov_b32_e32 v87, 15
	v_cndmask_b32_e64 v100, 0, 1, s[2:3]
	s_branch .LBB208_5
.LBB208_4:                              ;   in Loop: Header=BB208_5 Depth=1
	s_add_i32 s6, s6, 2
	s_cmp_ge_i32 s6, s20
	s_cbranch_scc1 .LBB208_37
.LBB208_5:                              ; =>This Loop Header: Depth=1
                                        ;     Child Loop BB208_11 Depth 2
                                        ;     Child Loop BB208_19 Depth 2
	;; [unrolled: 1-line block ×4, first 2 shown]
	s_mul_i32 s2, s6, 0x54
	s_mul_hi_u32 s3, s6, 0x54
	s_add_u32 s2, s21, s2
	s_addc_u32 s3, s22, s3
	v_mov_b64_e32 v[2:3], s[2:3]
	v_mad_u64_u32 v[4:5], s[2:3], v98, s4, v[2:3]
	v_mad_i64_i32 v[6:7], s[2:3], v56, s4, v[4:5]
	v_mad_i64_i32 v[8:9], s[2:3], v58, s4, v[4:5]
	;; [unrolled: 1-line block ×7, first 2 shown]
	v_lshl_add_u64 v[6:7], v[6:7], 0, v[10:11]
	v_lshl_add_u64 v[8:9], v[8:9], 0, v[10:11]
	;; [unrolled: 1-line block ×7, first 2 shown]
	v_mad_i64_i32 v[112:113], s[2:3], v70, s4, v[4:5]
	v_lshl_add_u64 v[112:113], v[112:113], 0, v[10:11]
	global_load_dword v89, v[6:7], off offset:16
	global_load_dword v91, v[8:9], off offset:16
	;; [unrolled: 1-line block ×8, first 2 shown]
	v_mad_i64_i32 v[6:7], s[2:3], v72, s4, v[4:5]
	v_mad_i64_i32 v[8:9], s[2:3], v74, s4, v[4:5]
	v_mad_i64_i32 v[102:103], s[2:3], v76, s4, v[4:5]
	v_mad_i64_i32 v[104:105], s[2:3], v78, s4, v[4:5]
	v_mad_i64_i32 v[106:107], s[2:3], v80, s4, v[4:5]
	v_mad_i64_i32 v[108:109], s[2:3], v82, s4, v[4:5]
	v_mad_i64_i32 v[110:111], s[2:3], v84, s4, v[4:5]
	v_mad_i64_i32 v[4:5], s[2:3], v86, s4, v[4:5]
	v_lshl_add_u64 v[6:7], v[6:7], 0, v[10:11]
	v_lshl_add_u64 v[4:5], v[4:5], 0, v[10:11]
	;; [unrolled: 1-line block ×8, first 2 shown]
	global_load_dword v112, v[6:7], off offset:16
	global_load_dword v113, v[8:9], off offset:16
	;; [unrolled: 1-line block ×8, first 2 shown]
	v_mad_i64_i32 v[4:5], s[2:3], v88, s4, v[2:3]
	v_mad_u64_u32 v[2:3], s[2:3], v100, s4, v[2:3]
	v_lshl_add_u64 v[2:3], v[2:3], 0, v[38:39]
	v_mad_u64_u32 v[4:5], s[2:3], v32, s4, v[4:5]
	v_mad_i64_i32 v[6:7], s[2:3], v90, s4, v[2:3]
	v_mad_i64_i32 v[8:9], s[2:3], v92, s4, v[2:3]
	;; [unrolled: 1-line block ×4, first 2 shown]
	global_load_dword v104, v[4:5], off offset:80
	global_load_dword v105, v[6:7], off
	global_load_dword v106, v[8:9], off
	;; [unrolled: 1-line block ×3, first 2 shown]
	s_lshl_b32 s24, s6, 8
	global_load_dword v2, v[2:3], off
	s_cmp_lt_i32 s24, s5
	s_waitcnt vmcnt(20)
	ds_write_b32 v12, v89
	s_waitcnt vmcnt(19)
	ds_write_b32 v14, v91
	;; [unrolled: 2-line block ×21, first 2 shown]
	s_cbranch_scc0 .LBB208_4
; %bb.6:                                ;   in Loop: Header=BB208_5 Depth=1
	s_lshl_b32 s25, s6, 3
	v_add_u32_e32 v2, s25, v13
	v_cmp_gt_i32_e64 s[2:3], s8, v2
	s_and_b64 s[18:19], s[0:1], s[2:3]
	s_and_saveexec_b64 s[2:3], s[18:19]
	s_cbranch_execz .LBB208_8
; %bb.7:                                ;   in Loop: Header=BB208_5 Depth=1
	v_add_u32_e32 v2, v54, v2
	v_mad_i64_i32 v[2:3], s[18:19], v2, 36, v[52:53]
	global_load_dword v2, v[2:3], off offset:4
	s_waitcnt vmcnt(0)
	ds_write_b32 v41, v2
.LBB208_8:                              ;   in Loop: Header=BB208_5 Depth=1
	s_or_b64 exec, exec, s[2:3]
	v_add_u32_e32 v102, s25, v33
	v_cmp_gt_i32_e64 s[2:3], s8, v102
	s_and_b64 s[18:19], s[12:13], s[2:3]
	s_and_saveexec_b64 s[2:3], s[18:19]
	s_cbranch_execz .LBB208_10
; %bb.9:                                ;   in Loop: Header=BB208_5 Depth=1
	v_add_u32_e32 v2, v54, v102
	v_mad_i64_i32 v[2:3], s[18:19], v2, 36, s[14:15]
	global_load_dword v2, v[2:3], off
	s_waitcnt vmcnt(0)
	v_cvt_f32_f16_e32 v2, v2
	ds_write_b32 v61, v2
.LBB208_10:                             ;   in Loop: Header=BB208_5 Depth=1
	s_or_b64 exec, exec, s[2:3]
	s_mov_b32 s2, 0
	v_mov_b32_e32 v89, v59
	v_mov_b32_e32 v91, v15
	s_waitcnt lgkmcnt(0)
	s_barrier
.LBB208_11:                             ;   Parent Loop BB208_5 Depth=1
                                        ; =>  This Inner Loop Header: Depth=2
	s_and_b32 s18, s2, 0x3ffffff8
	v_lshl_add_u32 v93, s18, 2, v49
	ds_read_b32 v104, v89
	ds_read_b128 v[6:9], v91
	ds_read_b128 v[2:5], v91 offset:16
	ds_read2_b32 v[106:107], v93 offset1:1
	s_lshr_b32 s18, s2, 2
	s_and_b32 s18, s18, 0x3ffffffc
	s_addk_i32 s18, 0x5280
	v_add3_u32 v109, s18, v83, v51
	s_and_b32 s3, s2, -16
	ds_read_b32 v109, v109
	s_waitcnt lgkmcnt(1)
	v_ashrrev_i32_e32 v95, s2, v106
	v_and_b32_e32 v95, 0x3030303, v95
	v_ashrrev_i32_e32 v97, s2, v107
	ds_read2_b32 v[106:107], v93 offset0:2 offset1:3
	s_add_i32 s3, s2, s3
	v_mov_b32_e32 v110, 0
	v_and_b32_e32 v97, 0x3030303, v97
	v_add_u32_e32 v108, s3, v75
	v_dot4c_i32_i8_e32 v110, v95, v6
	v_dot4c_i32_i8_e32 v110, v97, v7
	ds_read_u16 v97, v108
	s_waitcnt lgkmcnt(1)
	v_ashrrev_i32_e32 v99, s2, v106
	v_and_b32_e32 v99, 0x3030303, v99
	v_ashrrev_i32_e32 v101, s2, v107
	ds_read2_b32 v[106:107], v93 offset0:4 offset1:5
	v_and_b32_e32 v101, 0x3030303, v101
	v_dot4c_i32_i8_e32 v110, v99, v8
	s_waitcnt lgkmcnt(1)
	v_bfe_u32 v99, v97, 4, 4
	v_dot4c_i32_i8_e32 v110, v101, v9
	v_mul_lo_u32 v99, v99, s23
	v_mov_b32_e32 v101, 0
	v_dot4c_i32_i8_e32 v101, v99, v6
	v_dot4c_i32_i8_e32 v101, v99, v7
	v_add3_u32 v111, s18, v63, v65
	v_dot4c_i32_i8_e32 v101, v99, v8
	ds_read_b32 v111, v111
	s_waitcnt lgkmcnt(1)
	v_ashrrev_i32_e32 v103, s2, v106
	v_ashrrev_i32_e32 v105, s2, v107
	ds_read2_b32 v[106:107], v93 offset0:6 offset1:7
	v_dot4c_i32_i8_e32 v101, v99, v9
	v_lshrrev_b32_sdwa v99, v85, v97 dst_sel:DWORD dst_unused:UNUSED_PAD src0_sel:DWORD src1_sel:BYTE_1
	v_mul_lo_u32 v99, v99, s23
	v_dot4c_i32_i8_e32 v101, v99, v2
	v_and_b32_e32 v103, 0x3030303, v103
	v_mov_b32_e32 v95, 0
	v_dot4c_i32_i8_e32 v101, v99, v3
	v_and_b32_e32 v105, 0x3030303, v105
	s_waitcnt lgkmcnt(0)
	v_ashrrev_i32_e32 v106, s2, v106
	v_dot4c_i32_i8_e32 v95, v103, v2
	v_dot4c_i32_i8_e32 v101, v99, v4
	v_and_b32_e32 v106, 0x3030303, v106
	v_ashrrev_i32_e32 v107, s2, v107
	v_dot4c_i32_i8_e32 v95, v105, v3
	v_dot4c_i32_i8_e32 v101, v99, v5
	v_and_b32_e32 v99, 15, v97
	v_and_b32_e32 v107, 0x3030303, v107
	v_dot4c_i32_i8_e32 v95, v106, v4
	v_and_b32_sdwa v97, v97, v87 dst_sel:DWORD dst_unused:UNUSED_PAD src0_sel:BYTE_1 src1_sel:DWORD
	v_and_b32_e32 v99, 0xffff, v99
	v_dot4c_i32_i8_e32 v95, v107, v5
	v_and_b32_e32 v97, 0xffff, v97
	v_mul_lo_u32 v106, v110, v99
	v_cvt_f32_f16_e32 v108, v109
	v_mad_u64_u32 v[106:107], s[26:27], v95, v97, v[106:107]
	v_cvt_f32_f16_sdwa v109, v109 dst_sel:DWORD dst_unused:UNUSED_PAD src0_sel:WORD_1
	v_cvt_f32_i32_e32 v106, v106
	v_cvt_f32_i32_e32 v107, v101
	v_add_u32_e32 v95, 0x1080, v93
	v_add_u32_e32 v99, 0x1088, v93
	v_mov_b32_e32 v112, 0
	v_pk_mul_f32 v[106:107], v[108:109], v[106:107]
	ds_read2_b32 v[108:109], v95 offset1:1
	v_add_u32_e32 v110, s3, v77
	v_add_u32_e32 v103, 0x1090, v93
	;; [unrolled: 1-line block ×4, first 2 shown]
	s_waitcnt lgkmcnt(0)
	v_ashrrev_i32_e32 v95, s2, v108
	v_and_b32_e32 v95, 0x3030303, v95
	v_ashrrev_i32_e32 v97, s2, v109
	ds_read2_b32 v[108:109], v99 offset1:1
	v_and_b32_e32 v97, 0x3030303, v97
	v_dot4c_i32_i8_e32 v112, v95, v6
	v_dot4c_i32_i8_e32 v112, v97, v7
	ds_read_u16 v97, v110
	s_waitcnt lgkmcnt(1)
	v_ashrrev_i32_e32 v99, s2, v108
	v_ashrrev_i32_e32 v101, s2, v109
	ds_read2_b32 v[108:109], v103 offset1:1
	v_and_b32_e32 v99, 0x3030303, v99
	v_and_b32_e32 v101, 0x3030303, v101
	v_dot4c_i32_i8_e32 v112, v99, v8
	s_waitcnt lgkmcnt(1)
	v_bfe_u32 v99, v97, 4, 4
	v_dot4c_i32_i8_e32 v112, v101, v9
	v_mul_lo_u32 v99, v99, s23
	v_mov_b32_e32 v101, 0
	v_dot4c_i32_i8_e32 v101, v99, v6
	s_waitcnt lgkmcnt(0)
	v_ashrrev_i32_e32 v103, s2, v108
	v_add_u32_e32 v108, 0x1098, v93
	v_dot4c_i32_i8_e32 v101, v99, v7
	v_ashrrev_i32_e32 v105, s2, v109
	ds_read2_b32 v[108:109], v108 offset1:1
	v_dot4c_i32_i8_e32 v101, v99, v8
	v_dot4c_i32_i8_e32 v101, v99, v9
	v_lshrrev_b32_sdwa v99, v85, v97 dst_sel:DWORD dst_unused:UNUSED_PAD src0_sel:DWORD src1_sel:BYTE_1
	v_mul_lo_u32 v99, v99, s23
	v_dot4c_i32_i8_e32 v101, v99, v2
	v_and_b32_e32 v103, 0x3030303, v103
	v_mov_b32_e32 v95, 0
	v_dot4c_i32_i8_e32 v101, v99, v3
	v_and_b32_e32 v105, 0x3030303, v105
	s_waitcnt lgkmcnt(0)
	v_ashrrev_i32_e32 v108, s2, v108
	v_dot4c_i32_i8_e32 v95, v103, v2
	v_dot4c_i32_i8_e32 v101, v99, v4
	v_and_b32_e32 v108, 0x3030303, v108
	v_ashrrev_i32_e32 v109, s2, v109
	v_dot4c_i32_i8_e32 v95, v105, v3
	v_dot4c_i32_i8_e32 v101, v99, v5
	v_and_b32_e32 v99, 15, v97
	v_and_b32_e32 v109, 0x3030303, v109
	v_dot4c_i32_i8_e32 v95, v108, v4
	v_and_b32_sdwa v97, v97, v87 dst_sel:DWORD dst_unused:UNUSED_PAD src0_sel:BYTE_1 src1_sel:DWORD
	v_and_b32_e32 v99, 0xffff, v99
	v_dot4c_i32_i8_e32 v95, v109, v5
	v_and_b32_e32 v97, 0xffff, v97
	v_mul_lo_u32 v108, v112, v99
	v_mov_b32_e32 v110, v107
	v_mad_u64_u32 v[108:109], s[26:27], v95, v97, v[108:109]
	v_cvt_f32_f16_e32 v95, v111
	v_cvt_f32_i32_e32 v99, v108
	v_cvt_f32_f16_sdwa v97, v111 dst_sel:DWORD dst_unused:UNUSED_PAD src0_sel:WORD_1
	v_mov_b32_e32 v108, v106
	v_add_u32_e32 v103, 0x2110, v93
	v_mul_f32_e32 v109, v95, v99
	v_cvt_f32_i32_e32 v95, v101
	v_add_u32_e32 v99, 0x2108, v93
	v_mul_f32_e32 v111, v97, v95
	v_pk_add_f32 v[106:107], v[108:109], v[110:111] neg_lo:[0,1] neg_hi:[0,1]
	v_add_u32_e32 v95, 0x2100, v93
	v_pk_fma_f32 v[36:37], v[104:105], v[106:107], v[36:37] op_sel_hi:[0,1,1]
	ds_read2_b32 v[106:107], v95 offset1:1
	v_add3_u32 v109, s18, v67, v69
	ds_read_b32 v109, v109
	v_mov_b32_e32 v110, 0
	v_add_u32_e32 v108, s3, v79
	s_waitcnt lgkmcnt(1)
	v_ashrrev_i32_e32 v95, s2, v106
	v_and_b32_e32 v95, 0x3030303, v95
	v_ashrrev_i32_e32 v97, s2, v107
	ds_read2_b32 v[106:107], v99 offset1:1
	v_and_b32_e32 v97, 0x3030303, v97
	v_dot4c_i32_i8_e32 v110, v95, v6
	v_dot4c_i32_i8_e32 v110, v97, v7
	ds_read_u16 v97, v108
	s_waitcnt lgkmcnt(1)
	v_ashrrev_i32_e32 v99, s2, v106
	v_ashrrev_i32_e32 v101, s2, v107
	ds_read2_b32 v[106:107], v103 offset1:1
	v_and_b32_e32 v99, 0x3030303, v99
	v_and_b32_e32 v101, 0x3030303, v101
	v_dot4c_i32_i8_e32 v110, v99, v8
	s_waitcnt lgkmcnt(1)
	v_bfe_u32 v99, v97, 4, 4
	v_dot4c_i32_i8_e32 v110, v101, v9
	v_mul_lo_u32 v99, v99, s23
	v_mov_b32_e32 v101, 0
	v_dot4c_i32_i8_e32 v101, v99, v6
	s_waitcnt lgkmcnt(0)
	v_ashrrev_i32_e32 v103, s2, v106
	v_add_u32_e32 v106, 0x2118, v93
	v_dot4c_i32_i8_e32 v101, v99, v7
	v_ashrrev_i32_e32 v105, s2, v107
	ds_read2_b32 v[106:107], v106 offset1:1
	v_dot4c_i32_i8_e32 v101, v99, v8
	v_dot4c_i32_i8_e32 v101, v99, v9
	v_lshrrev_b32_sdwa v99, v85, v97 dst_sel:DWORD dst_unused:UNUSED_PAD src0_sel:DWORD src1_sel:BYTE_1
	v_mul_lo_u32 v99, v99, s23
	v_dot4c_i32_i8_e32 v101, v99, v2
	v_and_b32_e32 v103, 0x3030303, v103
	v_mov_b32_e32 v95, 0
	v_dot4c_i32_i8_e32 v101, v99, v3
	v_and_b32_e32 v105, 0x3030303, v105
	s_waitcnt lgkmcnt(0)
	v_ashrrev_i32_e32 v106, s2, v106
	v_dot4c_i32_i8_e32 v95, v103, v2
	v_dot4c_i32_i8_e32 v101, v99, v4
	v_and_b32_e32 v106, 0x3030303, v106
	v_ashrrev_i32_e32 v107, s2, v107
	v_dot4c_i32_i8_e32 v95, v105, v3
	v_dot4c_i32_i8_e32 v101, v99, v5
	v_and_b32_e32 v99, 15, v97
	v_and_b32_e32 v107, 0x3030303, v107
	v_dot4c_i32_i8_e32 v95, v106, v4
	v_and_b32_sdwa v97, v97, v87 dst_sel:DWORD dst_unused:UNUSED_PAD src0_sel:BYTE_1 src1_sel:DWORD
	v_and_b32_e32 v99, 0xffff, v99
	v_dot4c_i32_i8_e32 v95, v107, v5
	v_and_b32_e32 v97, 0xffff, v97
	v_mul_lo_u32 v106, v110, v99
	v_cvt_f32_f16_e32 v108, v109
	v_mad_u64_u32 v[106:107], s[26:27], v95, v97, v[106:107]
	v_cvt_f32_f16_sdwa v109, v109 dst_sel:DWORD dst_unused:UNUSED_PAD src0_sel:WORD_1
	v_cvt_f32_i32_e32 v106, v106
	v_cvt_f32_i32_e32 v107, v101
	v_add_u32_e32 v95, 0x3180, v93
	v_add_u32_e32 v99, 0x3188, v93
	;; [unrolled: 1-line block ×3, first 2 shown]
	v_pk_mul_f32 v[106:107], v[108:109], v[106:107]
	ds_read2_b32 v[108:109], v95 offset1:1
	v_add_u32_e32 v93, 0x3198, v93
	v_mov_b32_e32 v111, 0
	v_add3_u32 v110, s18, v71, v73
	ds_read_b32 v110, v110
	s_waitcnt lgkmcnt(1)
	v_ashrrev_i32_e32 v95, s2, v108
	v_ashrrev_i32_e32 v97, s2, v109
	ds_read2_b32 v[108:109], v99 offset1:1
	v_and_b32_e32 v95, 0x3030303, v95
	v_dot4c_i32_i8_e32 v111, v95, v6
	v_mov_b32_e32 v95, 0
	v_and_b32_e32 v97, 0x3030303, v97
	s_waitcnt lgkmcnt(0)
	v_ashrrev_i32_e32 v99, s2, v108
	v_ashrrev_i32_e32 v101, s2, v109
	ds_read2_b32 v[108:109], v103 offset1:1
	v_and_b32_e32 v99, 0x3030303, v99
	v_dot4c_i32_i8_e32 v111, v97, v7
	v_dot4c_i32_i8_e32 v111, v99, v8
	v_mov_b32_e32 v99, 0
	s_waitcnt lgkmcnt(0)
	v_ashrrev_i32_e32 v103, s2, v108
	v_ashrrev_i32_e32 v105, s2, v109
	ds_read2_b32 v[108:109], v93 offset1:1
	v_and_b32_e32 v103, 0x3030303, v103
	v_and_b32_e32 v105, 0x3030303, v105
	v_dot4c_i32_i8_e32 v95, v103, v2
	v_dot4c_i32_i8_e32 v95, v105, v3
	s_waitcnt lgkmcnt(0)
	v_ashrrev_i32_e32 v93, s2, v108
	v_and_b32_e32 v93, 0x3030303, v93
	v_ashrrev_i32_e32 v108, s2, v109
	v_add_u32_e32 v109, s3, v81
	v_dot4c_i32_i8_e32 v95, v93, v4
	ds_read_u16 v93, v109
	v_and_b32_e32 v101, 0x3030303, v101
	v_and_b32_e32 v108, 0x3030303, v108
	v_dot4c_i32_i8_e32 v111, v101, v9
	v_dot4c_i32_i8_e32 v95, v108, v5
	s_waitcnt lgkmcnt(0)
	v_bfe_u32 v97, v93, 4, 4
	v_mul_lo_u32 v97, v97, s23
	v_dot4c_i32_i8_e32 v99, v97, v6
	v_dot4c_i32_i8_e32 v99, v97, v7
	;; [unrolled: 1-line block ×3, first 2 shown]
	v_lshrrev_b32_sdwa v6, v85, v93 dst_sel:DWORD dst_unused:UNUSED_PAD src0_sel:DWORD src1_sel:BYTE_1
	v_dot4c_i32_i8_e32 v99, v97, v9
	v_mul_lo_u32 v6, v6, s23
	v_dot4c_i32_i8_e32 v99, v6, v2
	v_and_b32_e32 v2, 15, v93
	v_dot4c_i32_i8_e32 v99, v6, v3
	v_and_b32_sdwa v3, v93, v87 dst_sel:DWORD dst_unused:UNUSED_PAD src0_sel:BYTE_1 src1_sel:DWORD
	v_and_b32_e32 v2, 0xffff, v2
	v_dot4c_i32_i8_e32 v99, v6, v4
	v_and_b32_e32 v3, 0xffff, v3
	v_mul_lo_u32 v2, v111, v2
	v_dot4c_i32_i8_e32 v99, v6, v5
	v_mad_u64_u32 v[2:3], s[18:19], v95, v3, v[2:3]
	v_cvt_f32_f16_e32 v4, v110
	v_cvt_f32_f16_sdwa v5, v110 dst_sel:DWORD dst_unused:UNUSED_PAD src0_sel:WORD_1
	v_cvt_f32_i32_e32 v2, v2
	v_cvt_f32_i32_e32 v3, v99
	s_add_i32 s3, s2, 2
	s_cmp_lt_u32 s2, 6
	s_mov_b32 s2, s3
	v_pk_mul_f32 v[2:3], v[4:5], v[2:3]
	v_mov_b32_e32 v4, v106
	v_mov_b32_e32 v5, v2
	;; [unrolled: 1-line block ×3, first 2 shown]
	v_pk_add_f32 v[2:3], v[4:5], v[2:3] neg_lo:[0,1] neg_hi:[0,1]
	s_nop 0
	v_pk_fma_f32 v[34:35], v[104:105], v[2:3], v[34:35] op_sel_hi:[0,1,1]
	s_cbranch_scc1 .LBB208_11
; %bb.12:                               ;   in Loop: Header=BB208_5 Depth=1
	s_or_b32 s2, s24, 0x80
	s_cmp_ge_i32 s2, s5
	s_barrier
	s_cbranch_scc1 .LBB208_4
; %bb.13:                               ;   in Loop: Header=BB208_5 Depth=1
	v_add_u32_e32 v2, s25, v43
	v_cmp_gt_i32_e64 s[2:3], s8, v2
	s_and_b64 s[18:19], s[0:1], s[2:3]
	s_and_saveexec_b64 s[2:3], s[18:19]
	s_cbranch_execz .LBB208_15
; %bb.14:                               ;   in Loop: Header=BB208_5 Depth=1
	v_add_u32_e32 v2, v54, v2
	v_mad_i64_i32 v[2:3], s[18:19], v2, 36, v[52:53]
	global_load_dword v2, v[2:3], off offset:4
	s_waitcnt vmcnt(0)
	ds_write_b32 v41, v2
.LBB208_15:                             ;   in Loop: Header=BB208_5 Depth=1
	s_or_b64 exec, exec, s[2:3]
	s_and_saveexec_b64 s[18:19], vcc
	s_cbranch_execz .LBB208_18
; %bb.16:                               ;   in Loop: Header=BB208_5 Depth=1
	v_or_b32_e32 v2, 4, v102
	v_cmp_gt_i32_e64 s[2:3], s8, v2
	s_and_b64 s[2:3], s[0:1], s[2:3]
	s_and_b64 exec, exec, s[2:3]
	s_cbranch_execz .LBB208_18
; %bb.17:                               ;   in Loop: Header=BB208_5 Depth=1
	v_ashrrev_i32_e32 v103, 31, v102
	v_lshl_add_u64 v[2:3], v[54:55], 0, v[102:103]
	v_mad_u64_u32 v[4:5], s[2:3], v2, 36, s[14:15]
	v_mad_i32_i24 v5, v3, 36, v5
	global_load_dword v2, v[4:5], off offset:144
	s_waitcnt vmcnt(0)
	v_cvt_f32_f16_e32 v2, v2
	ds_write_b32 v61, v2
.LBB208_18:                             ;   in Loop: Header=BB208_5 Depth=1
	s_or_b64 exec, exec, s[18:19]
	s_mov_b32 s2, 8
	v_mov_b32_e32 v89, v15
	v_mov_b32_e32 v91, v59
	s_waitcnt lgkmcnt(0)
	s_barrier
.LBB208_19:                             ;   Parent Loop BB208_5 Depth=1
                                        ; =>  This Inner Loop Header: Depth=2
	s_and_b32 s19, s2, 0x3ffffff8
	v_lshl_add_u32 v93, s19, 2, v49
	ds_read_b32 v104, v91
	ds_read_b128 v[6:9], v89
	ds_read_b128 v[2:5], v89 offset:16
	ds_read2_b32 v[106:107], v93 offset1:1
	s_lshr_b32 s19, s2, 2
	s_and_b32 s19, s19, 0x3ffffffc
	s_addk_i32 s19, 0x5280
	s_add_i32 s3, s2, -8
	v_add3_u32 v109, s19, v83, v51
	s_and_b32 s18, s2, -16
	ds_read_b32 v109, v109
	s_waitcnt lgkmcnt(1)
	v_ashrrev_i32_e32 v95, s3, v106
	v_and_b32_e32 v95, 0x3030303, v95
	v_ashrrev_i32_e32 v97, s3, v107
	ds_read2_b32 v[106:107], v93 offset0:2 offset1:3
	s_add_i32 s18, s2, s18
	v_mov_b32_e32 v110, 0
	v_and_b32_e32 v97, 0x3030303, v97
	v_add_u32_e32 v108, s18, v17
	v_dot4c_i32_i8_e32 v110, v95, v6
	v_dot4c_i32_i8_e32 v110, v97, v7
	ds_read_u16 v97, v108 offset:16896
	s_waitcnt lgkmcnt(1)
	v_ashrrev_i32_e32 v99, s3, v106
	v_and_b32_e32 v99, 0x3030303, v99
	v_ashrrev_i32_e32 v101, s3, v107
	ds_read2_b32 v[106:107], v93 offset0:4 offset1:5
	v_and_b32_e32 v101, 0x3030303, v101
	v_dot4c_i32_i8_e32 v110, v99, v8
	s_waitcnt lgkmcnt(1)
	v_bfe_u32 v99, v97, 4, 4
	v_dot4c_i32_i8_e32 v110, v101, v9
	v_mul_lo_u32 v99, v99, s23
	v_mov_b32_e32 v101, 0
	v_dot4c_i32_i8_e32 v101, v99, v6
	v_dot4c_i32_i8_e32 v101, v99, v7
	v_add3_u32 v111, s19, v63, v65
	v_dot4c_i32_i8_e32 v101, v99, v8
	ds_read_b32 v111, v111
	s_waitcnt lgkmcnt(1)
	v_ashrrev_i32_e32 v103, s3, v106
	v_ashrrev_i32_e32 v105, s3, v107
	ds_read2_b32 v[106:107], v93 offset0:6 offset1:7
	v_dot4c_i32_i8_e32 v101, v99, v9
	v_lshrrev_b32_sdwa v99, v85, v97 dst_sel:DWORD dst_unused:UNUSED_PAD src0_sel:DWORD src1_sel:BYTE_1
	v_mul_lo_u32 v99, v99, s23
	v_dot4c_i32_i8_e32 v101, v99, v2
	v_and_b32_e32 v103, 0x3030303, v103
	v_mov_b32_e32 v95, 0
	v_dot4c_i32_i8_e32 v101, v99, v3
	v_and_b32_e32 v105, 0x3030303, v105
	s_waitcnt lgkmcnt(0)
	v_ashrrev_i32_e32 v106, s3, v106
	v_dot4c_i32_i8_e32 v95, v103, v2
	v_dot4c_i32_i8_e32 v101, v99, v4
	v_and_b32_e32 v106, 0x3030303, v106
	v_ashrrev_i32_e32 v107, s3, v107
	v_dot4c_i32_i8_e32 v95, v105, v3
	v_dot4c_i32_i8_e32 v101, v99, v5
	v_and_b32_e32 v99, 15, v97
	v_and_b32_e32 v107, 0x3030303, v107
	v_dot4c_i32_i8_e32 v95, v106, v4
	v_and_b32_sdwa v97, v97, v87 dst_sel:DWORD dst_unused:UNUSED_PAD src0_sel:BYTE_1 src1_sel:DWORD
	v_and_b32_e32 v99, 0xffff, v99
	v_dot4c_i32_i8_e32 v95, v107, v5
	v_and_b32_e32 v97, 0xffff, v97
	v_mul_lo_u32 v106, v110, v99
	v_cvt_f32_f16_e32 v108, v109
	v_mad_u64_u32 v[106:107], s[26:27], v95, v97, v[106:107]
	v_cvt_f32_f16_sdwa v109, v109 dst_sel:DWORD dst_unused:UNUSED_PAD src0_sel:WORD_1
	v_cvt_f32_i32_e32 v106, v106
	v_cvt_f32_i32_e32 v107, v101
	v_add_u32_e32 v95, 0x1080, v93
	v_add_u32_e32 v99, 0x1088, v93
	v_mov_b32_e32 v112, 0
	v_pk_mul_f32 v[106:107], v[108:109], v[106:107]
	ds_read2_b32 v[108:109], v95 offset1:1
	v_add_u32_e32 v110, s18, v19
	v_add_u32_e32 v103, 0x1090, v93
	;; [unrolled: 1-line block ×4, first 2 shown]
	s_waitcnt lgkmcnt(0)
	v_ashrrev_i32_e32 v95, s3, v108
	v_and_b32_e32 v95, 0x3030303, v95
	v_ashrrev_i32_e32 v97, s3, v109
	ds_read2_b32 v[108:109], v99 offset1:1
	v_and_b32_e32 v97, 0x3030303, v97
	v_dot4c_i32_i8_e32 v112, v95, v6
	v_dot4c_i32_i8_e32 v112, v97, v7
	ds_read_u16 v97, v110 offset:17920
	s_waitcnt lgkmcnt(1)
	v_ashrrev_i32_e32 v99, s3, v108
	v_ashrrev_i32_e32 v101, s3, v109
	ds_read2_b32 v[108:109], v103 offset1:1
	v_and_b32_e32 v99, 0x3030303, v99
	v_and_b32_e32 v101, 0x3030303, v101
	v_dot4c_i32_i8_e32 v112, v99, v8
	s_waitcnt lgkmcnt(1)
	v_bfe_u32 v99, v97, 4, 4
	v_dot4c_i32_i8_e32 v112, v101, v9
	v_mul_lo_u32 v99, v99, s23
	v_mov_b32_e32 v101, 0
	v_dot4c_i32_i8_e32 v101, v99, v6
	s_waitcnt lgkmcnt(0)
	v_ashrrev_i32_e32 v103, s3, v108
	v_add_u32_e32 v108, 0x1098, v93
	v_dot4c_i32_i8_e32 v101, v99, v7
	v_ashrrev_i32_e32 v105, s3, v109
	ds_read2_b32 v[108:109], v108 offset1:1
	v_dot4c_i32_i8_e32 v101, v99, v8
	v_dot4c_i32_i8_e32 v101, v99, v9
	v_lshrrev_b32_sdwa v99, v85, v97 dst_sel:DWORD dst_unused:UNUSED_PAD src0_sel:DWORD src1_sel:BYTE_1
	v_mul_lo_u32 v99, v99, s23
	v_dot4c_i32_i8_e32 v101, v99, v2
	v_and_b32_e32 v103, 0x3030303, v103
	v_mov_b32_e32 v95, 0
	v_dot4c_i32_i8_e32 v101, v99, v3
	v_and_b32_e32 v105, 0x3030303, v105
	s_waitcnt lgkmcnt(0)
	v_ashrrev_i32_e32 v108, s3, v108
	v_dot4c_i32_i8_e32 v95, v103, v2
	v_dot4c_i32_i8_e32 v101, v99, v4
	v_and_b32_e32 v108, 0x3030303, v108
	v_ashrrev_i32_e32 v109, s3, v109
	v_dot4c_i32_i8_e32 v95, v105, v3
	v_dot4c_i32_i8_e32 v101, v99, v5
	v_and_b32_e32 v99, 15, v97
	v_and_b32_e32 v109, 0x3030303, v109
	v_dot4c_i32_i8_e32 v95, v108, v4
	v_and_b32_sdwa v97, v97, v87 dst_sel:DWORD dst_unused:UNUSED_PAD src0_sel:BYTE_1 src1_sel:DWORD
	v_and_b32_e32 v99, 0xffff, v99
	v_dot4c_i32_i8_e32 v95, v109, v5
	v_and_b32_e32 v97, 0xffff, v97
	v_mul_lo_u32 v108, v112, v99
	v_mov_b32_e32 v110, v107
	v_mad_u64_u32 v[108:109], s[26:27], v95, v97, v[108:109]
	v_cvt_f32_f16_e32 v95, v111
	v_cvt_f32_i32_e32 v99, v108
	v_cvt_f32_f16_sdwa v97, v111 dst_sel:DWORD dst_unused:UNUSED_PAD src0_sel:WORD_1
	v_mov_b32_e32 v108, v106
	v_add_u32_e32 v103, 0x2110, v93
	v_mul_f32_e32 v109, v95, v99
	v_cvt_f32_i32_e32 v95, v101
	v_add_u32_e32 v99, 0x2108, v93
	v_mul_f32_e32 v111, v97, v95
	v_pk_add_f32 v[106:107], v[108:109], v[110:111] neg_lo:[0,1] neg_hi:[0,1]
	v_add_u32_e32 v95, 0x2100, v93
	v_pk_fma_f32 v[36:37], v[104:105], v[106:107], v[36:37] op_sel_hi:[0,1,1]
	ds_read2_b32 v[106:107], v95 offset1:1
	v_add3_u32 v109, s19, v67, v69
	ds_read_b32 v109, v109
	v_mov_b32_e32 v110, 0
	v_add_u32_e32 v108, s18, v21
	s_waitcnt lgkmcnt(1)
	v_ashrrev_i32_e32 v95, s3, v106
	v_and_b32_e32 v95, 0x3030303, v95
	v_ashrrev_i32_e32 v97, s3, v107
	ds_read2_b32 v[106:107], v99 offset1:1
	v_and_b32_e32 v97, 0x3030303, v97
	v_dot4c_i32_i8_e32 v110, v95, v6
	v_dot4c_i32_i8_e32 v110, v97, v7
	ds_read_u16 v97, v108 offset:18944
	s_waitcnt lgkmcnt(1)
	v_ashrrev_i32_e32 v99, s3, v106
	v_ashrrev_i32_e32 v101, s3, v107
	ds_read2_b32 v[106:107], v103 offset1:1
	v_and_b32_e32 v99, 0x3030303, v99
	v_and_b32_e32 v101, 0x3030303, v101
	v_dot4c_i32_i8_e32 v110, v99, v8
	s_waitcnt lgkmcnt(1)
	v_bfe_u32 v99, v97, 4, 4
	v_dot4c_i32_i8_e32 v110, v101, v9
	v_mul_lo_u32 v99, v99, s23
	v_mov_b32_e32 v101, 0
	v_dot4c_i32_i8_e32 v101, v99, v6
	s_waitcnt lgkmcnt(0)
	v_ashrrev_i32_e32 v103, s3, v106
	v_add_u32_e32 v106, 0x2118, v93
	v_dot4c_i32_i8_e32 v101, v99, v7
	v_ashrrev_i32_e32 v105, s3, v107
	ds_read2_b32 v[106:107], v106 offset1:1
	v_dot4c_i32_i8_e32 v101, v99, v8
	v_dot4c_i32_i8_e32 v101, v99, v9
	v_lshrrev_b32_sdwa v99, v85, v97 dst_sel:DWORD dst_unused:UNUSED_PAD src0_sel:DWORD src1_sel:BYTE_1
	v_mul_lo_u32 v99, v99, s23
	v_dot4c_i32_i8_e32 v101, v99, v2
	v_and_b32_e32 v103, 0x3030303, v103
	v_mov_b32_e32 v95, 0
	v_dot4c_i32_i8_e32 v101, v99, v3
	v_and_b32_e32 v105, 0x3030303, v105
	s_waitcnt lgkmcnt(0)
	v_ashrrev_i32_e32 v106, s3, v106
	v_dot4c_i32_i8_e32 v95, v103, v2
	v_dot4c_i32_i8_e32 v101, v99, v4
	v_and_b32_e32 v106, 0x3030303, v106
	v_ashrrev_i32_e32 v107, s3, v107
	v_dot4c_i32_i8_e32 v95, v105, v3
	v_dot4c_i32_i8_e32 v101, v99, v5
	v_and_b32_e32 v99, 15, v97
	v_and_b32_e32 v107, 0x3030303, v107
	v_dot4c_i32_i8_e32 v95, v106, v4
	v_and_b32_sdwa v97, v97, v87 dst_sel:DWORD dst_unused:UNUSED_PAD src0_sel:BYTE_1 src1_sel:DWORD
	v_and_b32_e32 v99, 0xffff, v99
	v_dot4c_i32_i8_e32 v95, v107, v5
	v_and_b32_e32 v97, 0xffff, v97
	v_mul_lo_u32 v106, v110, v99
	v_cvt_f32_f16_e32 v108, v109
	v_mad_u64_u32 v[106:107], s[26:27], v95, v97, v[106:107]
	v_cvt_f32_f16_sdwa v109, v109 dst_sel:DWORD dst_unused:UNUSED_PAD src0_sel:WORD_1
	v_cvt_f32_i32_e32 v106, v106
	v_cvt_f32_i32_e32 v107, v101
	v_add_u32_e32 v95, 0x3180, v93
	v_add_u32_e32 v99, 0x3188, v93
	;; [unrolled: 1-line block ×3, first 2 shown]
	v_pk_mul_f32 v[106:107], v[108:109], v[106:107]
	ds_read2_b32 v[108:109], v95 offset1:1
	v_add_u32_e32 v93, 0x3198, v93
	v_mov_b32_e32 v111, 0
	v_add3_u32 v110, s19, v71, v73
	ds_read_b32 v110, v110
	s_waitcnt lgkmcnt(1)
	v_ashrrev_i32_e32 v95, s3, v108
	v_ashrrev_i32_e32 v97, s3, v109
	ds_read2_b32 v[108:109], v99 offset1:1
	v_and_b32_e32 v95, 0x3030303, v95
	v_dot4c_i32_i8_e32 v111, v95, v6
	v_mov_b32_e32 v95, 0
	v_and_b32_e32 v97, 0x3030303, v97
	s_waitcnt lgkmcnt(0)
	v_ashrrev_i32_e32 v99, s3, v108
	v_ashrrev_i32_e32 v101, s3, v109
	ds_read2_b32 v[108:109], v103 offset1:1
	v_and_b32_e32 v99, 0x3030303, v99
	v_dot4c_i32_i8_e32 v111, v97, v7
	v_dot4c_i32_i8_e32 v111, v99, v8
	v_mov_b32_e32 v99, 0
	s_waitcnt lgkmcnt(0)
	v_ashrrev_i32_e32 v103, s3, v108
	v_ashrrev_i32_e32 v105, s3, v109
	ds_read2_b32 v[108:109], v93 offset1:1
	v_and_b32_e32 v103, 0x3030303, v103
	v_and_b32_e32 v105, 0x3030303, v105
	v_dot4c_i32_i8_e32 v95, v103, v2
	v_dot4c_i32_i8_e32 v95, v105, v3
	s_waitcnt lgkmcnt(0)
	v_ashrrev_i32_e32 v93, s3, v108
	v_and_b32_e32 v93, 0x3030303, v93
	v_ashrrev_i32_e32 v108, s3, v109
	v_add_u32_e32 v109, s18, v23
	v_dot4c_i32_i8_e32 v95, v93, v4
	ds_read_u16 v93, v109 offset:19968
	v_and_b32_e32 v101, 0x3030303, v101
	v_and_b32_e32 v108, 0x3030303, v108
	v_dot4c_i32_i8_e32 v111, v101, v9
	v_dot4c_i32_i8_e32 v95, v108, v5
	s_waitcnt lgkmcnt(0)
	v_bfe_u32 v97, v93, 4, 4
	v_mul_lo_u32 v97, v97, s23
	v_dot4c_i32_i8_e32 v99, v97, v6
	v_dot4c_i32_i8_e32 v99, v97, v7
	;; [unrolled: 1-line block ×3, first 2 shown]
	v_lshrrev_b32_sdwa v6, v85, v93 dst_sel:DWORD dst_unused:UNUSED_PAD src0_sel:DWORD src1_sel:BYTE_1
	v_dot4c_i32_i8_e32 v99, v97, v9
	v_mul_lo_u32 v6, v6, s23
	v_dot4c_i32_i8_e32 v99, v6, v2
	v_and_b32_e32 v2, 15, v93
	v_dot4c_i32_i8_e32 v99, v6, v3
	v_and_b32_sdwa v3, v93, v87 dst_sel:DWORD dst_unused:UNUSED_PAD src0_sel:BYTE_1 src1_sel:DWORD
	v_and_b32_e32 v2, 0xffff, v2
	v_dot4c_i32_i8_e32 v99, v6, v4
	v_and_b32_e32 v3, 0xffff, v3
	v_mul_lo_u32 v2, v111, v2
	v_dot4c_i32_i8_e32 v99, v6, v5
	v_mad_u64_u32 v[2:3], s[18:19], v95, v3, v[2:3]
	v_cvt_f32_f16_e32 v4, v110
	v_cvt_f32_f16_sdwa v5, v110 dst_sel:DWORD dst_unused:UNUSED_PAD src0_sel:WORD_1
	v_cvt_f32_i32_e32 v2, v2
	v_cvt_f32_i32_e32 v3, v99
	s_add_i32 s3, s2, 2
	s_cmp_lt_u32 s2, 14
	s_mov_b32 s2, s3
	v_pk_mul_f32 v[2:3], v[4:5], v[2:3]
	v_mov_b32_e32 v4, v106
	v_mov_b32_e32 v5, v2
	;; [unrolled: 1-line block ×3, first 2 shown]
	v_pk_add_f32 v[2:3], v[4:5], v[2:3] neg_lo:[0,1] neg_hi:[0,1]
	s_nop 0
	v_pk_fma_f32 v[34:35], v[104:105], v[2:3], v[34:35] op_sel_hi:[0,1,1]
	s_cbranch_scc1 .LBB208_19
; %bb.20:                               ;   in Loop: Header=BB208_5 Depth=1
	s_or_b32 s2, s24, 0x100
	s_cmp_ge_i32 s2, s5
	s_barrier
	s_cbranch_scc1 .LBB208_4
; %bb.21:                               ;   in Loop: Header=BB208_5 Depth=1
	v_add_u32_e32 v2, s25, v45
	v_cmp_gt_i32_e64 s[2:3], s8, v2
	s_and_b64 s[18:19], s[0:1], s[2:3]
	s_and_saveexec_b64 s[2:3], s[18:19]
	s_cbranch_execz .LBB208_23
; %bb.22:                               ;   in Loop: Header=BB208_5 Depth=1
	v_add_u32_e32 v2, v54, v2
	v_mad_i64_i32 v[2:3], s[18:19], v2, 36, v[52:53]
	global_load_dword v2, v[2:3], off offset:4
	s_waitcnt vmcnt(0)
	ds_write_b32 v41, v2
.LBB208_23:                             ;   in Loop: Header=BB208_5 Depth=1
	s_or_b64 exec, exec, s[2:3]
	s_and_saveexec_b64 s[18:19], vcc
	s_cbranch_execz .LBB208_26
; %bb.24:                               ;   in Loop: Header=BB208_5 Depth=1
	v_or_b32_e32 v2, 8, v102
	v_cmp_gt_i32_e64 s[2:3], s8, v2
	s_and_b64 s[2:3], s[0:1], s[2:3]
	s_and_b64 exec, exec, s[2:3]
	s_cbranch_execz .LBB208_26
; %bb.25:                               ;   in Loop: Header=BB208_5 Depth=1
	v_ashrrev_i32_e32 v103, 31, v102
	v_lshl_add_u64 v[2:3], v[54:55], 0, v[102:103]
	v_mad_u64_u32 v[4:5], s[2:3], v2, 36, s[14:15]
	v_mad_i32_i24 v5, v3, 36, v5
	global_load_dword v2, v[4:5], off offset:288
	s_waitcnt vmcnt(0)
	v_cvt_f32_f16_e32 v2, v2
	ds_write_b32 v61, v2
.LBB208_26:                             ;   in Loop: Header=BB208_5 Depth=1
	s_or_b64 exec, exec, s[18:19]
	s_mov_b32 s2, 16
	v_mov_b32_e32 v89, v15
	v_mov_b32_e32 v91, v59
	s_waitcnt lgkmcnt(0)
	s_barrier
.LBB208_27:                             ;   Parent Loop BB208_5 Depth=1
                                        ; =>  This Inner Loop Header: Depth=2
	s_and_b32 s19, s2, 0x3ffffff8
	v_lshl_add_u32 v93, s19, 2, v49
	ds_read_b32 v104, v91
	ds_read_b128 v[6:9], v89
	ds_read_b128 v[2:5], v89 offset:16
	ds_read2_b32 v[106:107], v93 offset1:1
	s_lshr_b32 s19, s2, 2
	s_and_b32 s19, s19, 0x3ffffffc
	s_addk_i32 s19, 0x5280
	s_add_i32 s3, s2, -16
	v_add3_u32 v109, s19, v83, v51
	s_and_b32 s18, s2, -16
	ds_read_b32 v109, v109
	s_waitcnt lgkmcnt(1)
	v_ashrrev_i32_e32 v95, s3, v106
	v_and_b32_e32 v95, 0x3030303, v95
	v_ashrrev_i32_e32 v97, s3, v107
	ds_read2_b32 v[106:107], v93 offset0:2 offset1:3
	s_add_i32 s18, s2, s18
	v_mov_b32_e32 v110, 0
	v_and_b32_e32 v97, 0x3030303, v97
	v_add_u32_e32 v108, s18, v17
	v_dot4c_i32_i8_e32 v110, v95, v6
	v_dot4c_i32_i8_e32 v110, v97, v7
	ds_read_u16 v97, v108 offset:16880
	s_waitcnt lgkmcnt(1)
	v_ashrrev_i32_e32 v99, s3, v106
	v_and_b32_e32 v99, 0x3030303, v99
	v_ashrrev_i32_e32 v101, s3, v107
	ds_read2_b32 v[106:107], v93 offset0:4 offset1:5
	v_and_b32_e32 v101, 0x3030303, v101
	v_dot4c_i32_i8_e32 v110, v99, v8
	s_waitcnt lgkmcnt(1)
	v_bfe_u32 v99, v97, 4, 4
	v_dot4c_i32_i8_e32 v110, v101, v9
	v_mul_lo_u32 v99, v99, s23
	v_mov_b32_e32 v101, 0
	v_dot4c_i32_i8_e32 v101, v99, v6
	v_dot4c_i32_i8_e32 v101, v99, v7
	v_add3_u32 v111, s19, v63, v65
	v_dot4c_i32_i8_e32 v101, v99, v8
	ds_read_b32 v111, v111
	s_waitcnt lgkmcnt(1)
	v_ashrrev_i32_e32 v103, s3, v106
	v_ashrrev_i32_e32 v105, s3, v107
	ds_read2_b32 v[106:107], v93 offset0:6 offset1:7
	v_dot4c_i32_i8_e32 v101, v99, v9
	v_lshrrev_b32_sdwa v99, v85, v97 dst_sel:DWORD dst_unused:UNUSED_PAD src0_sel:DWORD src1_sel:BYTE_1
	v_mul_lo_u32 v99, v99, s23
	v_dot4c_i32_i8_e32 v101, v99, v2
	v_and_b32_e32 v103, 0x3030303, v103
	v_mov_b32_e32 v95, 0
	v_dot4c_i32_i8_e32 v101, v99, v3
	v_and_b32_e32 v105, 0x3030303, v105
	s_waitcnt lgkmcnt(0)
	v_ashrrev_i32_e32 v106, s3, v106
	v_dot4c_i32_i8_e32 v95, v103, v2
	v_dot4c_i32_i8_e32 v101, v99, v4
	v_and_b32_e32 v106, 0x3030303, v106
	v_ashrrev_i32_e32 v107, s3, v107
	v_dot4c_i32_i8_e32 v95, v105, v3
	v_dot4c_i32_i8_e32 v101, v99, v5
	v_and_b32_e32 v99, 15, v97
	v_and_b32_e32 v107, 0x3030303, v107
	v_dot4c_i32_i8_e32 v95, v106, v4
	v_and_b32_sdwa v97, v97, v87 dst_sel:DWORD dst_unused:UNUSED_PAD src0_sel:BYTE_1 src1_sel:DWORD
	v_and_b32_e32 v99, 0xffff, v99
	v_dot4c_i32_i8_e32 v95, v107, v5
	v_and_b32_e32 v97, 0xffff, v97
	v_mul_lo_u32 v106, v110, v99
	v_cvt_f32_f16_e32 v108, v109
	v_mad_u64_u32 v[106:107], s[26:27], v95, v97, v[106:107]
	v_cvt_f32_f16_sdwa v109, v109 dst_sel:DWORD dst_unused:UNUSED_PAD src0_sel:WORD_1
	v_cvt_f32_i32_e32 v106, v106
	v_cvt_f32_i32_e32 v107, v101
	v_add_u32_e32 v95, 0x1080, v93
	v_add_u32_e32 v99, 0x1088, v93
	v_mov_b32_e32 v112, 0
	v_pk_mul_f32 v[106:107], v[108:109], v[106:107]
	ds_read2_b32 v[108:109], v95 offset1:1
	v_add_u32_e32 v110, s18, v19
	v_add_u32_e32 v103, 0x1090, v93
	;; [unrolled: 1-line block ×4, first 2 shown]
	s_waitcnt lgkmcnt(0)
	v_ashrrev_i32_e32 v95, s3, v108
	v_and_b32_e32 v95, 0x3030303, v95
	v_ashrrev_i32_e32 v97, s3, v109
	ds_read2_b32 v[108:109], v99 offset1:1
	v_and_b32_e32 v97, 0x3030303, v97
	v_dot4c_i32_i8_e32 v112, v95, v6
	v_dot4c_i32_i8_e32 v112, v97, v7
	ds_read_u16 v97, v110 offset:17904
	s_waitcnt lgkmcnt(1)
	v_ashrrev_i32_e32 v99, s3, v108
	v_ashrrev_i32_e32 v101, s3, v109
	ds_read2_b32 v[108:109], v103 offset1:1
	v_and_b32_e32 v99, 0x3030303, v99
	v_and_b32_e32 v101, 0x3030303, v101
	v_dot4c_i32_i8_e32 v112, v99, v8
	s_waitcnt lgkmcnt(1)
	v_bfe_u32 v99, v97, 4, 4
	v_dot4c_i32_i8_e32 v112, v101, v9
	v_mul_lo_u32 v99, v99, s23
	v_mov_b32_e32 v101, 0
	v_dot4c_i32_i8_e32 v101, v99, v6
	s_waitcnt lgkmcnt(0)
	v_ashrrev_i32_e32 v103, s3, v108
	v_add_u32_e32 v108, 0x1098, v93
	v_dot4c_i32_i8_e32 v101, v99, v7
	v_ashrrev_i32_e32 v105, s3, v109
	ds_read2_b32 v[108:109], v108 offset1:1
	v_dot4c_i32_i8_e32 v101, v99, v8
	v_dot4c_i32_i8_e32 v101, v99, v9
	v_lshrrev_b32_sdwa v99, v85, v97 dst_sel:DWORD dst_unused:UNUSED_PAD src0_sel:DWORD src1_sel:BYTE_1
	v_mul_lo_u32 v99, v99, s23
	v_dot4c_i32_i8_e32 v101, v99, v2
	v_and_b32_e32 v103, 0x3030303, v103
	v_mov_b32_e32 v95, 0
	v_dot4c_i32_i8_e32 v101, v99, v3
	v_and_b32_e32 v105, 0x3030303, v105
	s_waitcnt lgkmcnt(0)
	v_ashrrev_i32_e32 v108, s3, v108
	v_dot4c_i32_i8_e32 v95, v103, v2
	v_dot4c_i32_i8_e32 v101, v99, v4
	v_and_b32_e32 v108, 0x3030303, v108
	v_ashrrev_i32_e32 v109, s3, v109
	v_dot4c_i32_i8_e32 v95, v105, v3
	v_dot4c_i32_i8_e32 v101, v99, v5
	v_and_b32_e32 v99, 15, v97
	v_and_b32_e32 v109, 0x3030303, v109
	v_dot4c_i32_i8_e32 v95, v108, v4
	v_and_b32_sdwa v97, v97, v87 dst_sel:DWORD dst_unused:UNUSED_PAD src0_sel:BYTE_1 src1_sel:DWORD
	v_and_b32_e32 v99, 0xffff, v99
	v_dot4c_i32_i8_e32 v95, v109, v5
	v_and_b32_e32 v97, 0xffff, v97
	v_mul_lo_u32 v108, v112, v99
	v_mov_b32_e32 v110, v107
	v_mad_u64_u32 v[108:109], s[26:27], v95, v97, v[108:109]
	v_cvt_f32_f16_e32 v95, v111
	v_cvt_f32_i32_e32 v99, v108
	v_cvt_f32_f16_sdwa v97, v111 dst_sel:DWORD dst_unused:UNUSED_PAD src0_sel:WORD_1
	v_mov_b32_e32 v108, v106
	v_add_u32_e32 v103, 0x2110, v93
	v_mul_f32_e32 v109, v95, v99
	v_cvt_f32_i32_e32 v95, v101
	v_add_u32_e32 v99, 0x2108, v93
	v_mul_f32_e32 v111, v97, v95
	v_pk_add_f32 v[106:107], v[108:109], v[110:111] neg_lo:[0,1] neg_hi:[0,1]
	v_add_u32_e32 v95, 0x2100, v93
	v_pk_fma_f32 v[36:37], v[104:105], v[106:107], v[36:37] op_sel_hi:[0,1,1]
	ds_read2_b32 v[106:107], v95 offset1:1
	v_add3_u32 v109, s19, v67, v69
	ds_read_b32 v109, v109
	v_mov_b32_e32 v110, 0
	v_add_u32_e32 v108, s18, v21
	s_waitcnt lgkmcnt(1)
	v_ashrrev_i32_e32 v95, s3, v106
	v_and_b32_e32 v95, 0x3030303, v95
	v_ashrrev_i32_e32 v97, s3, v107
	ds_read2_b32 v[106:107], v99 offset1:1
	v_and_b32_e32 v97, 0x3030303, v97
	v_dot4c_i32_i8_e32 v110, v95, v6
	v_dot4c_i32_i8_e32 v110, v97, v7
	ds_read_u16 v97, v108 offset:18928
	s_waitcnt lgkmcnt(1)
	v_ashrrev_i32_e32 v99, s3, v106
	v_ashrrev_i32_e32 v101, s3, v107
	ds_read2_b32 v[106:107], v103 offset1:1
	v_and_b32_e32 v99, 0x3030303, v99
	v_and_b32_e32 v101, 0x3030303, v101
	v_dot4c_i32_i8_e32 v110, v99, v8
	s_waitcnt lgkmcnt(1)
	v_bfe_u32 v99, v97, 4, 4
	v_dot4c_i32_i8_e32 v110, v101, v9
	v_mul_lo_u32 v99, v99, s23
	v_mov_b32_e32 v101, 0
	v_dot4c_i32_i8_e32 v101, v99, v6
	s_waitcnt lgkmcnt(0)
	v_ashrrev_i32_e32 v103, s3, v106
	v_add_u32_e32 v106, 0x2118, v93
	v_dot4c_i32_i8_e32 v101, v99, v7
	v_ashrrev_i32_e32 v105, s3, v107
	ds_read2_b32 v[106:107], v106 offset1:1
	v_dot4c_i32_i8_e32 v101, v99, v8
	v_dot4c_i32_i8_e32 v101, v99, v9
	v_lshrrev_b32_sdwa v99, v85, v97 dst_sel:DWORD dst_unused:UNUSED_PAD src0_sel:DWORD src1_sel:BYTE_1
	v_mul_lo_u32 v99, v99, s23
	v_dot4c_i32_i8_e32 v101, v99, v2
	v_and_b32_e32 v103, 0x3030303, v103
	v_mov_b32_e32 v95, 0
	v_dot4c_i32_i8_e32 v101, v99, v3
	v_and_b32_e32 v105, 0x3030303, v105
	s_waitcnt lgkmcnt(0)
	v_ashrrev_i32_e32 v106, s3, v106
	v_dot4c_i32_i8_e32 v95, v103, v2
	v_dot4c_i32_i8_e32 v101, v99, v4
	v_and_b32_e32 v106, 0x3030303, v106
	v_ashrrev_i32_e32 v107, s3, v107
	v_dot4c_i32_i8_e32 v95, v105, v3
	v_dot4c_i32_i8_e32 v101, v99, v5
	v_and_b32_e32 v99, 15, v97
	v_and_b32_e32 v107, 0x3030303, v107
	v_dot4c_i32_i8_e32 v95, v106, v4
	v_and_b32_sdwa v97, v97, v87 dst_sel:DWORD dst_unused:UNUSED_PAD src0_sel:BYTE_1 src1_sel:DWORD
	v_and_b32_e32 v99, 0xffff, v99
	v_dot4c_i32_i8_e32 v95, v107, v5
	v_and_b32_e32 v97, 0xffff, v97
	v_mul_lo_u32 v106, v110, v99
	v_cvt_f32_f16_e32 v108, v109
	v_mad_u64_u32 v[106:107], s[26:27], v95, v97, v[106:107]
	v_cvt_f32_f16_sdwa v109, v109 dst_sel:DWORD dst_unused:UNUSED_PAD src0_sel:WORD_1
	v_cvt_f32_i32_e32 v106, v106
	v_cvt_f32_i32_e32 v107, v101
	v_add_u32_e32 v95, 0x3180, v93
	v_add_u32_e32 v99, 0x3188, v93
	;; [unrolled: 1-line block ×3, first 2 shown]
	v_pk_mul_f32 v[106:107], v[108:109], v[106:107]
	ds_read2_b32 v[108:109], v95 offset1:1
	v_add_u32_e32 v93, 0x3198, v93
	v_mov_b32_e32 v111, 0
	v_add3_u32 v110, s19, v71, v73
	ds_read_b32 v110, v110
	s_waitcnt lgkmcnt(1)
	v_ashrrev_i32_e32 v95, s3, v108
	v_ashrrev_i32_e32 v97, s3, v109
	ds_read2_b32 v[108:109], v99 offset1:1
	v_and_b32_e32 v95, 0x3030303, v95
	v_dot4c_i32_i8_e32 v111, v95, v6
	v_mov_b32_e32 v95, 0
	v_and_b32_e32 v97, 0x3030303, v97
	s_waitcnt lgkmcnt(0)
	v_ashrrev_i32_e32 v99, s3, v108
	v_ashrrev_i32_e32 v101, s3, v109
	ds_read2_b32 v[108:109], v103 offset1:1
	v_and_b32_e32 v99, 0x3030303, v99
	v_dot4c_i32_i8_e32 v111, v97, v7
	v_dot4c_i32_i8_e32 v111, v99, v8
	v_mov_b32_e32 v99, 0
	s_waitcnt lgkmcnt(0)
	v_ashrrev_i32_e32 v103, s3, v108
	v_ashrrev_i32_e32 v105, s3, v109
	ds_read2_b32 v[108:109], v93 offset1:1
	v_and_b32_e32 v103, 0x3030303, v103
	v_and_b32_e32 v105, 0x3030303, v105
	v_dot4c_i32_i8_e32 v95, v103, v2
	v_dot4c_i32_i8_e32 v95, v105, v3
	s_waitcnt lgkmcnt(0)
	v_ashrrev_i32_e32 v93, s3, v108
	v_and_b32_e32 v93, 0x3030303, v93
	v_ashrrev_i32_e32 v108, s3, v109
	v_add_u32_e32 v109, s18, v23
	v_dot4c_i32_i8_e32 v95, v93, v4
	ds_read_u16 v93, v109 offset:19952
	v_and_b32_e32 v101, 0x3030303, v101
	v_and_b32_e32 v108, 0x3030303, v108
	v_dot4c_i32_i8_e32 v111, v101, v9
	v_dot4c_i32_i8_e32 v95, v108, v5
	s_waitcnt lgkmcnt(0)
	v_bfe_u32 v97, v93, 4, 4
	v_mul_lo_u32 v97, v97, s23
	v_dot4c_i32_i8_e32 v99, v97, v6
	v_dot4c_i32_i8_e32 v99, v97, v7
	;; [unrolled: 1-line block ×3, first 2 shown]
	v_lshrrev_b32_sdwa v6, v85, v93 dst_sel:DWORD dst_unused:UNUSED_PAD src0_sel:DWORD src1_sel:BYTE_1
	v_dot4c_i32_i8_e32 v99, v97, v9
	v_mul_lo_u32 v6, v6, s23
	v_dot4c_i32_i8_e32 v99, v6, v2
	v_and_b32_e32 v2, 15, v93
	v_dot4c_i32_i8_e32 v99, v6, v3
	v_and_b32_sdwa v3, v93, v87 dst_sel:DWORD dst_unused:UNUSED_PAD src0_sel:BYTE_1 src1_sel:DWORD
	v_and_b32_e32 v2, 0xffff, v2
	v_dot4c_i32_i8_e32 v99, v6, v4
	v_and_b32_e32 v3, 0xffff, v3
	v_mul_lo_u32 v2, v111, v2
	v_dot4c_i32_i8_e32 v99, v6, v5
	v_mad_u64_u32 v[2:3], s[18:19], v95, v3, v[2:3]
	v_cvt_f32_f16_e32 v4, v110
	v_cvt_f32_f16_sdwa v5, v110 dst_sel:DWORD dst_unused:UNUSED_PAD src0_sel:WORD_1
	v_cvt_f32_i32_e32 v2, v2
	v_cvt_f32_i32_e32 v3, v99
	s_add_i32 s3, s2, 2
	s_cmp_lt_u32 s2, 22
	s_mov_b32 s2, s3
	v_pk_mul_f32 v[2:3], v[4:5], v[2:3]
	v_mov_b32_e32 v4, v106
	v_mov_b32_e32 v5, v2
	;; [unrolled: 1-line block ×3, first 2 shown]
	v_pk_add_f32 v[2:3], v[4:5], v[2:3] neg_lo:[0,1] neg_hi:[0,1]
	s_nop 0
	v_pk_fma_f32 v[34:35], v[104:105], v[2:3], v[34:35] op_sel_hi:[0,1,1]
	s_cbranch_scc1 .LBB208_27
; %bb.28:                               ;   in Loop: Header=BB208_5 Depth=1
	s_or_b32 s2, s24, 0x180
	s_cmp_ge_i32 s2, s5
	s_barrier
	s_cbranch_scc1 .LBB208_4
; %bb.29:                               ;   in Loop: Header=BB208_5 Depth=1
	v_add_u32_e32 v2, s25, v47
	v_cmp_gt_i32_e64 s[2:3], s8, v2
	s_and_b64 s[18:19], s[0:1], s[2:3]
	s_and_saveexec_b64 s[2:3], s[18:19]
	s_cbranch_execz .LBB208_31
; %bb.30:                               ;   in Loop: Header=BB208_5 Depth=1
	v_add_u32_e32 v2, v54, v2
	v_mad_i64_i32 v[2:3], s[18:19], v2, 36, v[52:53]
	global_load_dword v2, v[2:3], off offset:4
	s_waitcnt vmcnt(0)
	ds_write_b32 v41, v2
.LBB208_31:                             ;   in Loop: Header=BB208_5 Depth=1
	s_or_b64 exec, exec, s[2:3]
	s_and_saveexec_b64 s[18:19], vcc
	s_cbranch_execz .LBB208_34
; %bb.32:                               ;   in Loop: Header=BB208_5 Depth=1
	v_or_b32_e32 v2, 12, v102
	v_cmp_gt_i32_e64 s[2:3], s8, v2
	s_and_b64 s[2:3], s[0:1], s[2:3]
	s_and_b64 exec, exec, s[2:3]
	s_cbranch_execz .LBB208_34
; %bb.33:                               ;   in Loop: Header=BB208_5 Depth=1
	v_ashrrev_i32_e32 v103, 31, v102
	v_lshl_add_u64 v[2:3], v[54:55], 0, v[102:103]
	v_mad_u64_u32 v[4:5], s[2:3], v2, 36, s[14:15]
	v_mad_i32_i24 v5, v3, 36, v5
	global_load_dword v2, v[4:5], off offset:432
	s_waitcnt vmcnt(0)
	v_cvt_f32_f16_e32 v2, v2
	ds_write_b32 v61, v2
.LBB208_34:                             ;   in Loop: Header=BB208_5 Depth=1
	s_or_b64 exec, exec, s[18:19]
	s_mov_b32 s2, 24
	v_mov_b32_e32 v89, v15
	v_mov_b32_e32 v91, v59
	s_waitcnt lgkmcnt(0)
	s_barrier
.LBB208_35:                             ;   Parent Loop BB208_5 Depth=1
                                        ; =>  This Inner Loop Header: Depth=2
	s_and_b32 s19, s2, 0x3ffffff8
	v_lshl_add_u32 v93, s19, 2, v49
	ds_read_b32 v102, v91
	ds_read_b128 v[6:9], v89
	ds_read_b128 v[2:5], v89 offset:16
	ds_read2_b32 v[104:105], v93 offset1:1
	s_lshr_b32 s19, s2, 2
	s_and_b32 s19, s19, 0x3ffffffc
	s_addk_i32 s19, 0x5280
	s_sub_i32 s3, s2, 24
	v_add3_u32 v108, s19, v83, v51
	s_and_b32 s18, s2, -16
	ds_read_b32 v108, v108
	s_waitcnt lgkmcnt(1)
	v_ashrrev_i32_e32 v95, s3, v104
	v_and_b32_e32 v95, 0x3030303, v95
	v_ashrrev_i32_e32 v97, s3, v105
	ds_read2_b32 v[104:105], v93 offset0:2 offset1:3
	s_add_i32 s18, s2, s18
	v_mov_b32_e32 v109, 0
	v_and_b32_e32 v97, 0x3030303, v97
	v_add_u32_e32 v107, s18, v17
	v_dot4c_i32_i8_e32 v109, v95, v6
	v_dot4c_i32_i8_e32 v109, v97, v7
	ds_read_u16 v97, v107 offset:16880
	s_waitcnt lgkmcnt(1)
	v_ashrrev_i32_e32 v99, s3, v104
	v_ashrrev_i32_e32 v101, s3, v105
	ds_read2_b32 v[104:105], v93 offset0:4 offset1:5
	v_and_b32_e32 v99, 0x3030303, v99
	v_and_b32_e32 v101, 0x3030303, v101
	v_dot4c_i32_i8_e32 v109, v99, v8
	s_waitcnt lgkmcnt(1)
	v_bfe_u32 v99, v97, 4, 4
	v_dot4c_i32_i8_e32 v109, v101, v9
	v_mul_lo_u32 v99, v99, s23
	v_mov_b32_e32 v101, 0
	v_dot4c_i32_i8_e32 v101, v99, v6
	v_add3_u32 v110, s19, v63, v65
	v_dot4c_i32_i8_e32 v101, v99, v7
	ds_read_b32 v110, v110
	s_waitcnt lgkmcnt(1)
	v_ashrrev_i32_e32 v103, s3, v104
	v_ashrrev_i32_e32 v104, s3, v105
	v_and_b32_e32 v106, 0x3030303, v104
	ds_read2_b32 v[104:105], v93 offset0:6 offset1:7
	v_dot4c_i32_i8_e32 v101, v99, v8
	v_dot4c_i32_i8_e32 v101, v99, v9
	v_lshrrev_b32_sdwa v99, v85, v97 dst_sel:DWORD dst_unused:UNUSED_PAD src0_sel:DWORD src1_sel:BYTE_1
	v_mul_lo_u32 v99, v99, s23
	v_dot4c_i32_i8_e32 v101, v99, v2
	v_and_b32_e32 v103, 0x3030303, v103
	v_mov_b32_e32 v95, 0
	v_dot4c_i32_i8_e32 v101, v99, v3
	s_waitcnt lgkmcnt(0)
	v_ashrrev_i32_e32 v104, s3, v104
	v_dot4c_i32_i8_e32 v95, v103, v2
	v_dot4c_i32_i8_e32 v101, v99, v4
	v_and_b32_e32 v104, 0x3030303, v104
	v_ashrrev_i32_e32 v105, s3, v105
	v_dot4c_i32_i8_e32 v95, v106, v3
	v_dot4c_i32_i8_e32 v101, v99, v5
	v_and_b32_e32 v99, 15, v97
	v_and_b32_e32 v105, 0x3030303, v105
	v_dot4c_i32_i8_e32 v95, v104, v4
	v_and_b32_sdwa v97, v97, v87 dst_sel:DWORD dst_unused:UNUSED_PAD src0_sel:BYTE_1 src1_sel:DWORD
	v_and_b32_e32 v99, 0xffff, v99
	v_dot4c_i32_i8_e32 v95, v105, v5
	v_and_b32_e32 v97, 0xffff, v97
	v_mul_lo_u32 v104, v109, v99
	v_cvt_f32_f16_e32 v106, v108
	v_mad_u64_u32 v[104:105], s[24:25], v95, v97, v[104:105]
	v_cvt_f32_f16_sdwa v107, v108 dst_sel:DWORD dst_unused:UNUSED_PAD src0_sel:WORD_1
	v_cvt_f32_i32_e32 v104, v104
	v_cvt_f32_i32_e32 v105, v101
	v_add_u32_e32 v95, 0x1080, v93
	v_add_u32_e32 v99, 0x1088, v93
	v_mov_b32_e32 v111, 0
	v_pk_mul_f32 v[104:105], v[106:107], v[104:105]
	ds_read2_b32 v[106:107], v95 offset1:1
	v_add_u32_e32 v109, s18, v19
	v_add_u32_e32 v103, 0x1090, v93
	;; [unrolled: 1-line block ×4, first 2 shown]
	s_waitcnt lgkmcnt(0)
	v_ashrrev_i32_e32 v95, s3, v106
	v_ashrrev_i32_e32 v97, s3, v107
	ds_read2_b32 v[106:107], v99 offset1:1
	v_and_b32_e32 v95, 0x3030303, v95
	v_and_b32_e32 v97, 0x3030303, v97
	v_dot4c_i32_i8_e32 v111, v95, v6
	v_dot4c_i32_i8_e32 v111, v97, v7
	ds_read_u16 v97, v109 offset:17904
	s_waitcnt lgkmcnt(1)
	v_ashrrev_i32_e32 v99, s3, v106
	v_ashrrev_i32_e32 v101, s3, v107
	ds_read2_b32 v[106:107], v103 offset1:1
	v_and_b32_e32 v99, 0x3030303, v99
	v_and_b32_e32 v101, 0x3030303, v101
	v_dot4c_i32_i8_e32 v111, v99, v8
	s_waitcnt lgkmcnt(1)
	v_bfe_u32 v99, v97, 4, 4
	v_dot4c_i32_i8_e32 v111, v101, v9
	v_mul_lo_u32 v99, v99, s23
	v_mov_b32_e32 v101, 0
	s_waitcnt lgkmcnt(0)
	v_ashrrev_i32_e32 v103, s3, v106
	v_ashrrev_i32_e32 v106, s3, v107
	v_dot4c_i32_i8_e32 v101, v99, v6
	v_and_b32_e32 v108, 0x3030303, v106
	v_add_u32_e32 v106, 0x1098, v93
	v_dot4c_i32_i8_e32 v101, v99, v7
	ds_read2_b32 v[106:107], v106 offset1:1
	v_dot4c_i32_i8_e32 v101, v99, v8
	v_dot4c_i32_i8_e32 v101, v99, v9
	v_lshrrev_b32_sdwa v99, v85, v97 dst_sel:DWORD dst_unused:UNUSED_PAD src0_sel:DWORD src1_sel:BYTE_1
	v_mul_lo_u32 v99, v99, s23
	v_dot4c_i32_i8_e32 v101, v99, v2
	v_and_b32_e32 v103, 0x3030303, v103
	v_mov_b32_e32 v95, 0
	v_dot4c_i32_i8_e32 v101, v99, v3
	s_waitcnt lgkmcnt(0)
	v_ashrrev_i32_e32 v106, s3, v106
	v_dot4c_i32_i8_e32 v95, v103, v2
	v_dot4c_i32_i8_e32 v101, v99, v4
	v_and_b32_e32 v106, 0x3030303, v106
	v_ashrrev_i32_e32 v107, s3, v107
	v_dot4c_i32_i8_e32 v95, v108, v3
	v_dot4c_i32_i8_e32 v101, v99, v5
	v_and_b32_e32 v99, 15, v97
	v_and_b32_e32 v107, 0x3030303, v107
	v_dot4c_i32_i8_e32 v95, v106, v4
	v_and_b32_sdwa v97, v97, v87 dst_sel:DWORD dst_unused:UNUSED_PAD src0_sel:BYTE_1 src1_sel:DWORD
	v_and_b32_e32 v99, 0xffff, v99
	v_dot4c_i32_i8_e32 v95, v107, v5
	v_and_b32_e32 v97, 0xffff, v97
	v_mul_lo_u32 v106, v111, v99
	v_mov_b32_e32 v108, v105
	v_mad_u64_u32 v[106:107], s[24:25], v95, v97, v[106:107]
	v_cvt_f32_f16_e32 v95, v110
	v_cvt_f32_i32_e32 v99, v106
	v_cvt_f32_f16_sdwa v97, v110 dst_sel:DWORD dst_unused:UNUSED_PAD src0_sel:WORD_1
	v_mov_b32_e32 v106, v104
	v_mov_b32_e32 v110, 0
	v_mul_f32_e32 v107, v95, v99
	v_cvt_f32_i32_e32 v95, v101
	v_add_u32_e32 v99, 0x2108, v93
	v_mul_f32_e32 v109, v97, v95
	v_pk_add_f32 v[104:105], v[106:107], v[108:109] neg_lo:[0,1] neg_hi:[0,1]
	v_add_u32_e32 v95, 0x2100, v93
	v_pk_fma_f32 v[36:37], v[102:103], v[104:105], v[36:37] op_sel_hi:[0,1,1]
	ds_read2_b32 v[104:105], v95 offset1:1
	v_add3_u32 v108, s19, v67, v69
	ds_read_b32 v108, v108
	v_mov_b32_e32 v109, 0
	v_add_u32_e32 v107, s18, v21
	s_waitcnt lgkmcnt(1)
	v_ashrrev_i32_e32 v95, s3, v104
	v_ashrrev_i32_e32 v97, s3, v105
	ds_read2_b32 v[104:105], v99 offset1:1
	v_and_b32_e32 v95, 0x3030303, v95
	v_and_b32_e32 v97, 0x3030303, v97
	v_dot4c_i32_i8_e32 v109, v95, v6
	v_dot4c_i32_i8_e32 v109, v97, v7
	ds_read_u16 v97, v107 offset:18928
	v_add_u32_e32 v103, 0x2110, v93
	s_waitcnt lgkmcnt(1)
	v_ashrrev_i32_e32 v99, s3, v104
	v_ashrrev_i32_e32 v101, s3, v105
	ds_read2_b32 v[104:105], v103 offset1:1
	v_and_b32_e32 v99, 0x3030303, v99
	v_and_b32_e32 v101, 0x3030303, v101
	v_dot4c_i32_i8_e32 v109, v99, v8
	s_waitcnt lgkmcnt(1)
	v_bfe_u32 v99, v97, 4, 4
	v_dot4c_i32_i8_e32 v109, v101, v9
	v_mul_lo_u32 v99, v99, s23
	v_mov_b32_e32 v101, 0
	s_waitcnt lgkmcnt(0)
	v_ashrrev_i32_e32 v103, s3, v104
	v_ashrrev_i32_e32 v104, s3, v105
	v_dot4c_i32_i8_e32 v101, v99, v6
	v_and_b32_e32 v106, 0x3030303, v104
	v_add_u32_e32 v104, 0x2118, v93
	v_dot4c_i32_i8_e32 v101, v99, v7
	ds_read2_b32 v[104:105], v104 offset1:1
	v_dot4c_i32_i8_e32 v101, v99, v8
	v_dot4c_i32_i8_e32 v101, v99, v9
	v_lshrrev_b32_sdwa v99, v85, v97 dst_sel:DWORD dst_unused:UNUSED_PAD src0_sel:DWORD src1_sel:BYTE_1
	v_mul_lo_u32 v99, v99, s23
	v_dot4c_i32_i8_e32 v101, v99, v2
	v_and_b32_e32 v103, 0x3030303, v103
	v_mov_b32_e32 v95, 0
	v_dot4c_i32_i8_e32 v101, v99, v3
	s_waitcnt lgkmcnt(0)
	v_ashrrev_i32_e32 v104, s3, v104
	v_dot4c_i32_i8_e32 v95, v103, v2
	v_dot4c_i32_i8_e32 v101, v99, v4
	v_and_b32_e32 v104, 0x3030303, v104
	v_ashrrev_i32_e32 v105, s3, v105
	v_dot4c_i32_i8_e32 v95, v106, v3
	v_dot4c_i32_i8_e32 v101, v99, v5
	v_and_b32_e32 v99, 15, v97
	v_and_b32_e32 v105, 0x3030303, v105
	v_dot4c_i32_i8_e32 v95, v104, v4
	v_and_b32_sdwa v97, v97, v87 dst_sel:DWORD dst_unused:UNUSED_PAD src0_sel:BYTE_1 src1_sel:DWORD
	v_and_b32_e32 v99, 0xffff, v99
	v_dot4c_i32_i8_e32 v95, v105, v5
	v_and_b32_e32 v97, 0xffff, v97
	v_mul_lo_u32 v104, v109, v99
	v_cvt_f32_f16_e32 v106, v108
	v_mad_u64_u32 v[104:105], s[24:25], v95, v97, v[104:105]
	v_cvt_f32_f16_sdwa v107, v108 dst_sel:DWORD dst_unused:UNUSED_PAD src0_sel:WORD_1
	v_cvt_f32_i32_e32 v104, v104
	v_cvt_f32_i32_e32 v105, v101
	v_add_u32_e32 v95, 0x3180, v93
	v_add_u32_e32 v99, 0x3188, v93
	;; [unrolled: 1-line block ×3, first 2 shown]
	v_pk_mul_f32 v[104:105], v[106:107], v[104:105]
	ds_read2_b32 v[106:107], v95 offset1:1
	v_add_u32_e32 v93, 0x3198, v93
	v_add3_u32 v109, s19, v71, v73
	ds_read_b32 v109, v109
	s_waitcnt lgkmcnt(1)
	v_ashrrev_i32_e32 v95, s3, v106
	v_ashrrev_i32_e32 v97, s3, v107
	ds_read2_b32 v[106:107], v99 offset1:1
	v_and_b32_e32 v95, 0x3030303, v95
	v_dot4c_i32_i8_e32 v110, v95, v6
	v_mov_b32_e32 v95, 0
	v_and_b32_e32 v97, 0x3030303, v97
	s_waitcnt lgkmcnt(0)
	v_ashrrev_i32_e32 v99, s3, v106
	v_ashrrev_i32_e32 v101, s3, v107
	ds_read2_b32 v[106:107], v103 offset1:1
	v_and_b32_e32 v99, 0x3030303, v99
	v_dot4c_i32_i8_e32 v110, v97, v7
	v_dot4c_i32_i8_e32 v110, v99, v8
	v_mov_b32_e32 v99, 0
	s_waitcnt lgkmcnt(0)
	v_ashrrev_i32_e32 v103, s3, v106
	v_ashrrev_i32_e32 v106, s3, v107
	v_and_b32_e32 v108, 0x3030303, v106
	ds_read2_b32 v[106:107], v93 offset1:1
	v_and_b32_e32 v103, 0x3030303, v103
	v_dot4c_i32_i8_e32 v95, v103, v2
	v_dot4c_i32_i8_e32 v95, v108, v3
	v_and_b32_e32 v101, 0x3030303, v101
	s_waitcnt lgkmcnt(0)
	v_ashrrev_i32_e32 v93, s3, v106
	v_and_b32_e32 v93, 0x3030303, v93
	v_ashrrev_i32_e32 v106, s3, v107
	v_add_u32_e32 v107, s18, v23
	v_dot4c_i32_i8_e32 v95, v93, v4
	ds_read_u16 v93, v107 offset:19952
	v_and_b32_e32 v106, 0x3030303, v106
	v_dot4c_i32_i8_e32 v110, v101, v9
	v_dot4c_i32_i8_e32 v95, v106, v5
	s_add_i32 s3, s2, 2
	s_waitcnt lgkmcnt(0)
	v_bfe_u32 v97, v93, 4, 4
	v_mul_lo_u32 v97, v97, s23
	v_dot4c_i32_i8_e32 v99, v97, v6
	v_dot4c_i32_i8_e32 v99, v97, v7
	;; [unrolled: 1-line block ×3, first 2 shown]
	v_lshrrev_b32_sdwa v6, v85, v93 dst_sel:DWORD dst_unused:UNUSED_PAD src0_sel:DWORD src1_sel:BYTE_1
	v_dot4c_i32_i8_e32 v99, v97, v9
	v_mul_lo_u32 v6, v6, s23
	v_dot4c_i32_i8_e32 v99, v6, v2
	v_and_b32_e32 v2, 15, v93
	v_dot4c_i32_i8_e32 v99, v6, v3
	v_and_b32_sdwa v3, v93, v87 dst_sel:DWORD dst_unused:UNUSED_PAD src0_sel:BYTE_1 src1_sel:DWORD
	v_and_b32_e32 v2, 0xffff, v2
	v_dot4c_i32_i8_e32 v99, v6, v4
	v_and_b32_e32 v3, 0xffff, v3
	v_mul_lo_u32 v2, v110, v2
	v_dot4c_i32_i8_e32 v99, v6, v5
	v_mad_u64_u32 v[2:3], s[18:19], v95, v3, v[2:3]
	v_cvt_f32_f16_e32 v4, v109
	v_cvt_f32_f16_sdwa v5, v109 dst_sel:DWORD dst_unused:UNUSED_PAD src0_sel:WORD_1
	v_cvt_f32_i32_e32 v2, v2
	v_cvt_f32_i32_e32 v3, v99
	s_cmp_lt_u32 s2, 30
	s_mov_b32 s2, s3
	v_pk_mul_f32 v[2:3], v[4:5], v[2:3]
	v_mov_b32_e32 v4, v104
	v_mov_b32_e32 v5, v2
	v_mov_b32_e32 v2, v105
	v_pk_add_f32 v[2:3], v[4:5], v[2:3] neg_lo:[0,1] neg_hi:[0,1]
	s_nop 0
	v_pk_fma_f32 v[34:35], v[102:103], v[2:3], v[34:35] op_sel_hi:[0,1,1]
	s_cbranch_scc1 .LBB208_35
; %bb.36:                               ;   in Loop: Header=BB208_5 Depth=1
	s_barrier
	s_branch .LBB208_4
.LBB208_37:
	s_mul_i32 s0, s10, s7
	s_waitcnt vmcnt(0)
	v_cmp_gt_i32_e32 vcc, s0, v1
	s_and_saveexec_b64 s[0:1], vcc
	s_cbranch_execz .LBB208_46
; %bb.38:
	v_and_b32_e32 v0, 0x3ff, v0
	v_add_u32_e32 v2, s11, v0
	v_mul_lo_u32 v0, v1, s9
	v_cmp_gt_u32_e32 vcc, s9, v2
	s_and_saveexec_b64 s[0:1], vcc
	s_cbranch_execz .LBB208_40
; %bb.39:
	v_cvt_f16_f32_e32 v1, v36
	v_add_u32_e32 v4, v0, v2
	v_mov_b32_e32 v5, 0
	v_lshl_add_u64 v[4:5], v[4:5], 1, s[16:17]
	global_store_short v[4:5], v1, off
.LBB208_40:
	s_or_b64 exec, exec, s[0:1]
	v_add_u32_e32 v1, 32, v2
	v_cmp_gt_u32_e32 vcc, s9, v1
	s_and_saveexec_b64 s[0:1], vcc
	s_cbranch_execz .LBB208_42
; %bb.41:
	v_cvt_f16_f32_e32 v3, v37
	v_add_u32_e32 v4, v0, v1
	v_mov_b32_e32 v5, 0
	v_lshl_add_u64 v[4:5], v[4:5], 1, s[16:17]
	global_store_short v[4:5], v3, off
.LBB208_42:
	s_or_b64 exec, exec, s[0:1]
	v_add_u32_e32 v1, 64, v2
	;; [unrolled: 12-line block ×3, first 2 shown]
	v_cmp_gt_u32_e32 vcc, s9, v1
	s_and_b64 exec, exec, vcc
	s_cbranch_execz .LBB208_46
; %bb.45:
	v_cvt_f16_f32_e32 v2, v35
	v_add_u32_e32 v0, v0, v1
	v_mov_b32_e32 v1, 0
	v_lshl_add_u64 v[0:1], v[0:1], 1, s[16:17]
	global_store_short v[0:1], v2, off
.LBB208_46:
	s_endpgm
	.section	.rodata,"a",@progbits
	.p2align	6, 0x0
	.amdhsa_kernel _ZL8moe_q2_KIN3c104HalfELb1EEvPKvS3_PT_PKiS7_S7_iiiiiii
		.amdhsa_group_segment_fixed_size 23328
		.amdhsa_private_segment_fixed_size 0
		.amdhsa_kernarg_size 76
		.amdhsa_user_sgpr_count 2
		.amdhsa_user_sgpr_dispatch_ptr 0
		.amdhsa_user_sgpr_queue_ptr 0
		.amdhsa_user_sgpr_kernarg_segment_ptr 1
		.amdhsa_user_sgpr_dispatch_id 0
		.amdhsa_user_sgpr_kernarg_preload_length 0
		.amdhsa_user_sgpr_kernarg_preload_offset 0
		.amdhsa_user_sgpr_private_segment_size 0
		.amdhsa_uses_dynamic_stack 0
		.amdhsa_enable_private_segment 0
		.amdhsa_system_sgpr_workgroup_id_x 1
		.amdhsa_system_sgpr_workgroup_id_y 1
		.amdhsa_system_sgpr_workgroup_id_z 0
		.amdhsa_system_sgpr_workgroup_info 0
		.amdhsa_system_vgpr_workitem_id 1
		.amdhsa_next_free_vgpr 121
		.amdhsa_next_free_sgpr 75
		.amdhsa_accum_offset 124
		.amdhsa_reserve_vcc 1
		.amdhsa_float_round_mode_32 0
		.amdhsa_float_round_mode_16_64 0
		.amdhsa_float_denorm_mode_32 3
		.amdhsa_float_denorm_mode_16_64 3
		.amdhsa_dx10_clamp 1
		.amdhsa_ieee_mode 1
		.amdhsa_fp16_overflow 0
		.amdhsa_tg_split 0
		.amdhsa_exception_fp_ieee_invalid_op 0
		.amdhsa_exception_fp_denorm_src 0
		.amdhsa_exception_fp_ieee_div_zero 0
		.amdhsa_exception_fp_ieee_overflow 0
		.amdhsa_exception_fp_ieee_underflow 0
		.amdhsa_exception_fp_ieee_inexact 0
		.amdhsa_exception_int_div_zero 0
	.end_amdhsa_kernel
	.section	.text._ZL8moe_q2_KIN3c104HalfELb1EEvPKvS3_PT_PKiS7_S7_iiiiiii,"axG",@progbits,_ZL8moe_q2_KIN3c104HalfELb1EEvPKvS3_PT_PKiS7_S7_iiiiiii,comdat
.Lfunc_end208:
	.size	_ZL8moe_q2_KIN3c104HalfELb1EEvPKvS3_PT_PKiS7_S7_iiiiiii, .Lfunc_end208-_ZL8moe_q2_KIN3c104HalfELb1EEvPKvS3_PT_PKiS7_S7_iiiiiii
                                        ; -- End function
	.set _ZL8moe_q2_KIN3c104HalfELb1EEvPKvS3_PT_PKiS7_S7_iiiiiii.num_vgpr, 121
	.set _ZL8moe_q2_KIN3c104HalfELb1EEvPKvS3_PT_PKiS7_S7_iiiiiii.num_agpr, 0
	.set _ZL8moe_q2_KIN3c104HalfELb1EEvPKvS3_PT_PKiS7_S7_iiiiiii.numbered_sgpr, 28
	.set _ZL8moe_q2_KIN3c104HalfELb1EEvPKvS3_PT_PKiS7_S7_iiiiiii.num_named_barrier, 0
	.set _ZL8moe_q2_KIN3c104HalfELb1EEvPKvS3_PT_PKiS7_S7_iiiiiii.private_seg_size, 0
	.set _ZL8moe_q2_KIN3c104HalfELb1EEvPKvS3_PT_PKiS7_S7_iiiiiii.uses_vcc, 1
	.set _ZL8moe_q2_KIN3c104HalfELb1EEvPKvS3_PT_PKiS7_S7_iiiiiii.uses_flat_scratch, 0
	.set _ZL8moe_q2_KIN3c104HalfELb1EEvPKvS3_PT_PKiS7_S7_iiiiiii.has_dyn_sized_stack, 0
	.set _ZL8moe_q2_KIN3c104HalfELb1EEvPKvS3_PT_PKiS7_S7_iiiiiii.has_recursion, 0
	.set _ZL8moe_q2_KIN3c104HalfELb1EEvPKvS3_PT_PKiS7_S7_iiiiiii.has_indirect_call, 0
	.section	.AMDGPU.csdata,"",@progbits
; Kernel info:
; codeLenInByte = 9888
; TotalNumSgprs: 34
; NumVgprs: 121
; NumAgprs: 0
; TotalNumVgprs: 121
; ScratchSize: 0
; MemoryBound: 0
; FloatMode: 240
; IeeeMode: 1
; LDSByteSize: 23328 bytes/workgroup (compile time only)
; SGPRBlocks: 10
; VGPRBlocks: 15
; NumSGPRsForWavesPerEU: 81
; NumVGPRsForWavesPerEU: 121
; AccumOffset: 124
; Occupancy: 4
; WaveLimiterHint : 1
; COMPUTE_PGM_RSRC2:SCRATCH_EN: 0
; COMPUTE_PGM_RSRC2:USER_SGPR: 2
; COMPUTE_PGM_RSRC2:TRAP_HANDLER: 0
; COMPUTE_PGM_RSRC2:TGID_X_EN: 1
; COMPUTE_PGM_RSRC2:TGID_Y_EN: 1
; COMPUTE_PGM_RSRC2:TGID_Z_EN: 0
; COMPUTE_PGM_RSRC2:TIDIG_COMP_CNT: 1
; COMPUTE_PGM_RSRC3_GFX90A:ACCUM_OFFSET: 30
; COMPUTE_PGM_RSRC3_GFX90A:TG_SPLIT: 0
	.section	.text._ZL8moe_q3_KIN3c104HalfELb0EEvPKvS3_PT_PKiS7_S7_iiiiiii,"axG",@progbits,_ZL8moe_q3_KIN3c104HalfELb0EEvPKvS3_PT_PKiS7_S7_iiiiiii,comdat
	.globl	_ZL8moe_q3_KIN3c104HalfELb0EEvPKvS3_PT_PKiS7_S7_iiiiiii ; -- Begin function _ZL8moe_q3_KIN3c104HalfELb0EEvPKvS3_PT_PKiS7_S7_iiiiiii
	.p2align	8
	.type	_ZL8moe_q3_KIN3c104HalfELb0EEvPKvS3_PT_PKiS7_S7_iiiiiii,@function
_ZL8moe_q3_KIN3c104HalfELb0EEvPKvS3_PT_PKiS7_S7_iiiiiii: ; @_ZL8moe_q3_KIN3c104HalfELb0EEvPKvS3_PT_PKiS7_S7_iiiiiii
; %bb.0:
	s_load_dwordx4 s[4:7], s[0:1], 0x18
	s_mov_b32 s8, s3
	s_mov_b32 s9, 0
	s_lshl_b64 s[10:11], s[8:9], 2
	s_waitcnt lgkmcnt(0)
	s_add_u32 s6, s6, s10
	s_addc_u32 s7, s7, s11
	s_load_dword s3, s[6:7], 0x0
	s_waitcnt lgkmcnt(0)
	s_cmpk_gt_u32 s3, 0xff
	s_cbranch_scc1 .LBB209_46
; %bb.1:
	s_load_dwordx2 s[6:7], s[0:1], 0x28
	s_waitcnt lgkmcnt(0)
	s_load_dword s7, s[6:7], 0x0
	s_lshl_b32 s6, s8, 3
	s_waitcnt lgkmcnt(0)
	s_cmp_gt_u32 s6, s7
	s_cbranch_scc1 .LBB209_46
; %bb.2:
	v_bfe_u32 v2, v0, 10, 10
	v_mov_b32_e32 v4, s4
	v_mov_b32_e32 v5, s5
	v_add_u32_e32 v30, s6, v2
	v_mov_b32_e32 v31, 0
	v_lshl_add_u64 v[4:5], v[30:31], 2, v[4:5]
	global_load_dword v1, v[4:5], off
	s_load_dwordx2 s[14:15], s[0:1], 0x30
	s_load_dwordx2 s[12:13], s[0:1], 0x10
	s_load_dwordx4 s[4:7], s[0:1], 0x3c
	s_lshl_b32 s18, s2, 7
	v_mov_b32_e32 v30, v31
	s_waitcnt lgkmcnt(0)
	s_cmpk_lt_i32 s15, 0x100
	v_mov_b32_e32 v33, v31
	v_mov_b32_e32 v32, v31
	s_cbranch_scc1 .LBB209_37
; %bb.3:
	s_load_dwordx4 s[8:11], s[0:1], 0x0
	s_ashr_i32 s0, s15, 31
	s_lshr_b32 s0, s0, 24
	s_add_i32 s0, s15, s0
	s_ashr_i32 s19, s0, 8
	s_ashr_i32 s0, s5, 31
	s_lshr_b32 s0, s0, 27
	s_add_i32 s0, s5, s0
	s_mul_i32 s3, s3, s14
	s_ashr_i32 s5, s0, 5
	s_ashr_i32 s0, s3, 31
	s_waitcnt lgkmcnt(0)
	s_add_u32 s1, s8, s3
	s_mul_i32 s2, s19, s18
	s_addc_u32 s0, s9, s0
	s_mul_hi_i32 s3, s2, 0x6e
	s_mulk_i32 s2, 0x6e
	s_add_u32 s20, s1, s2
	s_addc_u32 s21, s0, s3
	s_lshl_b32 s2, s19, 3
	v_mov_b32_e32 v4, s2
	v_lshlrev_b32_e32 v7, 4, v2
	v_bfe_u32 v8, v0, 1, 9
	v_and_b32_e32 v11, 0x3ff, v0
	v_mad_i32_i24 v16, s19, v2, v4
	v_and_b32_e32 v18, 1, v0
	v_add_u32_e32 v4, v8, v7
	v_lshlrev_b32_e32 v6, 2, v11
	s_movk_i32 s0, 0x84
	v_and_b32_e32 v5, 0x7f, v4
	v_lshlrev_b32_e32 v9, 2, v18
	v_lshrrev_b32_e32 v4, 2, v4
	v_mad_u32_u24 v15, v2, s0, v6
	v_mul_i32_i24_e32 v20, s19, v5
	v_lshl_or_b32 v5, v5, 3, v9
	v_and_b32_e32 v4, 28, v4
	s_movk_i32 s0, 0x7380
	v_bfe_u32 v10, v0, 4, 6
	v_add3_u32 v59, v5, v4, s0
	v_lshlrev_b32_e32 v4, 1, v2
	v_add_u32_e32 v5, v10, v4
	v_add_u16_e32 v4, v10, v4
	v_and_b32_e32 v3, 15, v0
	v_lshrrev_b16_e32 v4, 1, v4
	v_lshlrev_b32_e32 v12, 2, v3
	v_lshlrev_b32_e32 v4, 2, v4
	s_movk_i32 s0, 0x4200
	v_add3_u32 v30, v4, v12, s0
	v_add_u32_e32 v4, 16, v5
	v_lshlrev_b32_e32 v28, 1, v4
	v_and_b32_e32 v28, 0x3ffc, v28
	v_lshlrev_b32_e32 v33, 6, v4
	v_add_u32_e32 v4, 32, v5
	v_add3_u32 v32, v28, v12, s0
	v_lshlrev_b32_e32 v28, 1, v4
	v_and_b32_e32 v28, 0x3ffc, v28
	v_lshlrev_b32_e32 v35, 6, v4
	v_add_u32_e32 v4, 48, v5
	v_add3_u32 v34, v28, v12, s0
	v_lshlrev_b32_e32 v28, 1, v4
	v_and_b32_e32 v28, 0x3ffc, v28
	v_lshlrev_b32_e32 v37, 6, v4
	v_add_u32_e32 v4, 64, v5
	v_add3_u32 v36, v28, v12, s0
	v_lshlrev_b32_e32 v28, 1, v4
	s_abs_i32 s3, s7
	v_and_b32_e32 v28, 0x3ffc, v28
	v_lshlrev_b32_e32 v40, 6, v4
	v_add_u32_e32 v4, 0x50, v5
	v_cvt_f32_u32_e32 v75, s3
	v_add3_u32 v38, v28, v12, s0
	v_lshlrev_b32_e32 v28, 1, v4
	s_lshl_b32 s16, s19, 4
	v_and_b32_e32 v28, 0x3ffc, v28
	v_lshlrev_b32_e32 v44, 6, v4
	v_add_u32_e32 v4, 0x60, v5
	v_mov_b32_e32 v26, s16
	v_add3_u32 v42, v28, v12, s0
	v_lshlrev_b32_e32 v28, 1, v4
	v_lshlrev_b32_e32 v48, 6, v4
	v_add_u32_e32 v4, 0x70, v5
	v_mul_i32_i24_e32 v24, s19, v5
	v_lshlrev_b32_e32 v31, 6, v5
	v_mad_i32_i24 v26, s19, v5, v26
	v_lshlrev_b32_e32 v5, 1, v4
	v_rcp_iflag_f32_e32 v75, v75
	v_and_b32_e32 v5, 0x3ffc, v5
	v_lshlrev_b32_e32 v52, 6, v4
	v_bfe_u32 v61, v0, 3, 7
	v_and_b32_e32 v4, 3, v0
	v_and_b32_e32 v9, 7, v0
	v_and_b32_e32 v28, 0x3ffc, v28
	v_add3_u32 v50, v5, v12, s0
	v_lshl_add_u32 v54, v2, 2, v61
	v_add_u16_e32 v5, -2, v4
	v_cmp_gt_u32_e32 vcc, 2, v4
	v_lshlrev_b32_e32 v22, 2, v9
	v_add3_u32 v46, v28, v12, s0
	v_cndmask_b32_e32 v5, v5, v4, vcc
	v_lshlrev_b32_e32 v65, 1, v4
	v_and_b32_e32 v4, 0x1ffc, v54
	s_movk_i32 s0, 0x6300
	v_mov_b32_e32 v28, 2
	v_add3_u32 v58, v4, v22, s0
	v_add_u32_e32 v4, 32, v54
	v_mul_f32_e32 v75, 0x4f7ffffe, v75
	v_lshlrev_b32_sdwa v28, v28, v5 dst_sel:DWORD dst_unused:UNUSED_PAD src0_sel:DWORD src1_sel:BYTE_0
	v_and_b32_e32 v5, 0x3ffc, v4
	v_lshlrev_b32_e32 v66, 5, v4
	v_add_u32_e32 v4, 64, v54
	v_cvt_u32_f32_e32 v75, v75
	v_add3_u32 v64, v5, v22, s0
	v_and_b32_e32 v5, 0x3ffc, v4
	v_lshlrev_b32_e32 v70, 5, v4
	v_add_u32_e32 v4, 0x60, v54
	v_add_u32_e32 v88, 0x60, v11
	v_add3_u32 v68, v5, v22, s0
	v_and_b32_e32 v5, 0x3ffc, v4
	v_add_u32_e32 v98, v42, v44
	v_lshrrev_b32_e32 v42, 4, v88
	v_add3_u32 v72, v5, v22, s0
	s_sub_i32 s0, 0, s3
	v_lshlrev_b32_e32 v122, 2, v42
	v_add_u32_e32 v42, s2, v16
	v_mul_lo_u32 v81, s0, v75
	v_add_u32_e32 v44, s2, v42
	s_waitcnt vmcnt(0)
	v_sub_u32_e32 v79, 0, v1
	v_mul_hi_u32 v81, v75, v81
	v_add_u32_e32 v99, v46, v48
	v_add_u32_e32 v46, s2, v44
	v_max_i32_e32 v79, v1, v79
	v_add_u32_e32 v75, v75, v81
	v_add_u32_e32 v48, s2, v46
	s_lshl_b32 s17, s19, 5
	v_mul_hi_u32 v75, v79, v75
	v_add_u32_e32 v103, v50, v52
	v_add_u32_e32 v50, s2, v48
	v_mov_b32_e32 v62, s17
	v_mul_lo_u32 v81, v75, s3
	v_add_u32_e32 v97, v38, v40
	v_lshrrev_b32_e32 v38, 1, v88
	v_lshlrev_b32_e32 v40, 1, v88
	v_add_u32_e32 v52, s2, v50
	v_lshlrev_b32_e32 v56, 1, v11
	v_lshlrev_b32_e32 v60, 5, v54
	v_sub_u32_e32 v79, v79, v81
	v_lshlrev_b32_e32 v120, 2, v38
	v_lshlrev_b32_e32 v123, 2, v40
	v_mad_i32_i24 v38, s19, v54, v62
	v_mul_i32_i24_e32 v40, s19, v54
	v_add_u32_e32 v54, s2, v52
	v_and_b32_e32 v63, 4, v56
	v_add_u32_e32 v81, 1, v75
	v_cmp_le_u32_e64 s[0:1], s3, v79
	v_lshlrev_b32_e32 v111, 2, v56
	v_add_u32_e32 v56, s2, v54
	v_cndmask_b32_e64 v75, v75, v81, s[0:1]
	v_subrev_u32_e32 v81, s3, v79
	v_add_u32_e32 v105, v58, v60
	v_add_u32_e32 v58, s2, v56
	v_lshlrev_b32_e32 v74, 5, v4
	v_cndmask_b32_e64 v79, v79, v81, s[0:1]
	v_add_u32_e32 v60, s2, v58
	v_xor_b32_e32 v77, s7, v1
	v_add_u32_e32 v81, 1, v75
	v_cmp_le_u32_e64 s[0:1], s3, v79
	v_add_u32_e32 v108, v72, v74
	v_add_u32_e32 v62, s2, v60
	;; [unrolled: 1-line block ×4, first 2 shown]
	v_ashrrev_i32_e32 v77, 31, v77
	v_cndmask_b32_e64 v75, v75, v81, s[0:1]
	v_add_u32_e32 v106, v64, v66
	v_add_u32_e32 v64, s2, v62
	;; [unrolled: 1-line block ×3, first 2 shown]
	v_lshlrev_b32_e32 v78, 4, v76
	v_lshrrev_b32_e32 v80, 1, v76
	v_lshlrev_b32_e32 v82, 1, v76
	v_lshrrev_b32_e32 v84, 4, v76
	v_add_u32_e32 v86, 64, v11
	v_xor_b32_e32 v75, v75, v77
	v_and_b32_e32 v79, 0x1fc, v76
	v_lshrrev_b32_e32 v100, 3, v76
	v_add_u32_e32 v66, s2, v64
	v_add_u32_e32 v76, s16, v74
	v_mov_b32_e32 v13, 0
	v_mov_b32_e32 v67, 0x77a0
	v_add_u32_e32 v71, 0x7ba0, v7
	v_lshlrev_b32_e32 v7, 5, v11
	v_sub_u32_e32 v90, v75, v77
	v_and_b32_e32 v75, 0x1fc, v88
	v_and_b32_e32 v77, 0x1fc, v86
	;; [unrolled: 1-line block ×3, first 2 shown]
	v_add_u32_e32 v107, v68, v70
	v_lshlrev_b32_e32 v113, 2, v78
	v_add_u32_e32 v68, s2, v66
	v_cmp_lt_u32_e64 s[2:3], 7, v3
	v_add_u32_e32 v78, s16, v76
	v_mul_i32_i24_e32 v14, s19, v2
	v_and_b32_e32 v69, 31, v0
	v_and_b32_e32 v4, 28, v6
	v_mov_b32_e32 v5, v13
	v_lshl_add_u32 v67, v2, 7, v67
	v_cmp_gt_u32_e32 vcc, 4, v11
	v_add_u32_e32 v73, v71, v6
	v_mul_u32_u24_e32 v2, 33, v11
	v_lshlrev_b32_e32 v6, 4, v11
	v_add_u32_e32 v75, v7, v75
	v_add_u32_e32 v77, v7, v77
	;; [unrolled: 1-line block ×4, first 2 shown]
	v_lshlrev_b32_e32 v7, 4, v86
	v_add_u32_e32 v83, v30, v31
	v_lshrrev_b32_e32 v30, 1, v86
	v_add_u32_e32 v85, v32, v33
	v_lshlrev_b32_e32 v31, 1, v86
	v_add_u32_e32 v87, v34, v35
	v_lshrrev_b32_e32 v32, 4, v86
	v_lshlrev_b32_e32 v33, 4, v88
	v_lshrrev_b32_e32 v101, 3, v86
	v_cmp_gt_i32_e64 s[0:1], s4, v90
	v_mul_lo_u32 v34, v90, s5
	v_lshlrev_b32_e32 v112, 2, v80
	v_cndmask_b32_e64 v70, 0, 1, s[2:3]
	v_add_u32_e32 v80, s16, v78
	v_cmp_lt_u32_e64 s[2:3], 3, v9
	v_add_u32_e32 v86, s17, v38
	s_movk_i32 s14, 0x6e
	s_mov_b32 s22, 0
	v_add_u32_e32 v17, 0x420, v15
	v_add_u32_e32 v19, 0x840, v15
	;; [unrolled: 1-line block ×15, first 2 shown]
	v_mov_b32_e32 v23, v13
	s_movk_i32 s23, 0xff
	v_mov_b32_e32 v29, v13
	v_lshl_add_u32 v69, v69, 2, v67
	v_add_u32_e32 v89, v36, v37
	v_lshrrev_b32_e32 v102, 3, v88
	v_lshl_add_u64 v[36:37], s[10:11], 0, v[4:5]
	s_and_b64 s[8:9], vcc, s[0:1]
	v_lshlrev_b32_e32 v104, 2, v2
	v_ashrrev_i32_e32 v35, 31, v34
	s_mov_b32 s24, 0x30303030
	s_movk_i32 s25, 0xe000
	s_movk_i32 s26, 0x3f00
	v_lshlrev_b32_e32 v109, 2, v8
	v_lshlrev_b32_e32 v110, 2, v6
	;; [unrolled: 1-line block ×9, first 2 shown]
	v_mov_b32_e32 v32, v13
	v_mov_b32_e32 v33, v13
	;; [unrolled: 1-line block ×4, first 2 shown]
	v_add_u32_e32 v124, 0x6f00, v75
	v_add_u32_e32 v125, 0x6b00, v77
	;; [unrolled: 1-line block ×3, first 2 shown]
	v_lshlrev_b32_e32 v127, 2, v10
	v_add_u32_e32 v82, s16, v80
	v_cndmask_b32_e64 v84, 0, 1, s[2:3]
	v_add_u32_e32 v88, s17, v86
	s_branch .LBB209_5
.LBB209_4:                              ;   in Loop: Header=BB209_5 Depth=1
	s_add_i32 s22, s22, 2
	s_cmp_ge_i32 s22, s19
	s_cbranch_scc1 .LBB209_37
.LBB209_5:                              ; =>This Loop Header: Depth=1
                                        ;     Child Loop BB209_11 Depth 2
                                        ;     Child Loop BB209_19 Depth 2
	;; [unrolled: 1-line block ×4, first 2 shown]
	s_mul_i32 s2, s22, 0x6e
	s_mul_hi_u32 s3, s22, 0x6e
	s_add_u32 s2, s20, s2
	s_addc_u32 s3, s21, s3
	v_mov_b64_e32 v[2:3], s[2:3]
	v_mad_u64_u32 v[4:5], s[2:3], v10, s14, v[2:3]
	v_mad_u64_u32 v[6:7], s[2:3], v14, s14, v[4:5]
	v_lshl_add_u64 v[6:7], v[6:7], 0, v[12:13]
	v_mad_u64_u32 v[8:9], s[2:3], v16, s14, v[4:5]
	v_mad_u64_u32 v[90:91], s[2:3], v42, s14, v[4:5]
	;; [unrolled: 1-line block ×7, first 2 shown]
	v_lshl_add_u64 v[8:9], v[8:9], 0, v[12:13]
	v_lshl_add_u64 v[90:91], v[90:91], 0, v[12:13]
	;; [unrolled: 1-line block ×7, first 2 shown]
	global_load_dword v96, v[6:7], off offset:32
	global_load_dword v134, v[8:9], off offset:32
	global_load_dword v135, v[90:91], off offset:32
	global_load_dword v136, v[92:93], off offset:32
	global_load_dword v137, v[94:95], off offset:32
	global_load_dword v138, v[128:129], off offset:32
	global_load_dword v139, v[130:131], off offset:32
	global_load_dword v140, v[132:133], off offset:32
	v_mad_u64_u32 v[6:7], s[2:3], v54, s14, v[4:5]
	v_lshl_add_u64 v[6:7], v[6:7], 0, v[12:13]
	v_mad_u64_u32 v[8:9], s[2:3], v56, s14, v[4:5]
	v_mad_u64_u32 v[90:91], s[2:3], v58, s14, v[4:5]
	;; [unrolled: 1-line block ×7, first 2 shown]
	v_lshl_add_u64 v[8:9], v[8:9], 0, v[12:13]
	v_lshl_add_u64 v[90:91], v[90:91], 0, v[12:13]
	;; [unrolled: 1-line block ×7, first 2 shown]
	global_load_dword v141, v[6:7], off offset:32
	global_load_dword v142, v[8:9], off offset:32
	;; [unrolled: 1-line block ×8, first 2 shown]
	v_mad_u64_u32 v[6:7], s[2:3], v70, s14, v[2:3]
	v_mad_u64_u32 v[4:5], s[2:3], v20, s14, v[2:3]
	v_lshl_add_u64 v[6:7], v[6:7], 0, v[22:23]
	v_mad_u64_u32 v[4:5], s[2:3], v18, s14, v[4:5]
	v_mad_u64_u32 v[94:95], s[2:3], v74, s14, v[6:7]
	v_mad_u64_u32 v[128:129], s[2:3], v76, s14, v[6:7]
	v_mad_u64_u32 v[2:3], s[2:3], v84, s14, v[2:3]
	v_mad_u64_u32 v[8:9], s[2:3], v24, s14, v[6:7]
	v_mad_u64_u32 v[90:91], s[2:3], v26, s14, v[6:7]
	v_mad_u64_u32 v[92:93], s[2:3], v72, s14, v[6:7]
	v_mad_u64_u32 v[130:131], s[2:3], v78, s14, v[6:7]
	v_mad_u64_u32 v[132:133], s[2:3], v80, s14, v[6:7]
	global_load_ushort v149, v[4:5], off offset:108
	global_load_dword v150, v[8:9], off
	global_load_dword v151, v[90:91], off
	;; [unrolled: 1-line block ×3, first 2 shown]
	s_nop 0
	global_load_dword v94, v[94:95], off
	s_nop 0
	global_load_dword v95, v[128:129], off
	;; [unrolled: 2-line block ×3, first 2 shown]
	global_load_dword v129, v[132:133], off
	v_mad_u64_u32 v[4:5], s[2:3], v82, s14, v[6:7]
	v_mad_u64_u32 v[6:7], s[2:3], v40, s14, v[2:3]
	v_lshl_add_u64 v[8:9], v[6:7], 0, v[28:29]
	v_mad_u64_u32 v[90:91], s[2:3], v38, s14, v[2:3]
	v_mad_u64_u32 v[92:93], s[2:3], v86, s14, v[2:3]
	;; [unrolled: 1-line block ×3, first 2 shown]
	global_load_dword v130, v[4:5], off
	s_nop 0
	global_load_dword v8, v[8:9], off offset:96
	s_nop 0
	global_load_dword v9, v[2:3], off offset:104
	global_load_dword v131, v[92:93], off offset:104
	;; [unrolled: 1-line block ×3, first 2 shown]
	s_nop 0
	global_load_dword v6, v[6:7], off offset:104
	v_lshl_add_u64 v[4:5], v[90:91], 0, v[28:29]
	global_load_dword v7, v[4:5], off offset:96
	v_lshl_add_u64 v[4:5], v[92:93], 0, v[28:29]
	global_load_dword v4, v[4:5], off offset:96
	s_waitcnt vmcnt(31)
	ds_write_b32 v15, v96
	s_waitcnt vmcnt(30)
	ds_write_b32 v17, v134
	s_waitcnt vmcnt(29)
	ds_write_b32 v19, v135
	s_waitcnt vmcnt(28)
	ds_write_b32 v21, v136
	s_waitcnt vmcnt(27)
	ds_write_b32 v25, v137
	s_waitcnt vmcnt(26)
	ds_write_b32 v27, v138
	s_waitcnt vmcnt(25)
	ds_write_b32 v39, v139
	s_waitcnt vmcnt(24)
	ds_write_b32 v41, v140
	s_waitcnt vmcnt(23)
	ds_write_b32 v43, v141
	v_lshl_add_u64 v[2:3], v[2:3], 0, v[28:29]
	global_load_dword v2, v[2:3], off offset:96
	s_waitcnt vmcnt(23)
	ds_write_b32 v45, v142
	s_waitcnt vmcnt(22)
	ds_write_b32 v47, v143
	;; [unrolled: 2-line block ×4, first 2 shown]
	s_lshl_b32 s27, s22, 8
	s_cmp_lt_i32 s27, s15
	s_waitcnt vmcnt(16)
	v_cvt_f32_f16_e32 v3, v149
	ds_write_b32 v53, v146
	ds_write_b32 v55, v147
	;; [unrolled: 1-line block ×4, first 2 shown]
	s_waitcnt vmcnt(15)
	v_not_b32_e32 v3, v150
	ds_write_b32 v83, v3
	s_waitcnt vmcnt(14)
	v_not_b32_e32 v3, v151
	ds_write_b32 v85, v3
	;; [unrolled: 3-line block ×8, first 2 shown]
	s_waitcnt vmcnt(7)
	v_ashrrev_i32_e32 v3, v63, v8
	s_waitcnt vmcnt(3)
	v_ashrrev_i32_e32 v5, v65, v6
	v_and_b32_e32 v3, 0xf0f0f0f, v3
	v_lshlrev_b32_e32 v5, 4, v5
	v_and_or_b32 v3, v5, s24, v3
	v_lshlrev_b16_e32 v6, 8, v3
	v_add_u16_e32 v6, 0xe000, v6
	v_lshrrev_b32_e32 v5, 16, v3
	v_lshrrev_b16_e32 v6, 8, v6
	v_bitop3_b16 v3, v3, v6, s26 bitop3:0xec
	v_lshlrev_b16_e32 v6, 8, v5
	v_add_u16_e32 v6, 0xe000, v6
	v_lshrrev_b16_e32 v6, 8, v6
	v_bitop3_b16 v5, v5, v6, s26 bitop3:0xec
	v_add_u16_e32 v3, 0xe000, v3
	v_add_u16_sdwa v5, v5, s25 dst_sel:WORD_1 dst_unused:UNUSED_PAD src0_sel:DWORD src1_sel:DWORD
	s_waitcnt vmcnt(0)
	v_ashrrev_i32_e32 v2, v63, v2
	v_or_b32_e32 v3, v3, v5
	ds_write_b32 v105, v3
	v_ashrrev_i32_e32 v3, v63, v7
	v_ashrrev_i32_e32 v5, v65, v132
	v_and_b32_e32 v3, 0xf0f0f0f, v3
	v_lshlrev_b32_e32 v5, 4, v5
	v_and_or_b32 v3, v5, s24, v3
	v_lshlrev_b16_e32 v6, 8, v3
	v_add_u16_e32 v6, 0xe000, v6
	v_lshrrev_b32_e32 v5, 16, v3
	v_lshrrev_b16_e32 v6, 8, v6
	v_bitop3_b16 v3, v3, v6, s26 bitop3:0xec
	v_lshlrev_b16_e32 v6, 8, v5
	v_add_u16_e32 v6, 0xe000, v6
	v_lshrrev_b16_e32 v6, 8, v6
	v_bitop3_b16 v5, v5, v6, s26 bitop3:0xec
	v_add_u16_e32 v3, 0xe000, v3
	v_add_u16_sdwa v5, v5, s25 dst_sel:WORD_1 dst_unused:UNUSED_PAD src0_sel:DWORD src1_sel:DWORD
	v_and_b32_e32 v2, 0xf0f0f0f, v2
	v_or_b32_e32 v3, v3, v5
	ds_write_b32 v106, v3
	v_ashrrev_i32_e32 v3, v63, v4
	v_ashrrev_i32_e32 v4, v65, v131
	v_and_b32_e32 v3, 0xf0f0f0f, v3
	v_lshlrev_b32_e32 v4, 4, v4
	v_and_or_b32 v3, v4, s24, v3
	v_lshlrev_b16_e32 v5, 8, v3
	v_add_u16_e32 v5, 0xe000, v5
	v_lshrrev_b32_e32 v4, 16, v3
	v_lshrrev_b16_e32 v5, 8, v5
	v_bitop3_b16 v3, v3, v5, s26 bitop3:0xec
	v_lshlrev_b16_e32 v5, 8, v4
	v_add_u16_e32 v5, 0xe000, v5
	v_lshrrev_b16_e32 v5, 8, v5
	v_bitop3_b16 v4, v4, v5, s26 bitop3:0xec
	v_add_u16_e32 v3, 0xe000, v3
	v_add_u16_sdwa v4, v4, s25 dst_sel:WORD_1 dst_unused:UNUSED_PAD src0_sel:DWORD src1_sel:DWORD
	s_nop 0
	v_or_b32_e32 v3, v3, v4
	ds_write_b32 v107, v3
	v_ashrrev_i32_e32 v3, v65, v9
	v_lshlrev_b32_e32 v3, 4, v3
	v_and_or_b32 v2, v3, s24, v2
	v_lshlrev_b16_e32 v4, 8, v2
	v_add_u16_e32 v4, 0xe000, v4
	v_lshrrev_b32_e32 v3, 16, v2
	v_lshrrev_b16_e32 v4, 8, v4
	v_bitop3_b16 v2, v2, v4, s26 bitop3:0xec
	v_lshlrev_b16_e32 v4, 8, v3
	v_add_u16_e32 v4, 0xe000, v4
	v_lshrrev_b16_e32 v4, 8, v4
	v_bitop3_b16 v3, v3, v4, s26 bitop3:0xec
	v_add_u16_e32 v2, 0xe000, v2
	v_add_u16_sdwa v3, v3, s25 dst_sel:WORD_1 dst_unused:UNUSED_PAD src0_sel:DWORD src1_sel:DWORD
	s_nop 0
	v_or_b32_e32 v2, v2, v3
	ds_write_b32 v108, v2
	s_cbranch_scc0 .LBB209_4
; %bb.6:                                ;   in Loop: Header=BB209_5 Depth=1
	s_lshl_b32 s28, s22, 3
	v_add_u32_e32 v2, s28, v61
	v_cmp_gt_i32_e64 s[2:3], s5, v2
	s_and_b64 s[16:17], s[0:1], s[2:3]
	s_and_saveexec_b64 s[2:3], s[16:17]
	s_cbranch_execz .LBB209_8
; %bb.7:                                ;   in Loop: Header=BB209_5 Depth=1
	v_add_u32_e32 v2, v34, v2
	v_mad_i64_i32 v[2:3], s[16:17], v2, 36, v[36:37]
	global_load_dword v2, v[2:3], off offset:4
	s_waitcnt vmcnt(0)
	ds_write_b32 v69, v2
.LBB209_8:                              ;   in Loop: Header=BB209_5 Depth=1
	s_or_b64 exec, exec, s[2:3]
	v_add_u32_e32 v90, s28, v11
	v_cmp_gt_i32_e64 s[2:3], s5, v90
	s_and_b64 s[16:17], s[8:9], s[2:3]
	s_and_saveexec_b64 s[2:3], s[16:17]
	s_cbranch_execz .LBB209_10
; %bb.9:                                ;   in Loop: Header=BB209_5 Depth=1
	v_add_u32_e32 v2, v34, v90
	v_mad_i64_i32 v[2:3], s[16:17], v2, 36, s[10:11]
	global_load_dword v2, v[2:3], off
	s_waitcnt vmcnt(0)
	v_cvt_f32_f16_e32 v2, v2
	ds_write_b32 v73, v2
.LBB209_10:                             ;   in Loop: Header=BB209_5 Depth=1
	s_or_b64 exec, exec, s[2:3]
	s_mov_b32 s17, -2
	s_mov_b32 s2, 0
	v_mov_b32_e32 v91, v71
	v_mov_b32_e32 v93, v67
	s_mov_b32 s3, 0
	s_waitcnt lgkmcnt(0)
	s_barrier
.LBB209_11:                             ;   Parent Loop BB209_5 Depth=1
                                        ; =>  This Inner Loop Header: Depth=2
	s_add_i32 s16, s17, 2
	s_lshr_b32 s29, s16, 4
	s_and_b32 s30, s16, 0x3ffffff8
	v_lshl_add_u32 v128, s30, 2, v104
	s_lshl_b32 s30, s29, 5
	s_addk_i32 s30, 0x4200
	v_add3_u32 v129, s30, v109, v110
	ds_read_b32 v92, v91
	ds_read_b128 v[6:9], v93
	ds_read_b128 v[2:5], v93 offset:16
	ds_read2_b32 v[94:95], v128 offset1:1
	ds_read2_b32 v[130:131], v129 offset1:1
	s_and_b32 s31, s3, -16
	s_add_i32 s17, s17, s31
	s_lshl_b32 s29, s29, 2
	s_waitcnt lgkmcnt(1)
	v_ashrrev_i32_e32 v94, s16, v94
	s_waitcnt lgkmcnt(0)
	v_ashrrev_i32_e32 v130, s2, v130
	v_lshlrev_b32_e32 v130, 2, v130
	v_bfe_u32 v96, v94, 24, 2
	v_and_b32_e32 v94, 0x3030303, v94
	v_and_b32_e32 v130, 0x4040404, v130
	v_sub_u16_e32 v132, v94, v130
	v_sub_u16_sdwa v133, v94, v130 dst_sel:BYTE_1 dst_unused:UNUSED_PAD src0_sel:BYTE_1 src1_sel:BYTE_1
	v_sub_u16_sdwa v94, v94, v130 dst_sel:DWORD dst_unused:UNUSED_PAD src0_sel:WORD_1 src1_sel:WORD_1
	v_sub_u16_sdwa v96, v96, v130 dst_sel:BYTE_1 dst_unused:UNUSED_PAD src0_sel:DWORD src1_sel:BYTE_3
	v_bitop3_b16 v132, v132, v133, s23 bitop3:0xec
	v_bitop3_b16 v94, v94, v96, s23 bitop3:0xec
	v_lshlrev_b32_e32 v94, 16, v94
	v_ashrrev_i32_e32 v130, s2, v131
	v_or_b32_sdwa v96, v132, v94 dst_sel:DWORD dst_unused:UNUSED_PAD src0_sel:WORD_0 src1_sel:DWORD
	v_ashrrev_i32_e32 v94, s16, v95
	v_lshlrev_b32_e32 v130, 2, v130
	v_bfe_u32 v95, v94, 24, 2
	v_and_b32_e32 v94, 0x3030303, v94
	v_and_b32_e32 v130, 0x4040404, v130
	v_sub_u16_e32 v131, v94, v130
	v_sub_u16_sdwa v132, v94, v130 dst_sel:BYTE_1 dst_unused:UNUSED_PAD src0_sel:BYTE_1 src1_sel:BYTE_1
	v_sub_u16_sdwa v94, v94, v130 dst_sel:DWORD dst_unused:UNUSED_PAD src0_sel:WORD_1 src1_sel:WORD_1
	v_sub_u16_sdwa v95, v95, v130 dst_sel:BYTE_1 dst_unused:UNUSED_PAD src0_sel:DWORD src1_sel:BYTE_3
	v_bitop3_b16 v131, v131, v132, s23 bitop3:0xec
	v_bitop3_b16 v94, v94, v95, s23 bitop3:0xec
	v_lshlrev_b32_e32 v94, 16, v94
	v_or_b32_sdwa v132, v131, v94 dst_sel:DWORD dst_unused:UNUSED_PAD src0_sel:WORD_0 src1_sel:DWORD
	ds_read2_b32 v[94:95], v128 offset0:2 offset1:3
	ds_read2_b32 v[130:131], v129 offset0:2 offset1:3
	s_addk_i32 s29, 0x7380
	s_add_i32 s3, s3, 2
	v_add_u32_e32 v91, 4, v91
	s_waitcnt lgkmcnt(1)
	v_ashrrev_i32_e32 v94, s16, v94
	s_waitcnt lgkmcnt(0)
	v_ashrrev_i32_e32 v130, s2, v130
	v_lshlrev_b32_e32 v130, 2, v130
	v_bfe_u32 v133, v94, 24, 2
	v_and_b32_e32 v94, 0x3030303, v94
	v_and_b32_e32 v130, 0x4040404, v130
	v_sub_u16_e32 v134, v94, v130
	v_sub_u16_sdwa v135, v94, v130 dst_sel:BYTE_1 dst_unused:UNUSED_PAD src0_sel:BYTE_1 src1_sel:BYTE_1
	v_sub_u16_sdwa v94, v94, v130 dst_sel:DWORD dst_unused:UNUSED_PAD src0_sel:WORD_1 src1_sel:WORD_1
	v_sub_u16_sdwa v130, v133, v130 dst_sel:BYTE_1 dst_unused:UNUSED_PAD src0_sel:DWORD src1_sel:BYTE_3
	v_bitop3_b16 v134, v134, v135, s23 bitop3:0xec
	v_bitop3_b16 v94, v94, v130, s23 bitop3:0xec
	v_lshlrev_b32_e32 v94, 16, v94
	v_ashrrev_i32_e32 v130, s2, v131
	v_or_b32_sdwa v133, v134, v94 dst_sel:DWORD dst_unused:UNUSED_PAD src0_sel:WORD_0 src1_sel:DWORD
	v_ashrrev_i32_e32 v94, s16, v95
	v_lshlrev_b32_e32 v130, 2, v130
	v_bfe_u32 v95, v94, 24, 2
	v_and_b32_e32 v94, 0x3030303, v94
	v_and_b32_e32 v130, 0x4040404, v130
	v_sub_u16_e32 v131, v94, v130
	v_sub_u16_sdwa v134, v94, v130 dst_sel:BYTE_1 dst_unused:UNUSED_PAD src0_sel:BYTE_1 src1_sel:BYTE_1
	v_sub_u16_sdwa v94, v94, v130 dst_sel:DWORD dst_unused:UNUSED_PAD src0_sel:WORD_1 src1_sel:WORD_1
	v_sub_u16_sdwa v95, v95, v130 dst_sel:BYTE_1 dst_unused:UNUSED_PAD src0_sel:DWORD src1_sel:BYTE_3
	v_bitop3_b16 v131, v131, v134, s23 bitop3:0xec
	v_bitop3_b16 v94, v94, v95, s23 bitop3:0xec
	v_lshlrev_b32_e32 v94, 16, v94
	v_or_b32_sdwa v134, v131, v94 dst_sel:DWORD dst_unused:UNUSED_PAD src0_sel:WORD_0 src1_sel:DWORD
	ds_read2_b32 v[94:95], v128 offset0:4 offset1:5
	ds_read2_b32 v[130:131], v129 offset0:4 offset1:5
	s_waitcnt lgkmcnt(1)
	v_ashrrev_i32_e32 v94, s16, v94
	s_waitcnt lgkmcnt(0)
	v_ashrrev_i32_e32 v130, s2, v130
	v_lshlrev_b32_e32 v130, 2, v130
	v_bfe_u32 v135, v94, 24, 2
	v_and_b32_e32 v94, 0x3030303, v94
	v_and_b32_e32 v130, 0x4040404, v130
	v_sub_u16_e32 v136, v94, v130
	v_sub_u16_sdwa v137, v94, v130 dst_sel:BYTE_1 dst_unused:UNUSED_PAD src0_sel:BYTE_1 src1_sel:BYTE_1
	v_sub_u16_sdwa v94, v94, v130 dst_sel:DWORD dst_unused:UNUSED_PAD src0_sel:WORD_1 src1_sel:WORD_1
	v_sub_u16_sdwa v130, v135, v130 dst_sel:BYTE_1 dst_unused:UNUSED_PAD src0_sel:DWORD src1_sel:BYTE_3
	v_bitop3_b16 v136, v136, v137, s23 bitop3:0xec
	v_bitop3_b16 v94, v94, v130, s23 bitop3:0xec
	v_lshlrev_b32_e32 v94, 16, v94
	v_ashrrev_i32_e32 v130, s2, v131
	v_or_b32_sdwa v135, v136, v94 dst_sel:DWORD dst_unused:UNUSED_PAD src0_sel:WORD_0 src1_sel:DWORD
	v_ashrrev_i32_e32 v94, s16, v95
	v_lshlrev_b32_e32 v130, 2, v130
	v_bfe_u32 v95, v94, 24, 2
	v_and_b32_e32 v94, 0x3030303, v94
	v_and_b32_e32 v130, 0x4040404, v130
	v_sub_u16_e32 v131, v94, v130
	v_sub_u16_sdwa v136, v94, v130 dst_sel:BYTE_1 dst_unused:UNUSED_PAD src0_sel:BYTE_1 src1_sel:BYTE_1
	v_sub_u16_sdwa v94, v94, v130 dst_sel:DWORD dst_unused:UNUSED_PAD src0_sel:WORD_1 src1_sel:WORD_1
	v_sub_u16_sdwa v95, v95, v130 dst_sel:BYTE_1 dst_unused:UNUSED_PAD src0_sel:DWORD src1_sel:BYTE_3
	v_bitop3_b16 v131, v131, v136, s23 bitop3:0xec
	v_bitop3_b16 v94, v94, v95, s23 bitop3:0xec
	v_lshlrev_b32_e32 v94, 16, v94
	v_or_b32_sdwa v136, v131, v94 dst_sel:DWORD dst_unused:UNUSED_PAD src0_sel:WORD_0 src1_sel:DWORD
	ds_read2_b32 v[94:95], v128 offset0:6 offset1:7
	ds_read2_b32 v[130:131], v129 offset0:6 offset1:7
	s_waitcnt lgkmcnt(1)
	v_ashrrev_i32_e32 v94, s16, v94
	s_waitcnt lgkmcnt(0)
	v_ashrrev_i32_e32 v129, s2, v130
	v_lshlrev_b32_e32 v129, 2, v129
	v_bfe_u32 v137, v94, 24, 2
	v_and_b32_e32 v94, 0x3030303, v94
	v_and_b32_e32 v129, 0x4040404, v129
	v_sub_u16_e32 v130, v94, v129
	v_sub_u16_sdwa v138, v94, v129 dst_sel:BYTE_1 dst_unused:UNUSED_PAD src0_sel:BYTE_1 src1_sel:BYTE_1
	v_sub_u16_sdwa v94, v94, v129 dst_sel:DWORD dst_unused:UNUSED_PAD src0_sel:WORD_1 src1_sel:WORD_1
	v_sub_u16_sdwa v129, v137, v129 dst_sel:BYTE_1 dst_unused:UNUSED_PAD src0_sel:DWORD src1_sel:BYTE_3
	v_bitop3_b16 v130, v130, v138, s23 bitop3:0xec
	v_bitop3_b16 v94, v94, v129, s23 bitop3:0xec
	v_lshlrev_b32_e32 v94, 16, v94
	v_or_b32_sdwa v129, v130, v94 dst_sel:DWORD dst_unused:UNUSED_PAD src0_sel:WORD_0 src1_sel:DWORD
	v_ashrrev_i32_e32 v130, s2, v131
	v_ashrrev_i32_e32 v94, s16, v95
	v_lshlrev_b32_e32 v130, 2, v130
	v_bfe_u32 v95, v94, 24, 2
	v_and_b32_e32 v94, 0x3030303, v94
	v_and_b32_e32 v130, 0x4040404, v130
	v_sub_u16_e32 v131, v94, v130
	v_sub_u16_sdwa v137, v94, v130 dst_sel:BYTE_1 dst_unused:UNUSED_PAD src0_sel:BYTE_1 src1_sel:BYTE_1
	v_sub_u16_sdwa v94, v94, v130 dst_sel:DWORD dst_unused:UNUSED_PAD src0_sel:WORD_1 src1_sel:WORD_1
	v_sub_u16_sdwa v95, v95, v130 dst_sel:BYTE_1 dst_unused:UNUSED_PAD src0_sel:DWORD src1_sel:BYTE_3
	v_bitop3_b16 v131, v131, v137, s23 bitop3:0xec
	v_bitop3_b16 v94, v94, v95, s23 bitop3:0xec
	v_lshlrev_b32_e32 v94, 16, v94
	v_or_b32_sdwa v95, v131, v94 dst_sel:DWORD dst_unused:UNUSED_PAD src0_sel:WORD_0 src1_sel:DWORD
	v_mov_b32_e32 v131, 0
	v_dot4c_i32_i8_e32 v131, v96, v6
	v_dot4c_i32_i8_e32 v131, v132, v7
	;; [unrolled: 1-line block ×4, first 2 shown]
	v_mov_b32_e32 v134, 0
	v_dot4c_i32_i8_e32 v134, v135, v2
	v_dot4c_i32_i8_e32 v134, v136, v3
	v_add_u32_e32 v130, s17, v126
	v_dot4c_i32_i8_e32 v134, v129, v4
	v_dot4c_i32_i8_e32 v134, v95, v5
	ds_read_u16 v95, v130 offset:2
	v_add3_u32 v94, s29, v127, v111
	v_add3_u32 v135, s30, v112, v113
	ds_read_b32 v94, v94
	ds_read2_b32 v[132:133], v135 offset1:1
	s_waitcnt lgkmcnt(2)
	v_lshrrev_b16_e32 v96, 8, v95
	v_bfe_i32 v95, v95, 0, 8
	v_bfe_i32 v129, v96, 0, 8
	v_mul_lo_u32 v96, v131, v95
	v_add_u32_e32 v95, 0x1080, v128
	ds_read2_b32 v[130:131], v95 offset1:1
	s_waitcnt lgkmcnt(1)
	v_ashrrev_i32_e32 v132, s2, v132
	v_lshlrev_b32_e32 v132, 2, v132
	v_and_b32_e32 v132, 0x4040404, v132
	s_waitcnt lgkmcnt(0)
	v_ashrrev_i32_e32 v95, s16, v130
	v_bfe_u32 v130, v95, 24, 2
	v_and_b32_e32 v95, 0x3030303, v95
	v_sub_u16_e32 v136, v95, v132
	v_sub_u16_sdwa v137, v95, v132 dst_sel:BYTE_1 dst_unused:UNUSED_PAD src0_sel:BYTE_1 src1_sel:BYTE_1
	v_sub_u16_sdwa v95, v95, v132 dst_sel:DWORD dst_unused:UNUSED_PAD src0_sel:WORD_1 src1_sel:WORD_1
	v_sub_u16_sdwa v130, v130, v132 dst_sel:BYTE_1 dst_unused:UNUSED_PAD src0_sel:DWORD src1_sel:BYTE_3
	v_bitop3_b16 v136, v136, v137, s23 bitop3:0xec
	v_bitop3_b16 v95, v95, v130, s23 bitop3:0xec
	v_lshlrev_b32_e32 v95, 16, v95
	v_or_b32_sdwa v136, v136, v95 dst_sel:DWORD dst_unused:UNUSED_PAD src0_sel:WORD_0 src1_sel:DWORD
	v_ashrrev_i32_e32 v95, s16, v131
	v_ashrrev_i32_e32 v131, s2, v133
	v_lshlrev_b32_e32 v131, 2, v131
	v_bfe_u32 v130, v95, 24, 2
	v_and_b32_e32 v95, 0x3030303, v95
	v_and_b32_e32 v131, 0x4040404, v131
	v_sub_u16_e32 v132, v95, v131
	v_sub_u16_sdwa v133, v95, v131 dst_sel:BYTE_1 dst_unused:UNUSED_PAD src0_sel:BYTE_1 src1_sel:BYTE_1
	v_sub_u16_sdwa v95, v95, v131 dst_sel:DWORD dst_unused:UNUSED_PAD src0_sel:WORD_1 src1_sel:WORD_1
	v_sub_u16_sdwa v130, v130, v131 dst_sel:BYTE_1 dst_unused:UNUSED_PAD src0_sel:DWORD src1_sel:BYTE_3
	v_bitop3_b16 v132, v132, v133, s23 bitop3:0xec
	v_bitop3_b16 v95, v95, v130, s23 bitop3:0xec
	v_lshlrev_b32_e32 v95, 16, v95
	v_or_b32_sdwa v137, v132, v95 dst_sel:DWORD dst_unused:UNUSED_PAD src0_sel:WORD_0 src1_sel:DWORD
	v_add_u32_e32 v95, 0x1088, v128
	ds_read2_b32 v[130:131], v95 offset1:1
	ds_read2_b32 v[132:133], v135 offset0:2 offset1:3
	s_waitcnt lgkmcnt(1)
	v_ashrrev_i32_e32 v95, s16, v130
	s_waitcnt lgkmcnt(0)
	v_ashrrev_i32_e32 v132, s2, v132
	v_lshlrev_b32_e32 v132, 2, v132
	v_bfe_u32 v130, v95, 24, 2
	v_and_b32_e32 v95, 0x3030303, v95
	v_and_b32_e32 v132, 0x4040404, v132
	v_sub_u16_e32 v138, v95, v132
	v_sub_u16_sdwa v139, v95, v132 dst_sel:BYTE_1 dst_unused:UNUSED_PAD src0_sel:BYTE_1 src1_sel:BYTE_1
	v_sub_u16_sdwa v95, v95, v132 dst_sel:DWORD dst_unused:UNUSED_PAD src0_sel:WORD_1 src1_sel:WORD_1
	v_sub_u16_sdwa v130, v130, v132 dst_sel:BYTE_1 dst_unused:UNUSED_PAD src0_sel:DWORD src1_sel:BYTE_3
	v_bitop3_b16 v138, v138, v139, s23 bitop3:0xec
	v_bitop3_b16 v95, v95, v130, s23 bitop3:0xec
	v_lshlrev_b32_e32 v95, 16, v95
	v_or_b32_sdwa v138, v138, v95 dst_sel:DWORD dst_unused:UNUSED_PAD src0_sel:WORD_0 src1_sel:DWORD
	v_ashrrev_i32_e32 v95, s16, v131
	v_ashrrev_i32_e32 v131, s2, v133
	v_lshlrev_b32_e32 v131, 2, v131
	v_bfe_u32 v130, v95, 24, 2
	v_and_b32_e32 v95, 0x3030303, v95
	v_and_b32_e32 v131, 0x4040404, v131
	v_sub_u16_e32 v132, v95, v131
	v_sub_u16_sdwa v133, v95, v131 dst_sel:BYTE_1 dst_unused:UNUSED_PAD src0_sel:BYTE_1 src1_sel:BYTE_1
	v_sub_u16_sdwa v95, v95, v131 dst_sel:DWORD dst_unused:UNUSED_PAD src0_sel:WORD_1 src1_sel:WORD_1
	v_sub_u16_sdwa v130, v130, v131 dst_sel:BYTE_1 dst_unused:UNUSED_PAD src0_sel:DWORD src1_sel:BYTE_3
	v_bitop3_b16 v132, v132, v133, s23 bitop3:0xec
	v_bitop3_b16 v95, v95, v130, s23 bitop3:0xec
	v_lshlrev_b32_e32 v95, 16, v95
	v_or_b32_sdwa v139, v132, v95 dst_sel:DWORD dst_unused:UNUSED_PAD src0_sel:WORD_0 src1_sel:DWORD
	v_add_u32_e32 v95, 0x1090, v128
	ds_read2_b32 v[130:131], v95 offset1:1
	ds_read2_b32 v[132:133], v135 offset0:4 offset1:5
	s_waitcnt lgkmcnt(1)
	v_ashrrev_i32_e32 v95, s16, v130
	s_waitcnt lgkmcnt(0)
	v_ashrrev_i32_e32 v132, s2, v132
	v_lshlrev_b32_e32 v132, 2, v132
	v_bfe_u32 v130, v95, 24, 2
	v_and_b32_e32 v95, 0x3030303, v95
	;; [unrolled: 33-line block ×3, first 2 shown]
	v_and_b32_e32 v132, 0x4040404, v132
	v_sub_u16_e32 v135, v95, v132
	v_sub_u16_sdwa v142, v95, v132 dst_sel:BYTE_1 dst_unused:UNUSED_PAD src0_sel:BYTE_1 src1_sel:BYTE_1
	v_sub_u16_sdwa v95, v95, v132 dst_sel:DWORD dst_unused:UNUSED_PAD src0_sel:WORD_1 src1_sel:WORD_1
	v_sub_u16_sdwa v130, v130, v132 dst_sel:BYTE_1 dst_unused:UNUSED_PAD src0_sel:DWORD src1_sel:BYTE_3
	v_bitop3_b16 v135, v135, v142, s23 bitop3:0xec
	v_bitop3_b16 v95, v95, v130, s23 bitop3:0xec
	v_lshlrev_b32_e32 v95, 16, v95
	v_or_b32_sdwa v132, v135, v95 dst_sel:DWORD dst_unused:UNUSED_PAD src0_sel:WORD_0 src1_sel:DWORD
	v_ashrrev_i32_e32 v95, s16, v131
	v_ashrrev_i32_e32 v131, s2, v133
	v_lshlrev_b32_e32 v131, 2, v131
	v_bfe_u32 v130, v95, 24, 2
	v_and_b32_e32 v95, 0x3030303, v95
	v_and_b32_e32 v131, 0x4040404, v131
	v_sub_u16_e32 v133, v95, v131
	v_sub_u16_sdwa v135, v95, v131 dst_sel:BYTE_1 dst_unused:UNUSED_PAD src0_sel:BYTE_1 src1_sel:BYTE_1
	v_sub_u16_sdwa v95, v95, v131 dst_sel:DWORD dst_unused:UNUSED_PAD src0_sel:WORD_1 src1_sel:WORD_1
	v_sub_u16_sdwa v130, v130, v131 dst_sel:BYTE_1 dst_unused:UNUSED_PAD src0_sel:DWORD src1_sel:BYTE_3
	v_bitop3_b16 v133, v133, v135, s23 bitop3:0xec
	v_bitop3_b16 v95, v95, v130, s23 bitop3:0xec
	v_lshlrev_b32_e32 v95, 16, v95
	v_or_b32_sdwa v131, v133, v95 dst_sel:DWORD dst_unused:UNUSED_PAD src0_sel:WORD_0 src1_sel:DWORD
	v_add_u32_e32 v130, s17, v79
	v_add3_u32 v95, s29, v114, v115
	ds_read_b32 v95, v95
	ds_read_u16 v130, v130 offset:26370
	v_mov_b32_e32 v133, 0
	v_dot4c_i32_i8_e32 v133, v136, v6
	v_mov_b32_e32 v136, 0
	v_dot4c_i32_i8_e32 v133, v137, v7
	v_dot4c_i32_i8_e32 v136, v140, v2
	;; [unrolled: 1-line block ×5, first 2 shown]
	s_waitcnt lgkmcnt(0)
	v_lshrrev_b16_e32 v135, 8, v130
	v_bfe_i32 v130, v130, 0, 8
	v_dot4c_i32_i8_e32 v136, v132, v4
	v_mul_lo_u32 v130, v133, v130
	v_dot4c_i32_i8_e32 v136, v131, v5
	v_bfe_i32 v131, v135, 0, 8
	v_mad_u64_u32 v[132:133], s[34:35], v134, v129, v[96:97]
	s_nop 0
	v_mad_u64_u32 v[130:131], s[34:35], v136, v131, v[130:131]
	v_cvt_f32_i32_e32 v131, v130
	v_cvt_f32_i32_e32 v130, v132
	v_pk_mul_f32 v[94:95], v[92:93], v[94:95] op_sel_hi:[0,1]
	v_add3_u32 v134, s30, v116, v117
	ds_read2_b32 v[132:133], v134 offset1:1
	v_pk_fma_f32 v[32:33], v[94:95], v[130:131], v[32:33]
	v_add_u32_e32 v94, 0x2100, v128
	ds_read2_b32 v[130:131], v94 offset1:1
	v_add3_u32 v140, s30, v120, v121
	s_waitcnt lgkmcnt(1)
	v_ashrrev_i32_e32 v96, s2, v132
	v_lshlrev_b32_e32 v96, 2, v96
	v_and_b32_e32 v96, 0x4040404, v96
	s_waitcnt lgkmcnt(0)
	v_ashrrev_i32_e32 v94, s16, v130
	v_bfe_u32 v95, v94, 24, 2
	v_and_b32_e32 v94, 0x3030303, v94
	v_sub_u16_e32 v129, v94, v96
	v_sub_u16_sdwa v130, v94, v96 dst_sel:BYTE_1 dst_unused:UNUSED_PAD src0_sel:BYTE_1 src1_sel:BYTE_1
	v_sub_u16_sdwa v94, v94, v96 dst_sel:DWORD dst_unused:UNUSED_PAD src0_sel:WORD_1 src1_sel:WORD_1
	v_sub_u16_sdwa v95, v95, v96 dst_sel:BYTE_1 dst_unused:UNUSED_PAD src0_sel:DWORD src1_sel:BYTE_3
	v_bitop3_b16 v129, v129, v130, s23 bitop3:0xec
	v_bitop3_b16 v94, v94, v95, s23 bitop3:0xec
	v_lshlrev_b32_e32 v94, 16, v94
	v_or_b32_sdwa v95, v129, v94 dst_sel:DWORD dst_unused:UNUSED_PAD src0_sel:WORD_0 src1_sel:DWORD
	v_ashrrev_i32_e32 v129, s2, v133
	v_ashrrev_i32_e32 v94, s16, v131
	v_lshlrev_b32_e32 v129, 2, v129
	v_bfe_u32 v96, v94, 24, 2
	v_and_b32_e32 v94, 0x3030303, v94
	v_and_b32_e32 v129, 0x4040404, v129
	v_sub_u16_e32 v130, v94, v129
	v_sub_u16_sdwa v131, v94, v129 dst_sel:BYTE_1 dst_unused:UNUSED_PAD src0_sel:BYTE_1 src1_sel:BYTE_1
	v_sub_u16_sdwa v94, v94, v129 dst_sel:DWORD dst_unused:UNUSED_PAD src0_sel:WORD_1 src1_sel:WORD_1
	v_sub_u16_sdwa v96, v96, v129 dst_sel:BYTE_1 dst_unused:UNUSED_PAD src0_sel:DWORD src1_sel:BYTE_3
	v_bitop3_b16 v130, v130, v131, s23 bitop3:0xec
	v_bitop3_b16 v94, v94, v96, s23 bitop3:0xec
	v_lshlrev_b32_e32 v94, 16, v94
	v_or_b32_sdwa v96, v130, v94 dst_sel:DWORD dst_unused:UNUSED_PAD src0_sel:WORD_0 src1_sel:DWORD
	v_add_u32_e32 v94, 0x2108, v128
	ds_read2_b32 v[130:131], v94 offset1:1
	ds_read2_b32 v[132:133], v134 offset0:2 offset1:3
	s_waitcnt lgkmcnt(1)
	v_ashrrev_i32_e32 v94, s16, v130
	s_waitcnt lgkmcnt(0)
	v_ashrrev_i32_e32 v130, s2, v132
	v_lshlrev_b32_e32 v130, 2, v130
	v_bfe_u32 v129, v94, 24, 2
	v_and_b32_e32 v94, 0x3030303, v94
	v_and_b32_e32 v130, 0x4040404, v130
	v_sub_u16_e32 v132, v94, v130
	v_sub_u16_sdwa v135, v94, v130 dst_sel:BYTE_1 dst_unused:UNUSED_PAD src0_sel:BYTE_1 src1_sel:BYTE_1
	v_sub_u16_sdwa v94, v94, v130 dst_sel:DWORD dst_unused:UNUSED_PAD src0_sel:WORD_1 src1_sel:WORD_1
	v_sub_u16_sdwa v129, v129, v130 dst_sel:BYTE_1 dst_unused:UNUSED_PAD src0_sel:DWORD src1_sel:BYTE_3
	v_bitop3_b16 v132, v132, v135, s23 bitop3:0xec
	v_bitop3_b16 v94, v94, v129, s23 bitop3:0xec
	v_lshlrev_b32_e32 v94, 16, v94
	v_or_b32_sdwa v129, v132, v94 dst_sel:DWORD dst_unused:UNUSED_PAD src0_sel:WORD_0 src1_sel:DWORD
	v_ashrrev_i32_e32 v94, s16, v131
	v_ashrrev_i32_e32 v131, s2, v133
	v_lshlrev_b32_e32 v131, 2, v131
	v_bfe_u32 v130, v94, 24, 2
	v_and_b32_e32 v94, 0x3030303, v94
	v_and_b32_e32 v131, 0x4040404, v131
	v_sub_u16_e32 v132, v94, v131
	v_sub_u16_sdwa v133, v94, v131 dst_sel:BYTE_1 dst_unused:UNUSED_PAD src0_sel:BYTE_1 src1_sel:BYTE_1
	v_sub_u16_sdwa v94, v94, v131 dst_sel:DWORD dst_unused:UNUSED_PAD src0_sel:WORD_1 src1_sel:WORD_1
	v_sub_u16_sdwa v130, v130, v131 dst_sel:BYTE_1 dst_unused:UNUSED_PAD src0_sel:DWORD src1_sel:BYTE_3
	v_bitop3_b16 v132, v132, v133, s23 bitop3:0xec
	v_bitop3_b16 v94, v94, v130, s23 bitop3:0xec
	v_lshlrev_b32_e32 v94, 16, v94
	v_or_b32_sdwa v135, v132, v94 dst_sel:DWORD dst_unused:UNUSED_PAD src0_sel:WORD_0 src1_sel:DWORD
	v_add_u32_e32 v94, 0x2110, v128
	ds_read2_b32 v[130:131], v94 offset1:1
	ds_read2_b32 v[132:133], v134 offset0:4 offset1:5
	s_waitcnt lgkmcnt(1)
	v_ashrrev_i32_e32 v94, s16, v130
	s_waitcnt lgkmcnt(0)
	v_ashrrev_i32_e32 v132, s2, v132
	v_lshlrev_b32_e32 v132, 2, v132
	v_bfe_u32 v130, v94, 24, 2
	v_and_b32_e32 v94, 0x3030303, v94
	;; [unrolled: 33-line block ×3, first 2 shown]
	v_and_b32_e32 v132, 0x4040404, v132
	v_sub_u16_e32 v134, v94, v132
	v_sub_u16_sdwa v138, v94, v132 dst_sel:BYTE_1 dst_unused:UNUSED_PAD src0_sel:BYTE_1 src1_sel:BYTE_1
	v_sub_u16_sdwa v94, v94, v132 dst_sel:DWORD dst_unused:UNUSED_PAD src0_sel:WORD_1 src1_sel:WORD_1
	v_sub_u16_sdwa v130, v130, v132 dst_sel:BYTE_1 dst_unused:UNUSED_PAD src0_sel:DWORD src1_sel:BYTE_3
	v_bitop3_b16 v134, v134, v138, s23 bitop3:0xec
	v_bitop3_b16 v94, v94, v130, s23 bitop3:0xec
	v_lshlrev_b32_e32 v94, 16, v94
	v_ashrrev_i32_e32 v132, s2, v133
	v_or_b32_sdwa v130, v134, v94 dst_sel:DWORD dst_unused:UNUSED_PAD src0_sel:WORD_0 src1_sel:DWORD
	v_ashrrev_i32_e32 v94, s16, v131
	v_lshlrev_b32_e32 v132, 2, v132
	v_bfe_u32 v131, v94, 24, 2
	v_and_b32_e32 v94, 0x3030303, v94
	v_and_b32_e32 v132, 0x4040404, v132
	v_sub_u16_e32 v133, v94, v132
	v_sub_u16_sdwa v134, v94, v132 dst_sel:BYTE_1 dst_unused:UNUSED_PAD src0_sel:BYTE_1 src1_sel:BYTE_1
	v_sub_u16_sdwa v94, v94, v132 dst_sel:DWORD dst_unused:UNUSED_PAD src0_sel:WORD_1 src1_sel:WORD_1
	v_sub_u16_sdwa v131, v131, v132 dst_sel:BYTE_1 dst_unused:UNUSED_PAD src0_sel:DWORD src1_sel:BYTE_3
	v_bitop3_b16 v133, v133, v134, s23 bitop3:0xec
	v_bitop3_b16 v94, v94, v131, s23 bitop3:0xec
	v_lshlrev_b32_e32 v94, 16, v94
	v_or_b32_sdwa v131, v133, v94 dst_sel:DWORD dst_unused:UNUSED_PAD src0_sel:WORD_0 src1_sel:DWORD
	v_add_u32_e32 v132, s17, v125
	v_mov_b32_e32 v133, 0
	v_dot4c_i32_i8_e32 v133, v95, v6
	ds_read_u16 v95, v132 offset:2
	v_dot4c_i32_i8_e32 v133, v96, v7
	v_dot4c_i32_i8_e32 v133, v129, v8
	v_mov_b32_e32 v129, 0
	v_dot4c_i32_i8_e32 v129, v136, v2
	v_dot4c_i32_i8_e32 v133, v135, v9
	;; [unrolled: 1-line block ×3, first 2 shown]
	s_waitcnt lgkmcnt(0)
	v_lshrrev_b16_e32 v96, 8, v95
	v_bfe_i32 v95, v95, 0, 8
	v_add3_u32 v94, s29, v118, v119
	v_dot4c_i32_i8_e32 v129, v130, v4
	v_bfe_i32 v130, v96, 0, 8
	v_mul_lo_u32 v96, v133, v95
	v_add_u32_e32 v95, 0x3180, v128
	ds_read_b32 v94, v94
	ds_read2_b32 v[132:133], v95 offset1:1
	ds_read2_b32 v[134:135], v140 offset1:1
	v_dot4c_i32_i8_e32 v129, v131, v5
	s_waitcnt lgkmcnt(1)
	v_ashrrev_i32_e32 v95, s16, v132
	s_waitcnt lgkmcnt(0)
	v_ashrrev_i32_e32 v132, s2, v134
	v_lshlrev_b32_e32 v132, 2, v132
	v_bfe_u32 v131, v95, 24, 2
	v_and_b32_e32 v95, 0x3030303, v95
	v_and_b32_e32 v132, 0x4040404, v132
	v_sub_u16_e32 v134, v95, v132
	v_sub_u16_sdwa v136, v95, v132 dst_sel:BYTE_1 dst_unused:UNUSED_PAD src0_sel:BYTE_1 src1_sel:BYTE_1
	v_sub_u16_sdwa v95, v95, v132 dst_sel:DWORD dst_unused:UNUSED_PAD src0_sel:WORD_1 src1_sel:WORD_1
	v_sub_u16_sdwa v131, v131, v132 dst_sel:BYTE_1 dst_unused:UNUSED_PAD src0_sel:DWORD src1_sel:BYTE_3
	v_bitop3_b16 v134, v134, v136, s23 bitop3:0xec
	v_bitop3_b16 v95, v95, v131, s23 bitop3:0xec
	v_lshlrev_b32_e32 v95, 16, v95
	v_or_b32_sdwa v131, v134, v95 dst_sel:DWORD dst_unused:UNUSED_PAD src0_sel:WORD_0 src1_sel:DWORD
	v_ashrrev_i32_e32 v95, s16, v133
	v_ashrrev_i32_e32 v133, s2, v135
	v_lshlrev_b32_e32 v133, 2, v133
	v_bfe_u32 v132, v95, 24, 2
	v_and_b32_e32 v95, 0x3030303, v95
	v_and_b32_e32 v133, 0x4040404, v133
	v_sub_u16_e32 v134, v95, v133
	v_sub_u16_sdwa v135, v95, v133 dst_sel:BYTE_1 dst_unused:UNUSED_PAD src0_sel:BYTE_1 src1_sel:BYTE_1
	v_sub_u16_sdwa v95, v95, v133 dst_sel:DWORD dst_unused:UNUSED_PAD src0_sel:WORD_1 src1_sel:WORD_1
	v_sub_u16_sdwa v132, v132, v133 dst_sel:BYTE_1 dst_unused:UNUSED_PAD src0_sel:DWORD src1_sel:BYTE_3
	v_bitop3_b16 v134, v134, v135, s23 bitop3:0xec
	v_bitop3_b16 v95, v95, v132, s23 bitop3:0xec
	v_lshlrev_b32_e32 v95, 16, v95
	v_or_b32_sdwa v132, v134, v95 dst_sel:DWORD dst_unused:UNUSED_PAD src0_sel:WORD_0 src1_sel:DWORD
	v_add_u32_e32 v95, 0x3188, v128
	ds_read2_b32 v[134:135], v95 offset1:1
	ds_read2_b32 v[136:137], v140 offset0:2 offset1:3
	s_waitcnt lgkmcnt(1)
	v_ashrrev_i32_e32 v95, s16, v134
	s_waitcnt lgkmcnt(0)
	v_ashrrev_i32_e32 v134, s2, v136
	v_lshlrev_b32_e32 v134, 2, v134
	v_bfe_u32 v133, v95, 24, 2
	v_and_b32_e32 v95, 0x3030303, v95
	v_and_b32_e32 v134, 0x4040404, v134
	v_sub_u16_e32 v136, v95, v134
	v_sub_u16_sdwa v138, v95, v134 dst_sel:BYTE_1 dst_unused:UNUSED_PAD src0_sel:BYTE_1 src1_sel:BYTE_1
	v_sub_u16_sdwa v95, v95, v134 dst_sel:DWORD dst_unused:UNUSED_PAD src0_sel:WORD_1 src1_sel:WORD_1
	v_sub_u16_sdwa v133, v133, v134 dst_sel:BYTE_1 dst_unused:UNUSED_PAD src0_sel:DWORD src1_sel:BYTE_3
	v_bitop3_b16 v136, v136, v138, s23 bitop3:0xec
	v_bitop3_b16 v95, v95, v133, s23 bitop3:0xec
	v_lshlrev_b32_e32 v95, 16, v95
	v_or_b32_sdwa v133, v136, v95 dst_sel:DWORD dst_unused:UNUSED_PAD src0_sel:WORD_0 src1_sel:DWORD
	v_ashrrev_i32_e32 v95, s16, v135
	v_ashrrev_i32_e32 v135, s2, v137
	v_lshlrev_b32_e32 v135, 2, v135
	v_bfe_u32 v134, v95, 24, 2
	v_and_b32_e32 v95, 0x3030303, v95
	v_and_b32_e32 v135, 0x4040404, v135
	v_sub_u16_e32 v136, v95, v135
	v_sub_u16_sdwa v137, v95, v135 dst_sel:BYTE_1 dst_unused:UNUSED_PAD src0_sel:BYTE_1 src1_sel:BYTE_1
	v_sub_u16_sdwa v95, v95, v135 dst_sel:DWORD dst_unused:UNUSED_PAD src0_sel:WORD_1 src1_sel:WORD_1
	v_sub_u16_sdwa v134, v134, v135 dst_sel:BYTE_1 dst_unused:UNUSED_PAD src0_sel:DWORD src1_sel:BYTE_3
	v_bitop3_b16 v136, v136, v137, s23 bitop3:0xec
	v_bitop3_b16 v95, v95, v134, s23 bitop3:0xec
	v_lshlrev_b32_e32 v95, 16, v95
	v_or_b32_sdwa v134, v136, v95 dst_sel:DWORD dst_unused:UNUSED_PAD src0_sel:WORD_0 src1_sel:DWORD
	v_add_u32_e32 v95, 0x3190, v128
	ds_read2_b32 v[136:137], v95 offset1:1
	ds_read2_b32 v[138:139], v140 offset0:4 offset1:5
	;; [unrolled: 33-line block ×3, first 2 shown]
	s_waitcnt lgkmcnt(1)
	v_ashrrev_i32_e32 v95, s16, v138
	s_waitcnt lgkmcnt(0)
	v_ashrrev_i32_e32 v137, s2, v140
	v_lshlrev_b32_e32 v137, 2, v137
	v_bfe_u32 v128, v95, 24, 2
	v_and_b32_e32 v95, 0x3030303, v95
	v_and_b32_e32 v137, 0x4040404, v137
	v_sub_u16_e32 v138, v95, v137
	v_sub_u16_sdwa v140, v95, v137 dst_sel:BYTE_1 dst_unused:UNUSED_PAD src0_sel:BYTE_1 src1_sel:BYTE_1
	v_sub_u16_sdwa v95, v95, v137 dst_sel:DWORD dst_unused:UNUSED_PAD src0_sel:WORD_1 src1_sel:WORD_1
	v_sub_u16_sdwa v128, v128, v137 dst_sel:BYTE_1 dst_unused:UNUSED_PAD src0_sel:DWORD src1_sel:BYTE_3
	v_bitop3_b16 v138, v138, v140, s23 bitop3:0xec
	v_bitop3_b16 v95, v95, v128, s23 bitop3:0xec
	v_lshlrev_b32_e32 v95, 16, v95
	v_or_b32_sdwa v128, v138, v95 dst_sel:DWORD dst_unused:UNUSED_PAD src0_sel:WORD_0 src1_sel:DWORD
	v_ashrrev_i32_e32 v138, s2, v141
	v_ashrrev_i32_e32 v95, s16, v139
	v_lshlrev_b32_e32 v138, 2, v138
	v_bfe_u32 v137, v95, 24, 2
	v_and_b32_e32 v95, 0x3030303, v95
	v_and_b32_e32 v138, 0x4040404, v138
	v_sub_u16_e32 v139, v95, v138
	v_sub_u16_sdwa v140, v95, v138 dst_sel:BYTE_1 dst_unused:UNUSED_PAD src0_sel:BYTE_1 src1_sel:BYTE_1
	v_sub_u16_sdwa v95, v95, v138 dst_sel:DWORD dst_unused:UNUSED_PAD src0_sel:WORD_1 src1_sel:WORD_1
	v_sub_u16_sdwa v137, v137, v138 dst_sel:BYTE_1 dst_unused:UNUSED_PAD src0_sel:DWORD src1_sel:BYTE_3
	v_bitop3_b16 v139, v139, v140, s23 bitop3:0xec
	v_bitop3_b16 v95, v95, v137, s23 bitop3:0xec
	v_lshlrev_b32_e32 v95, 16, v95
	v_or_b32_sdwa v137, v139, v95 dst_sel:DWORD dst_unused:UNUSED_PAD src0_sel:WORD_0 src1_sel:DWORD
	v_mov_b32_e32 v139, 0
	v_add_u32_e32 v138, s17, v124
	v_add3_u32 v95, s29, v122, v123
	v_dot4c_i32_i8_e32 v139, v131, v6
	v_mov_b32_e32 v6, 0
	ds_read_b32 v95, v95
	v_dot4c_i32_i8_e32 v6, v135, v2
	ds_read_u16 v2, v138 offset:2
	v_dot4c_i32_i8_e32 v139, v132, v7
	v_dot4c_i32_i8_e32 v139, v133, v8
	;; [unrolled: 1-line block ×5, first 2 shown]
	s_waitcnt lgkmcnt(0)
	v_lshrrev_b16_e32 v3, 8, v2
	v_bfe_i32 v2, v2, 0, 8
	v_dot4c_i32_i8_e32 v6, v137, v5
	v_bfe_i32 v5, v3, 0, 8
	v_mul_lo_u32 v4, v139, v2
	v_mad_u64_u32 v[2:3], s[30:31], v129, v130, v[96:97]
	v_mad_u64_u32 v[4:5], s[30:31], v6, v5, v[4:5]
	v_cvt_f32_i32_e32 v3, v4
	v_cvt_f32_i32_e32 v2, v2
	v_pk_mul_f32 v[6:7], v[92:93], v[94:95] op_sel_hi:[0,1]
	s_add_i32 s2, s2, 1
	v_add_u32_e32 v93, 32, v93
	v_pk_fma_f32 v[30:31], v[6:7], v[2:3], v[30:31]
	s_cmp_lt_u32 s16, 6
	s_mov_b32 s17, s16
	s_cbranch_scc1 .LBB209_11
; %bb.12:                               ;   in Loop: Header=BB209_5 Depth=1
	s_or_b32 s2, s27, 0x80
	s_cmp_ge_i32 s2, s15
	s_barrier
	s_cbranch_scc1 .LBB209_4
; %bb.13:                               ;   in Loop: Header=BB209_5 Depth=1
	v_add_u32_e32 v2, s28, v100
	v_cmp_gt_i32_e64 s[2:3], s5, v2
	s_and_b64 s[16:17], s[0:1], s[2:3]
	s_and_saveexec_b64 s[2:3], s[16:17]
	s_cbranch_execz .LBB209_15
; %bb.14:                               ;   in Loop: Header=BB209_5 Depth=1
	v_add_u32_e32 v2, v34, v2
	v_mad_i64_i32 v[2:3], s[16:17], v2, 36, v[36:37]
	global_load_dword v2, v[2:3], off offset:4
	s_waitcnt vmcnt(0)
	ds_write_b32 v69, v2
.LBB209_15:                             ;   in Loop: Header=BB209_5 Depth=1
	s_or_b64 exec, exec, s[2:3]
	s_and_saveexec_b64 s[16:17], vcc
	s_cbranch_execz .LBB209_18
; %bb.16:                               ;   in Loop: Header=BB209_5 Depth=1
	v_or_b32_e32 v2, 4, v90
	v_cmp_gt_i32_e64 s[2:3], s5, v2
	s_and_b64 s[2:3], s[0:1], s[2:3]
	s_and_b64 exec, exec, s[2:3]
	s_cbranch_execz .LBB209_18
; %bb.17:                               ;   in Loop: Header=BB209_5 Depth=1
	v_ashrrev_i32_e32 v91, 31, v90
	v_lshl_add_u64 v[2:3], v[34:35], 0, v[90:91]
	v_mad_u64_u32 v[4:5], s[2:3], v2, 36, s[10:11]
	v_mad_i32_i24 v5, v3, 36, v5
	global_load_dword v2, v[4:5], off offset:144
	s_waitcnt vmcnt(0)
	v_cvt_f32_f16_e32 v2, v2
	ds_write_b32 v73, v2
.LBB209_18:                             ;   in Loop: Header=BB209_5 Depth=1
	s_or_b64 exec, exec, s[16:17]
	s_mov_b32 s2, 8
	s_mov_b32 s29, 6
	;; [unrolled: 1-line block ×3, first 2 shown]
	v_mov_b32_e32 v91, v67
	v_mov_b32_e32 v93, v71
	s_waitcnt lgkmcnt(0)
	s_barrier
.LBB209_19:                             ;   Parent Loop BB209_5 Depth=1
                                        ; =>  This Inner Loop Header: Depth=2
	s_add_i32 s16, s29, 2
	s_lshr_b32 s33, s16, 4
	s_and_b32 s31, s16, 0x3ffffff8
	v_lshl_add_u32 v128, s31, 2, v104
	s_lshl_b32 s31, s33, 5
	s_addk_i32 s31, 0x4200
	v_add3_u32 v129, s31, v109, v110
	ds_read_b32 v92, v93
	ds_read_b128 v[6:9], v91
	ds_read_b128 v[2:5], v91 offset:16
	ds_read2_b32 v[94:95], v128 offset1:1
	ds_read2_b32 v[130:131], v129 offset1:1
	s_add_i32 s17, s29, -6
	s_and_b32 s30, s2, -16
	s_add_i32 s30, s29, s30
	s_waitcnt lgkmcnt(1)
	v_ashrrev_i32_e32 v94, s17, v94
	s_waitcnt lgkmcnt(0)
	v_ashrrev_i32_e32 v130, s3, v130
	v_lshlrev_b32_e32 v130, 2, v130
	v_bfe_u32 v96, v94, 24, 2
	v_and_b32_e32 v94, 0x3030303, v94
	v_and_b32_e32 v130, 0x4040404, v130
	v_sub_u16_e32 v132, v94, v130
	v_sub_u16_sdwa v133, v94, v130 dst_sel:BYTE_1 dst_unused:UNUSED_PAD src0_sel:BYTE_1 src1_sel:BYTE_1
	v_sub_u16_sdwa v94, v94, v130 dst_sel:DWORD dst_unused:UNUSED_PAD src0_sel:WORD_1 src1_sel:WORD_1
	v_sub_u16_sdwa v96, v96, v130 dst_sel:BYTE_1 dst_unused:UNUSED_PAD src0_sel:DWORD src1_sel:BYTE_3
	v_bitop3_b16 v132, v132, v133, s23 bitop3:0xec
	v_bitop3_b16 v94, v94, v96, s23 bitop3:0xec
	v_lshlrev_b32_e32 v94, 16, v94
	v_ashrrev_i32_e32 v130, s3, v131
	v_or_b32_sdwa v96, v132, v94 dst_sel:DWORD dst_unused:UNUSED_PAD src0_sel:WORD_0 src1_sel:DWORD
	v_ashrrev_i32_e32 v94, s17, v95
	v_lshlrev_b32_e32 v130, 2, v130
	v_bfe_u32 v95, v94, 24, 2
	v_and_b32_e32 v94, 0x3030303, v94
	v_and_b32_e32 v130, 0x4040404, v130
	v_sub_u16_e32 v131, v94, v130
	v_sub_u16_sdwa v132, v94, v130 dst_sel:BYTE_1 dst_unused:UNUSED_PAD src0_sel:BYTE_1 src1_sel:BYTE_1
	v_sub_u16_sdwa v94, v94, v130 dst_sel:DWORD dst_unused:UNUSED_PAD src0_sel:WORD_1 src1_sel:WORD_1
	v_sub_u16_sdwa v95, v95, v130 dst_sel:BYTE_1 dst_unused:UNUSED_PAD src0_sel:DWORD src1_sel:BYTE_3
	v_bitop3_b16 v131, v131, v132, s23 bitop3:0xec
	v_bitop3_b16 v94, v94, v95, s23 bitop3:0xec
	v_lshlrev_b32_e32 v94, 16, v94
	v_or_b32_sdwa v132, v131, v94 dst_sel:DWORD dst_unused:UNUSED_PAD src0_sel:WORD_0 src1_sel:DWORD
	ds_read2_b32 v[94:95], v128 offset0:2 offset1:3
	ds_read2_b32 v[130:131], v129 offset0:2 offset1:3
	s_lshl_b32 s29, s33, 2
	s_addk_i32 s29, 0x7380
	s_add_i32 s2, s2, 2
	s_waitcnt lgkmcnt(1)
	v_ashrrev_i32_e32 v94, s17, v94
	s_waitcnt lgkmcnt(0)
	v_ashrrev_i32_e32 v130, s3, v130
	v_lshlrev_b32_e32 v130, 2, v130
	v_bfe_u32 v133, v94, 24, 2
	v_and_b32_e32 v94, 0x3030303, v94
	v_and_b32_e32 v130, 0x4040404, v130
	v_sub_u16_e32 v134, v94, v130
	v_sub_u16_sdwa v135, v94, v130 dst_sel:BYTE_1 dst_unused:UNUSED_PAD src0_sel:BYTE_1 src1_sel:BYTE_1
	v_sub_u16_sdwa v94, v94, v130 dst_sel:DWORD dst_unused:UNUSED_PAD src0_sel:WORD_1 src1_sel:WORD_1
	v_sub_u16_sdwa v130, v133, v130 dst_sel:BYTE_1 dst_unused:UNUSED_PAD src0_sel:DWORD src1_sel:BYTE_3
	v_bitop3_b16 v134, v134, v135, s23 bitop3:0xec
	v_bitop3_b16 v94, v94, v130, s23 bitop3:0xec
	v_lshlrev_b32_e32 v94, 16, v94
	v_ashrrev_i32_e32 v130, s3, v131
	v_or_b32_sdwa v133, v134, v94 dst_sel:DWORD dst_unused:UNUSED_PAD src0_sel:WORD_0 src1_sel:DWORD
	v_ashrrev_i32_e32 v94, s17, v95
	v_lshlrev_b32_e32 v130, 2, v130
	v_bfe_u32 v95, v94, 24, 2
	v_and_b32_e32 v94, 0x3030303, v94
	v_and_b32_e32 v130, 0x4040404, v130
	v_sub_u16_e32 v131, v94, v130
	v_sub_u16_sdwa v134, v94, v130 dst_sel:BYTE_1 dst_unused:UNUSED_PAD src0_sel:BYTE_1 src1_sel:BYTE_1
	v_sub_u16_sdwa v94, v94, v130 dst_sel:DWORD dst_unused:UNUSED_PAD src0_sel:WORD_1 src1_sel:WORD_1
	v_sub_u16_sdwa v95, v95, v130 dst_sel:BYTE_1 dst_unused:UNUSED_PAD src0_sel:DWORD src1_sel:BYTE_3
	v_bitop3_b16 v131, v131, v134, s23 bitop3:0xec
	v_bitop3_b16 v94, v94, v95, s23 bitop3:0xec
	v_lshlrev_b32_e32 v94, 16, v94
	v_or_b32_sdwa v134, v131, v94 dst_sel:DWORD dst_unused:UNUSED_PAD src0_sel:WORD_0 src1_sel:DWORD
	ds_read2_b32 v[94:95], v128 offset0:4 offset1:5
	ds_read2_b32 v[130:131], v129 offset0:4 offset1:5
	v_add_u32_e32 v91, 32, v91
	s_waitcnt lgkmcnt(1)
	v_ashrrev_i32_e32 v94, s17, v94
	s_waitcnt lgkmcnt(0)
	v_ashrrev_i32_e32 v130, s3, v130
	v_lshlrev_b32_e32 v130, 2, v130
	v_bfe_u32 v135, v94, 24, 2
	v_and_b32_e32 v94, 0x3030303, v94
	v_and_b32_e32 v130, 0x4040404, v130
	v_sub_u16_e32 v136, v94, v130
	v_sub_u16_sdwa v137, v94, v130 dst_sel:BYTE_1 dst_unused:UNUSED_PAD src0_sel:BYTE_1 src1_sel:BYTE_1
	v_sub_u16_sdwa v94, v94, v130 dst_sel:DWORD dst_unused:UNUSED_PAD src0_sel:WORD_1 src1_sel:WORD_1
	v_sub_u16_sdwa v130, v135, v130 dst_sel:BYTE_1 dst_unused:UNUSED_PAD src0_sel:DWORD src1_sel:BYTE_3
	v_bitop3_b16 v136, v136, v137, s23 bitop3:0xec
	v_bitop3_b16 v94, v94, v130, s23 bitop3:0xec
	v_lshlrev_b32_e32 v94, 16, v94
	v_ashrrev_i32_e32 v130, s3, v131
	v_or_b32_sdwa v135, v136, v94 dst_sel:DWORD dst_unused:UNUSED_PAD src0_sel:WORD_0 src1_sel:DWORD
	v_ashrrev_i32_e32 v94, s17, v95
	v_lshlrev_b32_e32 v130, 2, v130
	v_bfe_u32 v95, v94, 24, 2
	v_and_b32_e32 v94, 0x3030303, v94
	v_and_b32_e32 v130, 0x4040404, v130
	v_sub_u16_e32 v131, v94, v130
	v_sub_u16_sdwa v136, v94, v130 dst_sel:BYTE_1 dst_unused:UNUSED_PAD src0_sel:BYTE_1 src1_sel:BYTE_1
	v_sub_u16_sdwa v94, v94, v130 dst_sel:DWORD dst_unused:UNUSED_PAD src0_sel:WORD_1 src1_sel:WORD_1
	v_sub_u16_sdwa v95, v95, v130 dst_sel:BYTE_1 dst_unused:UNUSED_PAD src0_sel:DWORD src1_sel:BYTE_3
	v_bitop3_b16 v131, v131, v136, s23 bitop3:0xec
	v_bitop3_b16 v94, v94, v95, s23 bitop3:0xec
	v_lshlrev_b32_e32 v94, 16, v94
	v_or_b32_sdwa v136, v131, v94 dst_sel:DWORD dst_unused:UNUSED_PAD src0_sel:WORD_0 src1_sel:DWORD
	ds_read2_b32 v[94:95], v128 offset0:6 offset1:7
	ds_read2_b32 v[130:131], v129 offset0:6 offset1:7
	s_waitcnt lgkmcnt(1)
	v_ashrrev_i32_e32 v94, s17, v94
	s_waitcnt lgkmcnt(0)
	v_ashrrev_i32_e32 v129, s3, v130
	v_lshlrev_b32_e32 v129, 2, v129
	v_bfe_u32 v137, v94, 24, 2
	v_and_b32_e32 v94, 0x3030303, v94
	v_and_b32_e32 v129, 0x4040404, v129
	v_sub_u16_e32 v130, v94, v129
	v_sub_u16_sdwa v138, v94, v129 dst_sel:BYTE_1 dst_unused:UNUSED_PAD src0_sel:BYTE_1 src1_sel:BYTE_1
	v_sub_u16_sdwa v94, v94, v129 dst_sel:DWORD dst_unused:UNUSED_PAD src0_sel:WORD_1 src1_sel:WORD_1
	v_sub_u16_sdwa v129, v137, v129 dst_sel:BYTE_1 dst_unused:UNUSED_PAD src0_sel:DWORD src1_sel:BYTE_3
	v_bitop3_b16 v130, v130, v138, s23 bitop3:0xec
	v_bitop3_b16 v94, v94, v129, s23 bitop3:0xec
	v_lshlrev_b32_e32 v94, 16, v94
	v_or_b32_sdwa v129, v130, v94 dst_sel:DWORD dst_unused:UNUSED_PAD src0_sel:WORD_0 src1_sel:DWORD
	v_ashrrev_i32_e32 v130, s3, v131
	v_ashrrev_i32_e32 v94, s17, v95
	v_lshlrev_b32_e32 v130, 2, v130
	v_bfe_u32 v95, v94, 24, 2
	v_and_b32_e32 v94, 0x3030303, v94
	v_and_b32_e32 v130, 0x4040404, v130
	v_sub_u16_e32 v131, v94, v130
	v_sub_u16_sdwa v137, v94, v130 dst_sel:BYTE_1 dst_unused:UNUSED_PAD src0_sel:BYTE_1 src1_sel:BYTE_1
	v_sub_u16_sdwa v94, v94, v130 dst_sel:DWORD dst_unused:UNUSED_PAD src0_sel:WORD_1 src1_sel:WORD_1
	v_sub_u16_sdwa v95, v95, v130 dst_sel:BYTE_1 dst_unused:UNUSED_PAD src0_sel:DWORD src1_sel:BYTE_3
	v_bitop3_b16 v131, v131, v137, s23 bitop3:0xec
	v_bitop3_b16 v94, v94, v95, s23 bitop3:0xec
	v_lshlrev_b32_e32 v94, 16, v94
	v_or_b32_sdwa v95, v131, v94 dst_sel:DWORD dst_unused:UNUSED_PAD src0_sel:WORD_0 src1_sel:DWORD
	v_mov_b32_e32 v131, 0
	v_dot4c_i32_i8_e32 v131, v96, v6
	v_dot4c_i32_i8_e32 v131, v132, v7
	;; [unrolled: 1-line block ×4, first 2 shown]
	v_mov_b32_e32 v134, 0
	v_dot4c_i32_i8_e32 v134, v135, v2
	v_dot4c_i32_i8_e32 v134, v136, v3
	v_add_u32_e32 v130, s30, v81
	v_dot4c_i32_i8_e32 v134, v129, v4
	v_dot4c_i32_i8_e32 v134, v95, v5
	ds_read_u16 v95, v130 offset:25346
	v_add3_u32 v94, s29, v127, v111
	v_add3_u32 v135, s31, v112, v113
	ds_read_b32 v94, v94
	ds_read2_b32 v[132:133], v135 offset1:1
	s_waitcnt lgkmcnt(2)
	v_lshrrev_b16_e32 v96, 8, v95
	v_bfe_i32 v95, v95, 0, 8
	v_bfe_i32 v129, v96, 0, 8
	v_mul_lo_u32 v96, v131, v95
	v_add_u32_e32 v95, 0x1080, v128
	ds_read2_b32 v[130:131], v95 offset1:1
	s_waitcnt lgkmcnt(1)
	v_ashrrev_i32_e32 v132, s3, v132
	v_lshlrev_b32_e32 v132, 2, v132
	v_and_b32_e32 v132, 0x4040404, v132
	s_waitcnt lgkmcnt(0)
	v_ashrrev_i32_e32 v95, s17, v130
	v_bfe_u32 v130, v95, 24, 2
	v_and_b32_e32 v95, 0x3030303, v95
	v_sub_u16_e32 v136, v95, v132
	v_sub_u16_sdwa v137, v95, v132 dst_sel:BYTE_1 dst_unused:UNUSED_PAD src0_sel:BYTE_1 src1_sel:BYTE_1
	v_sub_u16_sdwa v95, v95, v132 dst_sel:DWORD dst_unused:UNUSED_PAD src0_sel:WORD_1 src1_sel:WORD_1
	v_sub_u16_sdwa v130, v130, v132 dst_sel:BYTE_1 dst_unused:UNUSED_PAD src0_sel:DWORD src1_sel:BYTE_3
	v_bitop3_b16 v136, v136, v137, s23 bitop3:0xec
	v_bitop3_b16 v95, v95, v130, s23 bitop3:0xec
	v_lshlrev_b32_e32 v95, 16, v95
	v_or_b32_sdwa v136, v136, v95 dst_sel:DWORD dst_unused:UNUSED_PAD src0_sel:WORD_0 src1_sel:DWORD
	v_ashrrev_i32_e32 v95, s17, v131
	v_ashrrev_i32_e32 v131, s3, v133
	v_lshlrev_b32_e32 v131, 2, v131
	v_bfe_u32 v130, v95, 24, 2
	v_and_b32_e32 v95, 0x3030303, v95
	v_and_b32_e32 v131, 0x4040404, v131
	v_sub_u16_e32 v132, v95, v131
	v_sub_u16_sdwa v133, v95, v131 dst_sel:BYTE_1 dst_unused:UNUSED_PAD src0_sel:BYTE_1 src1_sel:BYTE_1
	v_sub_u16_sdwa v95, v95, v131 dst_sel:DWORD dst_unused:UNUSED_PAD src0_sel:WORD_1 src1_sel:WORD_1
	v_sub_u16_sdwa v130, v130, v131 dst_sel:BYTE_1 dst_unused:UNUSED_PAD src0_sel:DWORD src1_sel:BYTE_3
	v_bitop3_b16 v132, v132, v133, s23 bitop3:0xec
	v_bitop3_b16 v95, v95, v130, s23 bitop3:0xec
	v_lshlrev_b32_e32 v95, 16, v95
	v_or_b32_sdwa v137, v132, v95 dst_sel:DWORD dst_unused:UNUSED_PAD src0_sel:WORD_0 src1_sel:DWORD
	v_add_u32_e32 v95, 0x1088, v128
	ds_read2_b32 v[130:131], v95 offset1:1
	ds_read2_b32 v[132:133], v135 offset0:2 offset1:3
	s_waitcnt lgkmcnt(1)
	v_ashrrev_i32_e32 v95, s17, v130
	s_waitcnt lgkmcnt(0)
	v_ashrrev_i32_e32 v132, s3, v132
	v_lshlrev_b32_e32 v132, 2, v132
	v_bfe_u32 v130, v95, 24, 2
	v_and_b32_e32 v95, 0x3030303, v95
	v_and_b32_e32 v132, 0x4040404, v132
	v_sub_u16_e32 v138, v95, v132
	v_sub_u16_sdwa v139, v95, v132 dst_sel:BYTE_1 dst_unused:UNUSED_PAD src0_sel:BYTE_1 src1_sel:BYTE_1
	v_sub_u16_sdwa v95, v95, v132 dst_sel:DWORD dst_unused:UNUSED_PAD src0_sel:WORD_1 src1_sel:WORD_1
	v_sub_u16_sdwa v130, v130, v132 dst_sel:BYTE_1 dst_unused:UNUSED_PAD src0_sel:DWORD src1_sel:BYTE_3
	v_bitop3_b16 v138, v138, v139, s23 bitop3:0xec
	v_bitop3_b16 v95, v95, v130, s23 bitop3:0xec
	v_lshlrev_b32_e32 v95, 16, v95
	v_or_b32_sdwa v138, v138, v95 dst_sel:DWORD dst_unused:UNUSED_PAD src0_sel:WORD_0 src1_sel:DWORD
	v_ashrrev_i32_e32 v95, s17, v131
	v_ashrrev_i32_e32 v131, s3, v133
	v_lshlrev_b32_e32 v131, 2, v131
	v_bfe_u32 v130, v95, 24, 2
	v_and_b32_e32 v95, 0x3030303, v95
	v_and_b32_e32 v131, 0x4040404, v131
	v_sub_u16_e32 v132, v95, v131
	v_sub_u16_sdwa v133, v95, v131 dst_sel:BYTE_1 dst_unused:UNUSED_PAD src0_sel:BYTE_1 src1_sel:BYTE_1
	v_sub_u16_sdwa v95, v95, v131 dst_sel:DWORD dst_unused:UNUSED_PAD src0_sel:WORD_1 src1_sel:WORD_1
	v_sub_u16_sdwa v130, v130, v131 dst_sel:BYTE_1 dst_unused:UNUSED_PAD src0_sel:DWORD src1_sel:BYTE_3
	v_bitop3_b16 v132, v132, v133, s23 bitop3:0xec
	v_bitop3_b16 v95, v95, v130, s23 bitop3:0xec
	v_lshlrev_b32_e32 v95, 16, v95
	v_or_b32_sdwa v139, v132, v95 dst_sel:DWORD dst_unused:UNUSED_PAD src0_sel:WORD_0 src1_sel:DWORD
	v_add_u32_e32 v95, 0x1090, v128
	ds_read2_b32 v[130:131], v95 offset1:1
	ds_read2_b32 v[132:133], v135 offset0:4 offset1:5
	s_waitcnt lgkmcnt(1)
	v_ashrrev_i32_e32 v95, s17, v130
	s_waitcnt lgkmcnt(0)
	v_ashrrev_i32_e32 v132, s3, v132
	v_lshlrev_b32_e32 v132, 2, v132
	v_bfe_u32 v130, v95, 24, 2
	v_and_b32_e32 v95, 0x3030303, v95
	;; [unrolled: 33-line block ×3, first 2 shown]
	v_and_b32_e32 v132, 0x4040404, v132
	v_sub_u16_e32 v135, v95, v132
	v_sub_u16_sdwa v142, v95, v132 dst_sel:BYTE_1 dst_unused:UNUSED_PAD src0_sel:BYTE_1 src1_sel:BYTE_1
	v_sub_u16_sdwa v95, v95, v132 dst_sel:DWORD dst_unused:UNUSED_PAD src0_sel:WORD_1 src1_sel:WORD_1
	v_sub_u16_sdwa v130, v130, v132 dst_sel:BYTE_1 dst_unused:UNUSED_PAD src0_sel:DWORD src1_sel:BYTE_3
	v_bitop3_b16 v135, v135, v142, s23 bitop3:0xec
	v_bitop3_b16 v95, v95, v130, s23 bitop3:0xec
	v_lshlrev_b32_e32 v95, 16, v95
	v_or_b32_sdwa v132, v135, v95 dst_sel:DWORD dst_unused:UNUSED_PAD src0_sel:WORD_0 src1_sel:DWORD
	v_ashrrev_i32_e32 v95, s17, v131
	v_ashrrev_i32_e32 v131, s3, v133
	v_lshlrev_b32_e32 v131, 2, v131
	v_bfe_u32 v130, v95, 24, 2
	v_and_b32_e32 v95, 0x3030303, v95
	v_and_b32_e32 v131, 0x4040404, v131
	v_sub_u16_e32 v133, v95, v131
	v_sub_u16_sdwa v135, v95, v131 dst_sel:BYTE_1 dst_unused:UNUSED_PAD src0_sel:BYTE_1 src1_sel:BYTE_1
	v_sub_u16_sdwa v95, v95, v131 dst_sel:DWORD dst_unused:UNUSED_PAD src0_sel:WORD_1 src1_sel:WORD_1
	v_sub_u16_sdwa v130, v130, v131 dst_sel:BYTE_1 dst_unused:UNUSED_PAD src0_sel:DWORD src1_sel:BYTE_3
	v_bitop3_b16 v133, v133, v135, s23 bitop3:0xec
	v_bitop3_b16 v95, v95, v130, s23 bitop3:0xec
	v_lshlrev_b32_e32 v95, 16, v95
	v_or_b32_sdwa v131, v133, v95 dst_sel:DWORD dst_unused:UNUSED_PAD src0_sel:WORD_0 src1_sel:DWORD
	v_add_u32_e32 v130, s30, v79
	v_add3_u32 v95, s29, v114, v115
	ds_read_b32 v95, v95
	ds_read_u16 v130, v130 offset:26370
	v_mov_b32_e32 v133, 0
	v_dot4c_i32_i8_e32 v133, v136, v6
	v_mov_b32_e32 v136, 0
	v_dot4c_i32_i8_e32 v133, v137, v7
	v_dot4c_i32_i8_e32 v136, v140, v2
	;; [unrolled: 1-line block ×5, first 2 shown]
	s_waitcnt lgkmcnt(0)
	v_lshrrev_b16_e32 v135, 8, v130
	v_bfe_i32 v130, v130, 0, 8
	v_dot4c_i32_i8_e32 v136, v132, v4
	v_mul_lo_u32 v130, v133, v130
	v_dot4c_i32_i8_e32 v136, v131, v5
	v_bfe_i32 v131, v135, 0, 8
	v_mad_u64_u32 v[132:133], s[34:35], v134, v129, v[96:97]
	s_nop 0
	v_mad_u64_u32 v[130:131], s[34:35], v136, v131, v[130:131]
	v_cvt_f32_i32_e32 v131, v130
	v_cvt_f32_i32_e32 v130, v132
	v_pk_mul_f32 v[94:95], v[92:93], v[94:95] op_sel_hi:[0,1]
	v_add3_u32 v129, s31, v116, v117
	v_pk_fma_f32 v[32:33], v[94:95], v[130:131], v[32:33]
	v_add_u32_e32 v94, 0x2100, v128
	ds_read2_b32 v[94:95], v94 offset1:1
	ds_read2_b32 v[130:131], v129 offset1:1
	s_waitcnt lgkmcnt(1)
	v_ashrrev_i32_e32 v94, s17, v94
	s_waitcnt lgkmcnt(0)
	v_ashrrev_i32_e32 v130, s3, v130
	v_lshlrev_b32_e32 v130, 2, v130
	v_bfe_u32 v96, v94, 24, 2
	v_and_b32_e32 v94, 0x3030303, v94
	v_and_b32_e32 v130, 0x4040404, v130
	v_sub_u16_e32 v132, v94, v130
	v_sub_u16_sdwa v133, v94, v130 dst_sel:BYTE_1 dst_unused:UNUSED_PAD src0_sel:BYTE_1 src1_sel:BYTE_1
	v_sub_u16_sdwa v94, v94, v130 dst_sel:DWORD dst_unused:UNUSED_PAD src0_sel:WORD_1 src1_sel:WORD_1
	v_sub_u16_sdwa v96, v96, v130 dst_sel:BYTE_1 dst_unused:UNUSED_PAD src0_sel:DWORD src1_sel:BYTE_3
	v_bitop3_b16 v132, v132, v133, s23 bitop3:0xec
	v_bitop3_b16 v94, v94, v96, s23 bitop3:0xec
	v_lshlrev_b32_e32 v94, 16, v94
	v_ashrrev_i32_e32 v130, s3, v131
	v_or_b32_sdwa v96, v132, v94 dst_sel:DWORD dst_unused:UNUSED_PAD src0_sel:WORD_0 src1_sel:DWORD
	v_ashrrev_i32_e32 v94, s17, v95
	v_lshlrev_b32_e32 v130, 2, v130
	v_bfe_u32 v95, v94, 24, 2
	v_and_b32_e32 v94, 0x3030303, v94
	v_and_b32_e32 v130, 0x4040404, v130
	v_sub_u16_e32 v131, v94, v130
	v_sub_u16_sdwa v132, v94, v130 dst_sel:BYTE_1 dst_unused:UNUSED_PAD src0_sel:BYTE_1 src1_sel:BYTE_1
	v_sub_u16_sdwa v94, v94, v130 dst_sel:DWORD dst_unused:UNUSED_PAD src0_sel:WORD_1 src1_sel:WORD_1
	v_sub_u16_sdwa v95, v95, v130 dst_sel:BYTE_1 dst_unused:UNUSED_PAD src0_sel:DWORD src1_sel:BYTE_3
	v_bitop3_b16 v131, v131, v132, s23 bitop3:0xec
	v_bitop3_b16 v94, v94, v95, s23 bitop3:0xec
	v_lshlrev_b32_e32 v94, 16, v94
	v_or_b32_sdwa v132, v131, v94 dst_sel:DWORD dst_unused:UNUSED_PAD src0_sel:WORD_0 src1_sel:DWORD
	v_add_u32_e32 v94, 0x2108, v128
	ds_read2_b32 v[94:95], v94 offset1:1
	ds_read2_b32 v[130:131], v129 offset0:2 offset1:3
	s_waitcnt lgkmcnt(1)
	v_ashrrev_i32_e32 v94, s17, v94
	s_waitcnt lgkmcnt(0)
	v_ashrrev_i32_e32 v130, s3, v130
	v_lshlrev_b32_e32 v130, 2, v130
	v_bfe_u32 v133, v94, 24, 2
	v_and_b32_e32 v94, 0x3030303, v94
	v_and_b32_e32 v130, 0x4040404, v130
	v_sub_u16_e32 v134, v94, v130
	v_sub_u16_sdwa v135, v94, v130 dst_sel:BYTE_1 dst_unused:UNUSED_PAD src0_sel:BYTE_1 src1_sel:BYTE_1
	v_sub_u16_sdwa v94, v94, v130 dst_sel:DWORD dst_unused:UNUSED_PAD src0_sel:WORD_1 src1_sel:WORD_1
	v_sub_u16_sdwa v130, v133, v130 dst_sel:BYTE_1 dst_unused:UNUSED_PAD src0_sel:DWORD src1_sel:BYTE_3
	v_bitop3_b16 v134, v134, v135, s23 bitop3:0xec
	v_bitop3_b16 v94, v94, v130, s23 bitop3:0xec
	v_lshlrev_b32_e32 v94, 16, v94
	v_ashrrev_i32_e32 v130, s3, v131
	v_or_b32_sdwa v133, v134, v94 dst_sel:DWORD dst_unused:UNUSED_PAD src0_sel:WORD_0 src1_sel:DWORD
	v_ashrrev_i32_e32 v94, s17, v95
	v_lshlrev_b32_e32 v130, 2, v130
	v_bfe_u32 v95, v94, 24, 2
	v_and_b32_e32 v94, 0x3030303, v94
	v_and_b32_e32 v130, 0x4040404, v130
	v_sub_u16_e32 v131, v94, v130
	v_sub_u16_sdwa v134, v94, v130 dst_sel:BYTE_1 dst_unused:UNUSED_PAD src0_sel:BYTE_1 src1_sel:BYTE_1
	v_sub_u16_sdwa v94, v94, v130 dst_sel:DWORD dst_unused:UNUSED_PAD src0_sel:WORD_1 src1_sel:WORD_1
	v_sub_u16_sdwa v95, v95, v130 dst_sel:BYTE_1 dst_unused:UNUSED_PAD src0_sel:DWORD src1_sel:BYTE_3
	v_bitop3_b16 v131, v131, v134, s23 bitop3:0xec
	v_bitop3_b16 v94, v94, v95, s23 bitop3:0xec
	v_lshlrev_b32_e32 v94, 16, v94
	v_or_b32_sdwa v134, v131, v94 dst_sel:DWORD dst_unused:UNUSED_PAD src0_sel:WORD_0 src1_sel:DWORD
	v_add_u32_e32 v94, 0x2110, v128
	ds_read2_b32 v[94:95], v94 offset1:1
	ds_read2_b32 v[130:131], v129 offset0:4 offset1:5
	;; [unrolled: 33-line block ×3, first 2 shown]
	s_waitcnt lgkmcnt(1)
	v_ashrrev_i32_e32 v94, s17, v94
	s_waitcnt lgkmcnt(0)
	v_ashrrev_i32_e32 v129, s3, v130
	v_lshlrev_b32_e32 v129, 2, v129
	v_bfe_u32 v137, v94, 24, 2
	v_and_b32_e32 v94, 0x3030303, v94
	v_and_b32_e32 v129, 0x4040404, v129
	v_sub_u16_e32 v130, v94, v129
	v_sub_u16_sdwa v138, v94, v129 dst_sel:BYTE_1 dst_unused:UNUSED_PAD src0_sel:BYTE_1 src1_sel:BYTE_1
	v_sub_u16_sdwa v94, v94, v129 dst_sel:DWORD dst_unused:UNUSED_PAD src0_sel:WORD_1 src1_sel:WORD_1
	v_sub_u16_sdwa v129, v137, v129 dst_sel:BYTE_1 dst_unused:UNUSED_PAD src0_sel:DWORD src1_sel:BYTE_3
	v_bitop3_b16 v130, v130, v138, s23 bitop3:0xec
	v_bitop3_b16 v94, v94, v129, s23 bitop3:0xec
	v_lshlrev_b32_e32 v94, 16, v94
	v_ashrrev_i32_e32 v129, s3, v131
	v_or_b32_sdwa v130, v130, v94 dst_sel:DWORD dst_unused:UNUSED_PAD src0_sel:WORD_0 src1_sel:DWORD
	v_ashrrev_i32_e32 v94, s17, v95
	v_lshlrev_b32_e32 v129, 2, v129
	v_bfe_u32 v95, v94, 24, 2
	v_and_b32_e32 v94, 0x3030303, v94
	v_and_b32_e32 v129, 0x4040404, v129
	v_sub_u16_e32 v131, v94, v129
	v_sub_u16_sdwa v137, v94, v129 dst_sel:BYTE_1 dst_unused:UNUSED_PAD src0_sel:BYTE_1 src1_sel:BYTE_1
	v_sub_u16_sdwa v94, v94, v129 dst_sel:DWORD dst_unused:UNUSED_PAD src0_sel:WORD_1 src1_sel:WORD_1
	v_sub_u16_sdwa v95, v95, v129 dst_sel:BYTE_1 dst_unused:UNUSED_PAD src0_sel:DWORD src1_sel:BYTE_3
	v_mov_b32_e32 v129, 0
	v_bitop3_b16 v94, v94, v95, s23 bitop3:0xec
	v_dot4c_i32_i8_e32 v129, v135, v2
	v_bitop3_b16 v131, v131, v137, s23 bitop3:0xec
	v_lshlrev_b32_e32 v94, 16, v94
	v_dot4c_i32_i8_e32 v129, v136, v3
	v_or_b32_sdwa v95, v131, v94 dst_sel:DWORD dst_unused:UNUSED_PAD src0_sel:WORD_0 src1_sel:DWORD
	v_add_u32_e32 v131, s30, v77
	v_dot4c_i32_i8_e32 v129, v130, v4
	v_dot4c_i32_i8_e32 v129, v95, v5
	ds_read_u16 v95, v131 offset:27394
	v_mov_b32_e32 v137, 0
	v_dot4c_i32_i8_e32 v137, v96, v6
	v_dot4c_i32_i8_e32 v137, v132, v7
	;; [unrolled: 1-line block ×4, first 2 shown]
	s_waitcnt lgkmcnt(0)
	v_lshrrev_b16_e32 v96, 8, v95
	v_bfe_i32 v95, v95, 0, 8
	v_add3_u32 v94, s29, v118, v119
	v_bfe_i32 v130, v96, 0, 8
	v_mul_lo_u32 v96, v137, v95
	v_add_u32_e32 v95, 0x3180, v128
	v_add3_u32 v136, s31, v120, v121
	ds_read_b32 v94, v94
	ds_read2_b32 v[132:133], v95 offset1:1
	ds_read2_b32 v[134:135], v136 offset1:1
	s_waitcnt lgkmcnt(1)
	v_ashrrev_i32_e32 v95, s17, v132
	s_waitcnt lgkmcnt(0)
	v_ashrrev_i32_e32 v132, s3, v134
	v_lshlrev_b32_e32 v132, 2, v132
	v_bfe_u32 v131, v95, 24, 2
	v_and_b32_e32 v95, 0x3030303, v95
	v_and_b32_e32 v132, 0x4040404, v132
	v_sub_u16_e32 v134, v95, v132
	v_sub_u16_sdwa v137, v95, v132 dst_sel:BYTE_1 dst_unused:UNUSED_PAD src0_sel:BYTE_1 src1_sel:BYTE_1
	v_sub_u16_sdwa v95, v95, v132 dst_sel:DWORD dst_unused:UNUSED_PAD src0_sel:WORD_1 src1_sel:WORD_1
	v_sub_u16_sdwa v131, v131, v132 dst_sel:BYTE_1 dst_unused:UNUSED_PAD src0_sel:DWORD src1_sel:BYTE_3
	v_bitop3_b16 v134, v134, v137, s23 bitop3:0xec
	v_bitop3_b16 v95, v95, v131, s23 bitop3:0xec
	v_lshlrev_b32_e32 v95, 16, v95
	v_or_b32_sdwa v131, v134, v95 dst_sel:DWORD dst_unused:UNUSED_PAD src0_sel:WORD_0 src1_sel:DWORD
	v_ashrrev_i32_e32 v95, s17, v133
	v_ashrrev_i32_e32 v133, s3, v135
	v_lshlrev_b32_e32 v133, 2, v133
	v_bfe_u32 v132, v95, 24, 2
	v_and_b32_e32 v95, 0x3030303, v95
	v_and_b32_e32 v133, 0x4040404, v133
	v_sub_u16_e32 v134, v95, v133
	v_sub_u16_sdwa v135, v95, v133 dst_sel:BYTE_1 dst_unused:UNUSED_PAD src0_sel:BYTE_1 src1_sel:BYTE_1
	v_sub_u16_sdwa v95, v95, v133 dst_sel:DWORD dst_unused:UNUSED_PAD src0_sel:WORD_1 src1_sel:WORD_1
	v_sub_u16_sdwa v132, v132, v133 dst_sel:BYTE_1 dst_unused:UNUSED_PAD src0_sel:DWORD src1_sel:BYTE_3
	v_bitop3_b16 v134, v134, v135, s23 bitop3:0xec
	v_bitop3_b16 v95, v95, v132, s23 bitop3:0xec
	v_lshlrev_b32_e32 v95, 16, v95
	v_or_b32_sdwa v137, v134, v95 dst_sel:DWORD dst_unused:UNUSED_PAD src0_sel:WORD_0 src1_sel:DWORD
	v_add_u32_e32 v95, 0x3188, v128
	ds_read2_b32 v[132:133], v95 offset1:1
	ds_read2_b32 v[134:135], v136 offset0:2 offset1:3
	s_waitcnt lgkmcnt(1)
	v_ashrrev_i32_e32 v95, s17, v132
	s_waitcnt lgkmcnt(0)
	v_ashrrev_i32_e32 v134, s3, v134
	v_lshlrev_b32_e32 v134, 2, v134
	v_bfe_u32 v132, v95, 24, 2
	v_and_b32_e32 v95, 0x3030303, v95
	v_and_b32_e32 v134, 0x4040404, v134
	v_sub_u16_e32 v138, v95, v134
	v_sub_u16_sdwa v139, v95, v134 dst_sel:BYTE_1 dst_unused:UNUSED_PAD src0_sel:BYTE_1 src1_sel:BYTE_1
	v_sub_u16_sdwa v95, v95, v134 dst_sel:DWORD dst_unused:UNUSED_PAD src0_sel:WORD_1 src1_sel:WORD_1
	v_sub_u16_sdwa v132, v132, v134 dst_sel:BYTE_1 dst_unused:UNUSED_PAD src0_sel:DWORD src1_sel:BYTE_3
	v_bitop3_b16 v138, v138, v139, s23 bitop3:0xec
	v_bitop3_b16 v95, v95, v132, s23 bitop3:0xec
	v_lshlrev_b32_e32 v95, 16, v95
	v_or_b32_sdwa v138, v138, v95 dst_sel:DWORD dst_unused:UNUSED_PAD src0_sel:WORD_0 src1_sel:DWORD
	v_ashrrev_i32_e32 v95, s17, v133
	v_ashrrev_i32_e32 v133, s3, v135
	v_lshlrev_b32_e32 v133, 2, v133
	v_bfe_u32 v132, v95, 24, 2
	v_and_b32_e32 v95, 0x3030303, v95
	v_and_b32_e32 v133, 0x4040404, v133
	v_sub_u16_e32 v134, v95, v133
	v_sub_u16_sdwa v135, v95, v133 dst_sel:BYTE_1 dst_unused:UNUSED_PAD src0_sel:BYTE_1 src1_sel:BYTE_1
	v_sub_u16_sdwa v95, v95, v133 dst_sel:DWORD dst_unused:UNUSED_PAD src0_sel:WORD_1 src1_sel:WORD_1
	v_sub_u16_sdwa v132, v132, v133 dst_sel:BYTE_1 dst_unused:UNUSED_PAD src0_sel:DWORD src1_sel:BYTE_3
	v_bitop3_b16 v134, v134, v135, s23 bitop3:0xec
	v_bitop3_b16 v95, v95, v132, s23 bitop3:0xec
	v_lshlrev_b32_e32 v95, 16, v95
	v_or_b32_sdwa v139, v134, v95 dst_sel:DWORD dst_unused:UNUSED_PAD src0_sel:WORD_0 src1_sel:DWORD
	v_add_u32_e32 v95, 0x3190, v128
	ds_read2_b32 v[132:133], v95 offset1:1
	ds_read2_b32 v[134:135], v136 offset0:4 offset1:5
	;; [unrolled: 33-line block ×3, first 2 shown]
	s_waitcnt lgkmcnt(1)
	v_ashrrev_i32_e32 v95, s17, v132
	s_waitcnt lgkmcnt(0)
	v_ashrrev_i32_e32 v132, s3, v134
	v_lshlrev_b32_e32 v132, 2, v132
	v_bfe_u32 v128, v95, 24, 2
	v_and_b32_e32 v95, 0x3030303, v95
	v_and_b32_e32 v132, 0x4040404, v132
	v_sub_u16_e32 v134, v95, v132
	v_sub_u16_sdwa v136, v95, v132 dst_sel:BYTE_1 dst_unused:UNUSED_PAD src0_sel:BYTE_1 src1_sel:BYTE_1
	v_sub_u16_sdwa v95, v95, v132 dst_sel:DWORD dst_unused:UNUSED_PAD src0_sel:WORD_1 src1_sel:WORD_1
	v_sub_u16_sdwa v128, v128, v132 dst_sel:BYTE_1 dst_unused:UNUSED_PAD src0_sel:DWORD src1_sel:BYTE_3
	v_bitop3_b16 v134, v134, v136, s23 bitop3:0xec
	v_bitop3_b16 v95, v95, v128, s23 bitop3:0xec
	v_lshlrev_b32_e32 v95, 16, v95
	v_or_b32_sdwa v128, v134, v95 dst_sel:DWORD dst_unused:UNUSED_PAD src0_sel:WORD_0 src1_sel:DWORD
	v_ashrrev_i32_e32 v95, s17, v133
	v_ashrrev_i32_e32 v133, s3, v135
	v_lshlrev_b32_e32 v133, 2, v133
	v_bfe_u32 v132, v95, 24, 2
	v_and_b32_e32 v95, 0x3030303, v95
	v_and_b32_e32 v133, 0x4040404, v133
	v_sub_u16_e32 v134, v95, v133
	v_sub_u16_sdwa v135, v95, v133 dst_sel:BYTE_1 dst_unused:UNUSED_PAD src0_sel:BYTE_1 src1_sel:BYTE_1
	v_sub_u16_sdwa v95, v95, v133 dst_sel:DWORD dst_unused:UNUSED_PAD src0_sel:WORD_1 src1_sel:WORD_1
	v_sub_u16_sdwa v132, v132, v133 dst_sel:BYTE_1 dst_unused:UNUSED_PAD src0_sel:DWORD src1_sel:BYTE_3
	v_bitop3_b16 v134, v134, v135, s23 bitop3:0xec
	v_bitop3_b16 v95, v95, v132, s23 bitop3:0xec
	v_lshlrev_b32_e32 v95, 16, v95
	v_or_b32_sdwa v132, v134, v95 dst_sel:DWORD dst_unused:UNUSED_PAD src0_sel:WORD_0 src1_sel:DWORD
	v_mov_b32_e32 v134, 0
	v_add_u32_e32 v133, s30, v75
	v_add3_u32 v95, s29, v122, v123
	v_dot4c_i32_i8_e32 v134, v131, v6
	v_mov_b32_e32 v6, 0
	ds_read_b32 v95, v95
	v_dot4c_i32_i8_e32 v6, v140, v2
	ds_read_u16 v2, v133 offset:28418
	v_dot4c_i32_i8_e32 v134, v137, v7
	v_dot4c_i32_i8_e32 v134, v138, v8
	v_dot4c_i32_i8_e32 v6, v141, v3
	v_dot4c_i32_i8_e32 v134, v139, v9
	v_dot4c_i32_i8_e32 v6, v128, v4
	s_waitcnt lgkmcnt(0)
	v_lshrrev_b16_e32 v3, 8, v2
	v_bfe_i32 v2, v2, 0, 8
	v_dot4c_i32_i8_e32 v6, v132, v5
	v_bfe_i32 v5, v3, 0, 8
	v_mul_lo_u32 v4, v134, v2
	v_mad_u64_u32 v[2:3], s[30:31], v129, v130, v[96:97]
	v_mad_u64_u32 v[4:5], s[30:31], v6, v5, v[4:5]
	v_cvt_f32_i32_e32 v3, v4
	v_cvt_f32_i32_e32 v2, v2
	v_pk_mul_f32 v[6:7], v[92:93], v[94:95] op_sel_hi:[0,1]
	s_add_i32 s3, s3, 1
	v_add_u32_e32 v93, 4, v93
	v_pk_fma_f32 v[30:31], v[6:7], v[2:3], v[30:31]
	s_cmp_lt_u32 s16, 14
	s_mov_b32 s29, s16
	s_cbranch_scc1 .LBB209_19
; %bb.20:                               ;   in Loop: Header=BB209_5 Depth=1
	s_or_b32 s2, s27, 0x100
	s_cmp_ge_i32 s2, s15
	s_barrier
	s_cbranch_scc1 .LBB209_4
; %bb.21:                               ;   in Loop: Header=BB209_5 Depth=1
	v_add_u32_e32 v2, s28, v101
	v_cmp_gt_i32_e64 s[2:3], s5, v2
	s_and_b64 s[16:17], s[0:1], s[2:3]
	s_and_saveexec_b64 s[2:3], s[16:17]
	s_cbranch_execz .LBB209_23
; %bb.22:                               ;   in Loop: Header=BB209_5 Depth=1
	v_add_u32_e32 v2, v34, v2
	v_mad_i64_i32 v[2:3], s[16:17], v2, 36, v[36:37]
	global_load_dword v2, v[2:3], off offset:4
	s_waitcnt vmcnt(0)
	ds_write_b32 v69, v2
.LBB209_23:                             ;   in Loop: Header=BB209_5 Depth=1
	s_or_b64 exec, exec, s[2:3]
	s_and_saveexec_b64 s[16:17], vcc
	s_cbranch_execz .LBB209_26
; %bb.24:                               ;   in Loop: Header=BB209_5 Depth=1
	v_or_b32_e32 v2, 8, v90
	v_cmp_gt_i32_e64 s[2:3], s5, v2
	s_and_b64 s[2:3], s[0:1], s[2:3]
	s_and_b64 exec, exec, s[2:3]
	s_cbranch_execz .LBB209_26
; %bb.25:                               ;   in Loop: Header=BB209_5 Depth=1
	v_ashrrev_i32_e32 v91, 31, v90
	v_lshl_add_u64 v[2:3], v[34:35], 0, v[90:91]
	v_mad_u64_u32 v[4:5], s[2:3], v2, 36, s[10:11]
	v_mad_i32_i24 v5, v3, 36, v5
	global_load_dword v2, v[4:5], off offset:288
	s_waitcnt vmcnt(0)
	v_cvt_f32_f16_e32 v2, v2
	ds_write_b32 v73, v2
.LBB209_26:                             ;   in Loop: Header=BB209_5 Depth=1
	s_or_b64 exec, exec, s[16:17]
	s_mov_b32 s2, 16
	s_mov_b32 s29, 14
	;; [unrolled: 1-line block ×3, first 2 shown]
	v_mov_b32_e32 v91, v67
	v_mov_b32_e32 v93, v71
	s_waitcnt lgkmcnt(0)
	s_barrier
.LBB209_27:                             ;   Parent Loop BB209_5 Depth=1
                                        ; =>  This Inner Loop Header: Depth=2
	s_add_i32 s16, s29, 2
	s_lshr_b32 s33, s16, 4
	s_and_b32 s31, s16, 0x3ffffff8
	v_lshl_add_u32 v128, s31, 2, v104
	s_lshl_b32 s31, s33, 5
	s_addk_i32 s31, 0x4200
	v_add3_u32 v129, s31, v109, v110
	ds_read_b32 v92, v93
	ds_read_b128 v[6:9], v91
	ds_read_b128 v[2:5], v91 offset:16
	ds_read2_b32 v[94:95], v128 offset1:1
	ds_read2_b32 v[130:131], v129 offset1:1
	s_add_i32 s17, s29, -14
	s_and_b32 s30, s2, -16
	s_add_i32 s30, s29, s30
	s_waitcnt lgkmcnt(1)
	v_ashrrev_i32_e32 v94, s17, v94
	s_waitcnt lgkmcnt(0)
	v_ashrrev_i32_e32 v130, s3, v130
	v_lshlrev_b32_e32 v130, 2, v130
	v_bfe_u32 v96, v94, 24, 2
	v_and_b32_e32 v94, 0x3030303, v94
	v_and_b32_e32 v130, 0x4040404, v130
	v_sub_u16_e32 v132, v94, v130
	v_sub_u16_sdwa v133, v94, v130 dst_sel:BYTE_1 dst_unused:UNUSED_PAD src0_sel:BYTE_1 src1_sel:BYTE_1
	v_sub_u16_sdwa v94, v94, v130 dst_sel:DWORD dst_unused:UNUSED_PAD src0_sel:WORD_1 src1_sel:WORD_1
	v_sub_u16_sdwa v96, v96, v130 dst_sel:BYTE_1 dst_unused:UNUSED_PAD src0_sel:DWORD src1_sel:BYTE_3
	v_bitop3_b16 v132, v132, v133, s23 bitop3:0xec
	v_bitop3_b16 v94, v94, v96, s23 bitop3:0xec
	v_lshlrev_b32_e32 v94, 16, v94
	v_ashrrev_i32_e32 v130, s3, v131
	v_or_b32_sdwa v96, v132, v94 dst_sel:DWORD dst_unused:UNUSED_PAD src0_sel:WORD_0 src1_sel:DWORD
	v_ashrrev_i32_e32 v94, s17, v95
	v_lshlrev_b32_e32 v130, 2, v130
	v_bfe_u32 v95, v94, 24, 2
	v_and_b32_e32 v94, 0x3030303, v94
	v_and_b32_e32 v130, 0x4040404, v130
	v_sub_u16_e32 v131, v94, v130
	v_sub_u16_sdwa v132, v94, v130 dst_sel:BYTE_1 dst_unused:UNUSED_PAD src0_sel:BYTE_1 src1_sel:BYTE_1
	v_sub_u16_sdwa v94, v94, v130 dst_sel:DWORD dst_unused:UNUSED_PAD src0_sel:WORD_1 src1_sel:WORD_1
	v_sub_u16_sdwa v95, v95, v130 dst_sel:BYTE_1 dst_unused:UNUSED_PAD src0_sel:DWORD src1_sel:BYTE_3
	v_bitop3_b16 v131, v131, v132, s23 bitop3:0xec
	v_bitop3_b16 v94, v94, v95, s23 bitop3:0xec
	v_lshlrev_b32_e32 v94, 16, v94
	v_or_b32_sdwa v132, v131, v94 dst_sel:DWORD dst_unused:UNUSED_PAD src0_sel:WORD_0 src1_sel:DWORD
	ds_read2_b32 v[94:95], v128 offset0:2 offset1:3
	ds_read2_b32 v[130:131], v129 offset0:2 offset1:3
	s_lshl_b32 s29, s33, 2
	s_addk_i32 s29, 0x7380
	s_add_i32 s2, s2, 2
	s_waitcnt lgkmcnt(1)
	v_ashrrev_i32_e32 v94, s17, v94
	s_waitcnt lgkmcnt(0)
	v_ashrrev_i32_e32 v130, s3, v130
	v_lshlrev_b32_e32 v130, 2, v130
	v_bfe_u32 v133, v94, 24, 2
	v_and_b32_e32 v94, 0x3030303, v94
	v_and_b32_e32 v130, 0x4040404, v130
	v_sub_u16_e32 v134, v94, v130
	v_sub_u16_sdwa v135, v94, v130 dst_sel:BYTE_1 dst_unused:UNUSED_PAD src0_sel:BYTE_1 src1_sel:BYTE_1
	v_sub_u16_sdwa v94, v94, v130 dst_sel:DWORD dst_unused:UNUSED_PAD src0_sel:WORD_1 src1_sel:WORD_1
	v_sub_u16_sdwa v130, v133, v130 dst_sel:BYTE_1 dst_unused:UNUSED_PAD src0_sel:DWORD src1_sel:BYTE_3
	v_bitop3_b16 v134, v134, v135, s23 bitop3:0xec
	v_bitop3_b16 v94, v94, v130, s23 bitop3:0xec
	v_lshlrev_b32_e32 v94, 16, v94
	v_ashrrev_i32_e32 v130, s3, v131
	v_or_b32_sdwa v133, v134, v94 dst_sel:DWORD dst_unused:UNUSED_PAD src0_sel:WORD_0 src1_sel:DWORD
	v_ashrrev_i32_e32 v94, s17, v95
	v_lshlrev_b32_e32 v130, 2, v130
	v_bfe_u32 v95, v94, 24, 2
	v_and_b32_e32 v94, 0x3030303, v94
	v_and_b32_e32 v130, 0x4040404, v130
	v_sub_u16_e32 v131, v94, v130
	v_sub_u16_sdwa v134, v94, v130 dst_sel:BYTE_1 dst_unused:UNUSED_PAD src0_sel:BYTE_1 src1_sel:BYTE_1
	v_sub_u16_sdwa v94, v94, v130 dst_sel:DWORD dst_unused:UNUSED_PAD src0_sel:WORD_1 src1_sel:WORD_1
	v_sub_u16_sdwa v95, v95, v130 dst_sel:BYTE_1 dst_unused:UNUSED_PAD src0_sel:DWORD src1_sel:BYTE_3
	v_bitop3_b16 v131, v131, v134, s23 bitop3:0xec
	v_bitop3_b16 v94, v94, v95, s23 bitop3:0xec
	v_lshlrev_b32_e32 v94, 16, v94
	v_or_b32_sdwa v134, v131, v94 dst_sel:DWORD dst_unused:UNUSED_PAD src0_sel:WORD_0 src1_sel:DWORD
	ds_read2_b32 v[94:95], v128 offset0:4 offset1:5
	ds_read2_b32 v[130:131], v129 offset0:4 offset1:5
	v_add_u32_e32 v91, 32, v91
	s_waitcnt lgkmcnt(1)
	v_ashrrev_i32_e32 v94, s17, v94
	s_waitcnt lgkmcnt(0)
	v_ashrrev_i32_e32 v130, s3, v130
	v_lshlrev_b32_e32 v130, 2, v130
	v_bfe_u32 v135, v94, 24, 2
	v_and_b32_e32 v94, 0x3030303, v94
	v_and_b32_e32 v130, 0x4040404, v130
	v_sub_u16_e32 v136, v94, v130
	v_sub_u16_sdwa v137, v94, v130 dst_sel:BYTE_1 dst_unused:UNUSED_PAD src0_sel:BYTE_1 src1_sel:BYTE_1
	v_sub_u16_sdwa v94, v94, v130 dst_sel:DWORD dst_unused:UNUSED_PAD src0_sel:WORD_1 src1_sel:WORD_1
	v_sub_u16_sdwa v130, v135, v130 dst_sel:BYTE_1 dst_unused:UNUSED_PAD src0_sel:DWORD src1_sel:BYTE_3
	v_bitop3_b16 v136, v136, v137, s23 bitop3:0xec
	v_bitop3_b16 v94, v94, v130, s23 bitop3:0xec
	v_lshlrev_b32_e32 v94, 16, v94
	v_ashrrev_i32_e32 v130, s3, v131
	v_or_b32_sdwa v135, v136, v94 dst_sel:DWORD dst_unused:UNUSED_PAD src0_sel:WORD_0 src1_sel:DWORD
	v_ashrrev_i32_e32 v94, s17, v95
	v_lshlrev_b32_e32 v130, 2, v130
	v_bfe_u32 v95, v94, 24, 2
	v_and_b32_e32 v94, 0x3030303, v94
	v_and_b32_e32 v130, 0x4040404, v130
	v_sub_u16_e32 v131, v94, v130
	v_sub_u16_sdwa v136, v94, v130 dst_sel:BYTE_1 dst_unused:UNUSED_PAD src0_sel:BYTE_1 src1_sel:BYTE_1
	v_sub_u16_sdwa v94, v94, v130 dst_sel:DWORD dst_unused:UNUSED_PAD src0_sel:WORD_1 src1_sel:WORD_1
	v_sub_u16_sdwa v95, v95, v130 dst_sel:BYTE_1 dst_unused:UNUSED_PAD src0_sel:DWORD src1_sel:BYTE_3
	v_bitop3_b16 v131, v131, v136, s23 bitop3:0xec
	v_bitop3_b16 v94, v94, v95, s23 bitop3:0xec
	v_lshlrev_b32_e32 v94, 16, v94
	v_or_b32_sdwa v136, v131, v94 dst_sel:DWORD dst_unused:UNUSED_PAD src0_sel:WORD_0 src1_sel:DWORD
	ds_read2_b32 v[94:95], v128 offset0:6 offset1:7
	ds_read2_b32 v[130:131], v129 offset0:6 offset1:7
	s_waitcnt lgkmcnt(1)
	v_ashrrev_i32_e32 v94, s17, v94
	s_waitcnt lgkmcnt(0)
	v_ashrrev_i32_e32 v129, s3, v130
	v_lshlrev_b32_e32 v129, 2, v129
	v_bfe_u32 v137, v94, 24, 2
	v_and_b32_e32 v94, 0x3030303, v94
	v_and_b32_e32 v129, 0x4040404, v129
	v_sub_u16_e32 v130, v94, v129
	v_sub_u16_sdwa v138, v94, v129 dst_sel:BYTE_1 dst_unused:UNUSED_PAD src0_sel:BYTE_1 src1_sel:BYTE_1
	v_sub_u16_sdwa v94, v94, v129 dst_sel:DWORD dst_unused:UNUSED_PAD src0_sel:WORD_1 src1_sel:WORD_1
	v_sub_u16_sdwa v129, v137, v129 dst_sel:BYTE_1 dst_unused:UNUSED_PAD src0_sel:DWORD src1_sel:BYTE_3
	v_bitop3_b16 v130, v130, v138, s23 bitop3:0xec
	v_bitop3_b16 v94, v94, v129, s23 bitop3:0xec
	v_lshlrev_b32_e32 v94, 16, v94
	v_or_b32_sdwa v129, v130, v94 dst_sel:DWORD dst_unused:UNUSED_PAD src0_sel:WORD_0 src1_sel:DWORD
	v_ashrrev_i32_e32 v130, s3, v131
	v_ashrrev_i32_e32 v94, s17, v95
	v_lshlrev_b32_e32 v130, 2, v130
	v_bfe_u32 v95, v94, 24, 2
	v_and_b32_e32 v94, 0x3030303, v94
	v_and_b32_e32 v130, 0x4040404, v130
	v_sub_u16_e32 v131, v94, v130
	v_sub_u16_sdwa v137, v94, v130 dst_sel:BYTE_1 dst_unused:UNUSED_PAD src0_sel:BYTE_1 src1_sel:BYTE_1
	v_sub_u16_sdwa v94, v94, v130 dst_sel:DWORD dst_unused:UNUSED_PAD src0_sel:WORD_1 src1_sel:WORD_1
	v_sub_u16_sdwa v95, v95, v130 dst_sel:BYTE_1 dst_unused:UNUSED_PAD src0_sel:DWORD src1_sel:BYTE_3
	v_bitop3_b16 v131, v131, v137, s23 bitop3:0xec
	v_bitop3_b16 v94, v94, v95, s23 bitop3:0xec
	v_lshlrev_b32_e32 v94, 16, v94
	v_or_b32_sdwa v95, v131, v94 dst_sel:DWORD dst_unused:UNUSED_PAD src0_sel:WORD_0 src1_sel:DWORD
	v_mov_b32_e32 v131, 0
	v_dot4c_i32_i8_e32 v131, v96, v6
	v_dot4c_i32_i8_e32 v131, v132, v7
	;; [unrolled: 1-line block ×4, first 2 shown]
	v_mov_b32_e32 v134, 0
	v_dot4c_i32_i8_e32 v134, v135, v2
	v_dot4c_i32_i8_e32 v134, v136, v3
	v_add_u32_e32 v130, s30, v81
	v_dot4c_i32_i8_e32 v134, v129, v4
	v_dot4c_i32_i8_e32 v134, v95, v5
	ds_read_u16 v95, v130 offset:25330
	v_add3_u32 v94, s29, v127, v111
	v_add3_u32 v135, s31, v112, v113
	ds_read_b32 v94, v94
	ds_read2_b32 v[132:133], v135 offset1:1
	s_waitcnt lgkmcnt(2)
	v_lshrrev_b16_e32 v96, 8, v95
	v_bfe_i32 v95, v95, 0, 8
	v_bfe_i32 v129, v96, 0, 8
	v_mul_lo_u32 v96, v131, v95
	v_add_u32_e32 v95, 0x1080, v128
	ds_read2_b32 v[130:131], v95 offset1:1
	s_waitcnt lgkmcnt(1)
	v_ashrrev_i32_e32 v132, s3, v132
	v_lshlrev_b32_e32 v132, 2, v132
	v_and_b32_e32 v132, 0x4040404, v132
	s_waitcnt lgkmcnt(0)
	v_ashrrev_i32_e32 v95, s17, v130
	v_bfe_u32 v130, v95, 24, 2
	v_and_b32_e32 v95, 0x3030303, v95
	v_sub_u16_e32 v136, v95, v132
	v_sub_u16_sdwa v137, v95, v132 dst_sel:BYTE_1 dst_unused:UNUSED_PAD src0_sel:BYTE_1 src1_sel:BYTE_1
	v_sub_u16_sdwa v95, v95, v132 dst_sel:DWORD dst_unused:UNUSED_PAD src0_sel:WORD_1 src1_sel:WORD_1
	v_sub_u16_sdwa v130, v130, v132 dst_sel:BYTE_1 dst_unused:UNUSED_PAD src0_sel:DWORD src1_sel:BYTE_3
	v_bitop3_b16 v136, v136, v137, s23 bitop3:0xec
	v_bitop3_b16 v95, v95, v130, s23 bitop3:0xec
	v_lshlrev_b32_e32 v95, 16, v95
	v_or_b32_sdwa v136, v136, v95 dst_sel:DWORD dst_unused:UNUSED_PAD src0_sel:WORD_0 src1_sel:DWORD
	v_ashrrev_i32_e32 v95, s17, v131
	v_ashrrev_i32_e32 v131, s3, v133
	v_lshlrev_b32_e32 v131, 2, v131
	v_bfe_u32 v130, v95, 24, 2
	v_and_b32_e32 v95, 0x3030303, v95
	v_and_b32_e32 v131, 0x4040404, v131
	v_sub_u16_e32 v132, v95, v131
	v_sub_u16_sdwa v133, v95, v131 dst_sel:BYTE_1 dst_unused:UNUSED_PAD src0_sel:BYTE_1 src1_sel:BYTE_1
	v_sub_u16_sdwa v95, v95, v131 dst_sel:DWORD dst_unused:UNUSED_PAD src0_sel:WORD_1 src1_sel:WORD_1
	v_sub_u16_sdwa v130, v130, v131 dst_sel:BYTE_1 dst_unused:UNUSED_PAD src0_sel:DWORD src1_sel:BYTE_3
	v_bitop3_b16 v132, v132, v133, s23 bitop3:0xec
	v_bitop3_b16 v95, v95, v130, s23 bitop3:0xec
	v_lshlrev_b32_e32 v95, 16, v95
	v_or_b32_sdwa v137, v132, v95 dst_sel:DWORD dst_unused:UNUSED_PAD src0_sel:WORD_0 src1_sel:DWORD
	v_add_u32_e32 v95, 0x1088, v128
	ds_read2_b32 v[130:131], v95 offset1:1
	ds_read2_b32 v[132:133], v135 offset0:2 offset1:3
	s_waitcnt lgkmcnt(1)
	v_ashrrev_i32_e32 v95, s17, v130
	s_waitcnt lgkmcnt(0)
	v_ashrrev_i32_e32 v132, s3, v132
	v_lshlrev_b32_e32 v132, 2, v132
	v_bfe_u32 v130, v95, 24, 2
	v_and_b32_e32 v95, 0x3030303, v95
	v_and_b32_e32 v132, 0x4040404, v132
	v_sub_u16_e32 v138, v95, v132
	v_sub_u16_sdwa v139, v95, v132 dst_sel:BYTE_1 dst_unused:UNUSED_PAD src0_sel:BYTE_1 src1_sel:BYTE_1
	v_sub_u16_sdwa v95, v95, v132 dst_sel:DWORD dst_unused:UNUSED_PAD src0_sel:WORD_1 src1_sel:WORD_1
	v_sub_u16_sdwa v130, v130, v132 dst_sel:BYTE_1 dst_unused:UNUSED_PAD src0_sel:DWORD src1_sel:BYTE_3
	v_bitop3_b16 v138, v138, v139, s23 bitop3:0xec
	v_bitop3_b16 v95, v95, v130, s23 bitop3:0xec
	v_lshlrev_b32_e32 v95, 16, v95
	v_or_b32_sdwa v138, v138, v95 dst_sel:DWORD dst_unused:UNUSED_PAD src0_sel:WORD_0 src1_sel:DWORD
	v_ashrrev_i32_e32 v95, s17, v131
	v_ashrrev_i32_e32 v131, s3, v133
	v_lshlrev_b32_e32 v131, 2, v131
	v_bfe_u32 v130, v95, 24, 2
	v_and_b32_e32 v95, 0x3030303, v95
	v_and_b32_e32 v131, 0x4040404, v131
	v_sub_u16_e32 v132, v95, v131
	v_sub_u16_sdwa v133, v95, v131 dst_sel:BYTE_1 dst_unused:UNUSED_PAD src0_sel:BYTE_1 src1_sel:BYTE_1
	v_sub_u16_sdwa v95, v95, v131 dst_sel:DWORD dst_unused:UNUSED_PAD src0_sel:WORD_1 src1_sel:WORD_1
	v_sub_u16_sdwa v130, v130, v131 dst_sel:BYTE_1 dst_unused:UNUSED_PAD src0_sel:DWORD src1_sel:BYTE_3
	v_bitop3_b16 v132, v132, v133, s23 bitop3:0xec
	v_bitop3_b16 v95, v95, v130, s23 bitop3:0xec
	v_lshlrev_b32_e32 v95, 16, v95
	v_or_b32_sdwa v139, v132, v95 dst_sel:DWORD dst_unused:UNUSED_PAD src0_sel:WORD_0 src1_sel:DWORD
	v_add_u32_e32 v95, 0x1090, v128
	ds_read2_b32 v[130:131], v95 offset1:1
	ds_read2_b32 v[132:133], v135 offset0:4 offset1:5
	s_waitcnt lgkmcnt(1)
	v_ashrrev_i32_e32 v95, s17, v130
	s_waitcnt lgkmcnt(0)
	v_ashrrev_i32_e32 v132, s3, v132
	v_lshlrev_b32_e32 v132, 2, v132
	v_bfe_u32 v130, v95, 24, 2
	v_and_b32_e32 v95, 0x3030303, v95
	;; [unrolled: 33-line block ×3, first 2 shown]
	v_and_b32_e32 v132, 0x4040404, v132
	v_sub_u16_e32 v135, v95, v132
	v_sub_u16_sdwa v142, v95, v132 dst_sel:BYTE_1 dst_unused:UNUSED_PAD src0_sel:BYTE_1 src1_sel:BYTE_1
	v_sub_u16_sdwa v95, v95, v132 dst_sel:DWORD dst_unused:UNUSED_PAD src0_sel:WORD_1 src1_sel:WORD_1
	v_sub_u16_sdwa v130, v130, v132 dst_sel:BYTE_1 dst_unused:UNUSED_PAD src0_sel:DWORD src1_sel:BYTE_3
	v_bitop3_b16 v135, v135, v142, s23 bitop3:0xec
	v_bitop3_b16 v95, v95, v130, s23 bitop3:0xec
	v_lshlrev_b32_e32 v95, 16, v95
	v_or_b32_sdwa v132, v135, v95 dst_sel:DWORD dst_unused:UNUSED_PAD src0_sel:WORD_0 src1_sel:DWORD
	v_ashrrev_i32_e32 v95, s17, v131
	v_ashrrev_i32_e32 v131, s3, v133
	v_lshlrev_b32_e32 v131, 2, v131
	v_bfe_u32 v130, v95, 24, 2
	v_and_b32_e32 v95, 0x3030303, v95
	v_and_b32_e32 v131, 0x4040404, v131
	v_sub_u16_e32 v133, v95, v131
	v_sub_u16_sdwa v135, v95, v131 dst_sel:BYTE_1 dst_unused:UNUSED_PAD src0_sel:BYTE_1 src1_sel:BYTE_1
	v_sub_u16_sdwa v95, v95, v131 dst_sel:DWORD dst_unused:UNUSED_PAD src0_sel:WORD_1 src1_sel:WORD_1
	v_sub_u16_sdwa v130, v130, v131 dst_sel:BYTE_1 dst_unused:UNUSED_PAD src0_sel:DWORD src1_sel:BYTE_3
	v_bitop3_b16 v133, v133, v135, s23 bitop3:0xec
	v_bitop3_b16 v95, v95, v130, s23 bitop3:0xec
	v_lshlrev_b32_e32 v95, 16, v95
	v_or_b32_sdwa v131, v133, v95 dst_sel:DWORD dst_unused:UNUSED_PAD src0_sel:WORD_0 src1_sel:DWORD
	v_add_u32_e32 v130, s30, v79
	v_add3_u32 v95, s29, v114, v115
	ds_read_b32 v95, v95
	ds_read_u16 v130, v130 offset:26354
	v_mov_b32_e32 v133, 0
	v_dot4c_i32_i8_e32 v133, v136, v6
	v_mov_b32_e32 v136, 0
	v_dot4c_i32_i8_e32 v133, v137, v7
	v_dot4c_i32_i8_e32 v136, v140, v2
	;; [unrolled: 1-line block ×5, first 2 shown]
	s_waitcnt lgkmcnt(0)
	v_lshrrev_b16_e32 v135, 8, v130
	v_bfe_i32 v130, v130, 0, 8
	v_dot4c_i32_i8_e32 v136, v132, v4
	v_mul_lo_u32 v130, v133, v130
	v_dot4c_i32_i8_e32 v136, v131, v5
	v_bfe_i32 v131, v135, 0, 8
	v_mad_u64_u32 v[132:133], s[34:35], v134, v129, v[96:97]
	s_nop 0
	v_mad_u64_u32 v[130:131], s[34:35], v136, v131, v[130:131]
	v_cvt_f32_i32_e32 v131, v130
	v_cvt_f32_i32_e32 v130, v132
	v_pk_mul_f32 v[94:95], v[92:93], v[94:95] op_sel_hi:[0,1]
	v_add3_u32 v129, s31, v116, v117
	v_pk_fma_f32 v[32:33], v[94:95], v[130:131], v[32:33]
	v_add_u32_e32 v94, 0x2100, v128
	ds_read2_b32 v[94:95], v94 offset1:1
	ds_read2_b32 v[130:131], v129 offset1:1
	s_waitcnt lgkmcnt(1)
	v_ashrrev_i32_e32 v94, s17, v94
	s_waitcnt lgkmcnt(0)
	v_ashrrev_i32_e32 v130, s3, v130
	v_lshlrev_b32_e32 v130, 2, v130
	v_bfe_u32 v96, v94, 24, 2
	v_and_b32_e32 v94, 0x3030303, v94
	v_and_b32_e32 v130, 0x4040404, v130
	v_sub_u16_e32 v132, v94, v130
	v_sub_u16_sdwa v133, v94, v130 dst_sel:BYTE_1 dst_unused:UNUSED_PAD src0_sel:BYTE_1 src1_sel:BYTE_1
	v_sub_u16_sdwa v94, v94, v130 dst_sel:DWORD dst_unused:UNUSED_PAD src0_sel:WORD_1 src1_sel:WORD_1
	v_sub_u16_sdwa v96, v96, v130 dst_sel:BYTE_1 dst_unused:UNUSED_PAD src0_sel:DWORD src1_sel:BYTE_3
	v_bitop3_b16 v132, v132, v133, s23 bitop3:0xec
	v_bitop3_b16 v94, v94, v96, s23 bitop3:0xec
	v_lshlrev_b32_e32 v94, 16, v94
	v_ashrrev_i32_e32 v130, s3, v131
	v_or_b32_sdwa v96, v132, v94 dst_sel:DWORD dst_unused:UNUSED_PAD src0_sel:WORD_0 src1_sel:DWORD
	v_ashrrev_i32_e32 v94, s17, v95
	v_lshlrev_b32_e32 v130, 2, v130
	v_bfe_u32 v95, v94, 24, 2
	v_and_b32_e32 v94, 0x3030303, v94
	v_and_b32_e32 v130, 0x4040404, v130
	v_sub_u16_e32 v131, v94, v130
	v_sub_u16_sdwa v132, v94, v130 dst_sel:BYTE_1 dst_unused:UNUSED_PAD src0_sel:BYTE_1 src1_sel:BYTE_1
	v_sub_u16_sdwa v94, v94, v130 dst_sel:DWORD dst_unused:UNUSED_PAD src0_sel:WORD_1 src1_sel:WORD_1
	v_sub_u16_sdwa v95, v95, v130 dst_sel:BYTE_1 dst_unused:UNUSED_PAD src0_sel:DWORD src1_sel:BYTE_3
	v_bitop3_b16 v131, v131, v132, s23 bitop3:0xec
	v_bitop3_b16 v94, v94, v95, s23 bitop3:0xec
	v_lshlrev_b32_e32 v94, 16, v94
	v_or_b32_sdwa v132, v131, v94 dst_sel:DWORD dst_unused:UNUSED_PAD src0_sel:WORD_0 src1_sel:DWORD
	v_add_u32_e32 v94, 0x2108, v128
	ds_read2_b32 v[94:95], v94 offset1:1
	ds_read2_b32 v[130:131], v129 offset0:2 offset1:3
	s_waitcnt lgkmcnt(1)
	v_ashrrev_i32_e32 v94, s17, v94
	s_waitcnt lgkmcnt(0)
	v_ashrrev_i32_e32 v130, s3, v130
	v_lshlrev_b32_e32 v130, 2, v130
	v_bfe_u32 v133, v94, 24, 2
	v_and_b32_e32 v94, 0x3030303, v94
	v_and_b32_e32 v130, 0x4040404, v130
	v_sub_u16_e32 v134, v94, v130
	v_sub_u16_sdwa v135, v94, v130 dst_sel:BYTE_1 dst_unused:UNUSED_PAD src0_sel:BYTE_1 src1_sel:BYTE_1
	v_sub_u16_sdwa v94, v94, v130 dst_sel:DWORD dst_unused:UNUSED_PAD src0_sel:WORD_1 src1_sel:WORD_1
	v_sub_u16_sdwa v130, v133, v130 dst_sel:BYTE_1 dst_unused:UNUSED_PAD src0_sel:DWORD src1_sel:BYTE_3
	v_bitop3_b16 v134, v134, v135, s23 bitop3:0xec
	v_bitop3_b16 v94, v94, v130, s23 bitop3:0xec
	v_lshlrev_b32_e32 v94, 16, v94
	v_ashrrev_i32_e32 v130, s3, v131
	v_or_b32_sdwa v133, v134, v94 dst_sel:DWORD dst_unused:UNUSED_PAD src0_sel:WORD_0 src1_sel:DWORD
	v_ashrrev_i32_e32 v94, s17, v95
	v_lshlrev_b32_e32 v130, 2, v130
	v_bfe_u32 v95, v94, 24, 2
	v_and_b32_e32 v94, 0x3030303, v94
	v_and_b32_e32 v130, 0x4040404, v130
	v_sub_u16_e32 v131, v94, v130
	v_sub_u16_sdwa v134, v94, v130 dst_sel:BYTE_1 dst_unused:UNUSED_PAD src0_sel:BYTE_1 src1_sel:BYTE_1
	v_sub_u16_sdwa v94, v94, v130 dst_sel:DWORD dst_unused:UNUSED_PAD src0_sel:WORD_1 src1_sel:WORD_1
	v_sub_u16_sdwa v95, v95, v130 dst_sel:BYTE_1 dst_unused:UNUSED_PAD src0_sel:DWORD src1_sel:BYTE_3
	v_bitop3_b16 v131, v131, v134, s23 bitop3:0xec
	v_bitop3_b16 v94, v94, v95, s23 bitop3:0xec
	v_lshlrev_b32_e32 v94, 16, v94
	v_or_b32_sdwa v134, v131, v94 dst_sel:DWORD dst_unused:UNUSED_PAD src0_sel:WORD_0 src1_sel:DWORD
	v_add_u32_e32 v94, 0x2110, v128
	ds_read2_b32 v[94:95], v94 offset1:1
	ds_read2_b32 v[130:131], v129 offset0:4 offset1:5
	;; [unrolled: 33-line block ×3, first 2 shown]
	s_waitcnt lgkmcnt(1)
	v_ashrrev_i32_e32 v94, s17, v94
	s_waitcnt lgkmcnt(0)
	v_ashrrev_i32_e32 v129, s3, v130
	v_lshlrev_b32_e32 v129, 2, v129
	v_bfe_u32 v137, v94, 24, 2
	v_and_b32_e32 v94, 0x3030303, v94
	v_and_b32_e32 v129, 0x4040404, v129
	v_sub_u16_e32 v130, v94, v129
	v_sub_u16_sdwa v138, v94, v129 dst_sel:BYTE_1 dst_unused:UNUSED_PAD src0_sel:BYTE_1 src1_sel:BYTE_1
	v_sub_u16_sdwa v94, v94, v129 dst_sel:DWORD dst_unused:UNUSED_PAD src0_sel:WORD_1 src1_sel:WORD_1
	v_sub_u16_sdwa v129, v137, v129 dst_sel:BYTE_1 dst_unused:UNUSED_PAD src0_sel:DWORD src1_sel:BYTE_3
	v_bitop3_b16 v130, v130, v138, s23 bitop3:0xec
	v_bitop3_b16 v94, v94, v129, s23 bitop3:0xec
	v_lshlrev_b32_e32 v94, 16, v94
	v_ashrrev_i32_e32 v129, s3, v131
	v_or_b32_sdwa v130, v130, v94 dst_sel:DWORD dst_unused:UNUSED_PAD src0_sel:WORD_0 src1_sel:DWORD
	v_ashrrev_i32_e32 v94, s17, v95
	v_lshlrev_b32_e32 v129, 2, v129
	v_bfe_u32 v95, v94, 24, 2
	v_and_b32_e32 v94, 0x3030303, v94
	v_and_b32_e32 v129, 0x4040404, v129
	v_sub_u16_e32 v131, v94, v129
	v_sub_u16_sdwa v137, v94, v129 dst_sel:BYTE_1 dst_unused:UNUSED_PAD src0_sel:BYTE_1 src1_sel:BYTE_1
	v_sub_u16_sdwa v94, v94, v129 dst_sel:DWORD dst_unused:UNUSED_PAD src0_sel:WORD_1 src1_sel:WORD_1
	v_sub_u16_sdwa v95, v95, v129 dst_sel:BYTE_1 dst_unused:UNUSED_PAD src0_sel:DWORD src1_sel:BYTE_3
	v_mov_b32_e32 v129, 0
	v_bitop3_b16 v94, v94, v95, s23 bitop3:0xec
	v_dot4c_i32_i8_e32 v129, v135, v2
	v_bitop3_b16 v131, v131, v137, s23 bitop3:0xec
	v_lshlrev_b32_e32 v94, 16, v94
	v_dot4c_i32_i8_e32 v129, v136, v3
	v_or_b32_sdwa v95, v131, v94 dst_sel:DWORD dst_unused:UNUSED_PAD src0_sel:WORD_0 src1_sel:DWORD
	v_add_u32_e32 v131, s30, v77
	v_dot4c_i32_i8_e32 v129, v130, v4
	v_dot4c_i32_i8_e32 v129, v95, v5
	ds_read_u16 v95, v131 offset:27378
	v_mov_b32_e32 v137, 0
	v_dot4c_i32_i8_e32 v137, v96, v6
	v_dot4c_i32_i8_e32 v137, v132, v7
	;; [unrolled: 1-line block ×4, first 2 shown]
	s_waitcnt lgkmcnt(0)
	v_lshrrev_b16_e32 v96, 8, v95
	v_bfe_i32 v95, v95, 0, 8
	v_add3_u32 v94, s29, v118, v119
	v_bfe_i32 v130, v96, 0, 8
	v_mul_lo_u32 v96, v137, v95
	v_add_u32_e32 v95, 0x3180, v128
	v_add3_u32 v136, s31, v120, v121
	ds_read_b32 v94, v94
	ds_read2_b32 v[132:133], v95 offset1:1
	ds_read2_b32 v[134:135], v136 offset1:1
	s_waitcnt lgkmcnt(1)
	v_ashrrev_i32_e32 v95, s17, v132
	s_waitcnt lgkmcnt(0)
	v_ashrrev_i32_e32 v132, s3, v134
	v_lshlrev_b32_e32 v132, 2, v132
	v_bfe_u32 v131, v95, 24, 2
	v_and_b32_e32 v95, 0x3030303, v95
	v_and_b32_e32 v132, 0x4040404, v132
	v_sub_u16_e32 v134, v95, v132
	v_sub_u16_sdwa v137, v95, v132 dst_sel:BYTE_1 dst_unused:UNUSED_PAD src0_sel:BYTE_1 src1_sel:BYTE_1
	v_sub_u16_sdwa v95, v95, v132 dst_sel:DWORD dst_unused:UNUSED_PAD src0_sel:WORD_1 src1_sel:WORD_1
	v_sub_u16_sdwa v131, v131, v132 dst_sel:BYTE_1 dst_unused:UNUSED_PAD src0_sel:DWORD src1_sel:BYTE_3
	v_bitop3_b16 v134, v134, v137, s23 bitop3:0xec
	v_bitop3_b16 v95, v95, v131, s23 bitop3:0xec
	v_lshlrev_b32_e32 v95, 16, v95
	v_or_b32_sdwa v131, v134, v95 dst_sel:DWORD dst_unused:UNUSED_PAD src0_sel:WORD_0 src1_sel:DWORD
	v_ashrrev_i32_e32 v95, s17, v133
	v_ashrrev_i32_e32 v133, s3, v135
	v_lshlrev_b32_e32 v133, 2, v133
	v_bfe_u32 v132, v95, 24, 2
	v_and_b32_e32 v95, 0x3030303, v95
	v_and_b32_e32 v133, 0x4040404, v133
	v_sub_u16_e32 v134, v95, v133
	v_sub_u16_sdwa v135, v95, v133 dst_sel:BYTE_1 dst_unused:UNUSED_PAD src0_sel:BYTE_1 src1_sel:BYTE_1
	v_sub_u16_sdwa v95, v95, v133 dst_sel:DWORD dst_unused:UNUSED_PAD src0_sel:WORD_1 src1_sel:WORD_1
	v_sub_u16_sdwa v132, v132, v133 dst_sel:BYTE_1 dst_unused:UNUSED_PAD src0_sel:DWORD src1_sel:BYTE_3
	v_bitop3_b16 v134, v134, v135, s23 bitop3:0xec
	v_bitop3_b16 v95, v95, v132, s23 bitop3:0xec
	v_lshlrev_b32_e32 v95, 16, v95
	v_or_b32_sdwa v137, v134, v95 dst_sel:DWORD dst_unused:UNUSED_PAD src0_sel:WORD_0 src1_sel:DWORD
	v_add_u32_e32 v95, 0x3188, v128
	ds_read2_b32 v[132:133], v95 offset1:1
	ds_read2_b32 v[134:135], v136 offset0:2 offset1:3
	s_waitcnt lgkmcnt(1)
	v_ashrrev_i32_e32 v95, s17, v132
	s_waitcnt lgkmcnt(0)
	v_ashrrev_i32_e32 v134, s3, v134
	v_lshlrev_b32_e32 v134, 2, v134
	v_bfe_u32 v132, v95, 24, 2
	v_and_b32_e32 v95, 0x3030303, v95
	v_and_b32_e32 v134, 0x4040404, v134
	v_sub_u16_e32 v138, v95, v134
	v_sub_u16_sdwa v139, v95, v134 dst_sel:BYTE_1 dst_unused:UNUSED_PAD src0_sel:BYTE_1 src1_sel:BYTE_1
	v_sub_u16_sdwa v95, v95, v134 dst_sel:DWORD dst_unused:UNUSED_PAD src0_sel:WORD_1 src1_sel:WORD_1
	v_sub_u16_sdwa v132, v132, v134 dst_sel:BYTE_1 dst_unused:UNUSED_PAD src0_sel:DWORD src1_sel:BYTE_3
	v_bitop3_b16 v138, v138, v139, s23 bitop3:0xec
	v_bitop3_b16 v95, v95, v132, s23 bitop3:0xec
	v_lshlrev_b32_e32 v95, 16, v95
	v_or_b32_sdwa v138, v138, v95 dst_sel:DWORD dst_unused:UNUSED_PAD src0_sel:WORD_0 src1_sel:DWORD
	v_ashrrev_i32_e32 v95, s17, v133
	v_ashrrev_i32_e32 v133, s3, v135
	v_lshlrev_b32_e32 v133, 2, v133
	v_bfe_u32 v132, v95, 24, 2
	v_and_b32_e32 v95, 0x3030303, v95
	v_and_b32_e32 v133, 0x4040404, v133
	v_sub_u16_e32 v134, v95, v133
	v_sub_u16_sdwa v135, v95, v133 dst_sel:BYTE_1 dst_unused:UNUSED_PAD src0_sel:BYTE_1 src1_sel:BYTE_1
	v_sub_u16_sdwa v95, v95, v133 dst_sel:DWORD dst_unused:UNUSED_PAD src0_sel:WORD_1 src1_sel:WORD_1
	v_sub_u16_sdwa v132, v132, v133 dst_sel:BYTE_1 dst_unused:UNUSED_PAD src0_sel:DWORD src1_sel:BYTE_3
	v_bitop3_b16 v134, v134, v135, s23 bitop3:0xec
	v_bitop3_b16 v95, v95, v132, s23 bitop3:0xec
	v_lshlrev_b32_e32 v95, 16, v95
	v_or_b32_sdwa v139, v134, v95 dst_sel:DWORD dst_unused:UNUSED_PAD src0_sel:WORD_0 src1_sel:DWORD
	v_add_u32_e32 v95, 0x3190, v128
	ds_read2_b32 v[132:133], v95 offset1:1
	ds_read2_b32 v[134:135], v136 offset0:4 offset1:5
	s_waitcnt lgkmcnt(1)
	v_ashrrev_i32_e32 v95, s17, v132
	s_waitcnt lgkmcnt(0)
	v_ashrrev_i32_e32 v134, s3, v134
	v_lshlrev_b32_e32 v134, 2, v134
	v_bfe_u32 v132, v95, 24, 2
	v_and_b32_e32 v95, 0x3030303, v95
	v_and_b32_e32 v134, 0x4040404, v134
	v_sub_u16_e32 v140, v95, v134
	v_sub_u16_sdwa v141, v95, v134 dst_sel:BYTE_1 dst_unused:UNUSED_PAD src0_sel:BYTE_1 src1_sel:BYTE_1
	v_sub_u16_sdwa v95, v95, v134 dst_sel:DWORD dst_unused:UNUSED_PAD src0_sel:WORD_1 src1_sel:WORD_1
	v_sub_u16_sdwa v132, v132, v134 dst_sel:BYTE_1 dst_unused:UNUSED_PAD src0_sel:DWORD src1_sel:BYTE_3
	v_bitop3_b16 v140, v140, v141, s23 bitop3:0xec
	v_bitop3_b16 v95, v95, v132, s23 bitop3:0xec
	v_lshlrev_b32_e32 v95, 16, v95
	v_or_b32_sdwa v140, v140, v95 dst_sel:DWORD dst_unused:UNUSED_PAD src0_sel:WORD_0 src1_sel:DWORD
	v_ashrrev_i32_e32 v95, s17, v133
	v_ashrrev_i32_e32 v133, s3, v135
	v_lshlrev_b32_e32 v133, 2, v133
	v_bfe_u32 v132, v95, 24, 2
	v_and_b32_e32 v95, 0x3030303, v95
	v_and_b32_e32 v133, 0x4040404, v133
	v_sub_u16_e32 v134, v95, v133
	v_sub_u16_sdwa v135, v95, v133 dst_sel:BYTE_1 dst_unused:UNUSED_PAD src0_sel:BYTE_1 src1_sel:BYTE_1
	v_sub_u16_sdwa v95, v95, v133 dst_sel:DWORD dst_unused:UNUSED_PAD src0_sel:WORD_1 src1_sel:WORD_1
	v_sub_u16_sdwa v132, v132, v133 dst_sel:BYTE_1 dst_unused:UNUSED_PAD src0_sel:DWORD src1_sel:BYTE_3
	v_bitop3_b16 v134, v134, v135, s23 bitop3:0xec
	v_bitop3_b16 v95, v95, v132, s23 bitop3:0xec
	v_lshlrev_b32_e32 v95, 16, v95
	v_or_b32_sdwa v141, v134, v95 dst_sel:DWORD dst_unused:UNUSED_PAD src0_sel:WORD_0 src1_sel:DWORD
	v_add_u32_e32 v95, 0x3198, v128
	ds_read2_b32 v[132:133], v95 offset1:1
	ds_read2_b32 v[134:135], v136 offset0:6 offset1:7
	s_waitcnt lgkmcnt(1)
	v_ashrrev_i32_e32 v95, s17, v132
	s_waitcnt lgkmcnt(0)
	v_ashrrev_i32_e32 v132, s3, v134
	v_lshlrev_b32_e32 v132, 2, v132
	v_bfe_u32 v128, v95, 24, 2
	v_and_b32_e32 v95, 0x3030303, v95
	v_and_b32_e32 v132, 0x4040404, v132
	v_sub_u16_e32 v134, v95, v132
	v_sub_u16_sdwa v136, v95, v132 dst_sel:BYTE_1 dst_unused:UNUSED_PAD src0_sel:BYTE_1 src1_sel:BYTE_1
	v_sub_u16_sdwa v95, v95, v132 dst_sel:DWORD dst_unused:UNUSED_PAD src0_sel:WORD_1 src1_sel:WORD_1
	v_sub_u16_sdwa v128, v128, v132 dst_sel:BYTE_1 dst_unused:UNUSED_PAD src0_sel:DWORD src1_sel:BYTE_3
	v_bitop3_b16 v134, v134, v136, s23 bitop3:0xec
	v_bitop3_b16 v95, v95, v128, s23 bitop3:0xec
	v_lshlrev_b32_e32 v95, 16, v95
	v_or_b32_sdwa v128, v134, v95 dst_sel:DWORD dst_unused:UNUSED_PAD src0_sel:WORD_0 src1_sel:DWORD
	v_ashrrev_i32_e32 v95, s17, v133
	v_ashrrev_i32_e32 v133, s3, v135
	v_lshlrev_b32_e32 v133, 2, v133
	v_bfe_u32 v132, v95, 24, 2
	v_and_b32_e32 v95, 0x3030303, v95
	v_and_b32_e32 v133, 0x4040404, v133
	v_sub_u16_e32 v134, v95, v133
	v_sub_u16_sdwa v135, v95, v133 dst_sel:BYTE_1 dst_unused:UNUSED_PAD src0_sel:BYTE_1 src1_sel:BYTE_1
	v_sub_u16_sdwa v95, v95, v133 dst_sel:DWORD dst_unused:UNUSED_PAD src0_sel:WORD_1 src1_sel:WORD_1
	v_sub_u16_sdwa v132, v132, v133 dst_sel:BYTE_1 dst_unused:UNUSED_PAD src0_sel:DWORD src1_sel:BYTE_3
	v_bitop3_b16 v134, v134, v135, s23 bitop3:0xec
	v_bitop3_b16 v95, v95, v132, s23 bitop3:0xec
	v_lshlrev_b32_e32 v95, 16, v95
	v_or_b32_sdwa v132, v134, v95 dst_sel:DWORD dst_unused:UNUSED_PAD src0_sel:WORD_0 src1_sel:DWORD
	v_mov_b32_e32 v134, 0
	v_add_u32_e32 v133, s30, v75
	v_add3_u32 v95, s29, v122, v123
	v_dot4c_i32_i8_e32 v134, v131, v6
	v_mov_b32_e32 v6, 0
	ds_read_b32 v95, v95
	v_dot4c_i32_i8_e32 v6, v140, v2
	ds_read_u16 v2, v133 offset:28402
	v_dot4c_i32_i8_e32 v134, v137, v7
	v_dot4c_i32_i8_e32 v134, v138, v8
	;; [unrolled: 1-line block ×5, first 2 shown]
	s_waitcnt lgkmcnt(0)
	v_lshrrev_b16_e32 v3, 8, v2
	v_bfe_i32 v2, v2, 0, 8
	v_dot4c_i32_i8_e32 v6, v132, v5
	v_bfe_i32 v5, v3, 0, 8
	v_mul_lo_u32 v4, v134, v2
	v_mad_u64_u32 v[2:3], s[30:31], v129, v130, v[96:97]
	v_mad_u64_u32 v[4:5], s[30:31], v6, v5, v[4:5]
	v_cvt_f32_i32_e32 v3, v4
	v_cvt_f32_i32_e32 v2, v2
	v_pk_mul_f32 v[6:7], v[92:93], v[94:95] op_sel_hi:[0,1]
	s_add_i32 s3, s3, 1
	v_add_u32_e32 v93, 4, v93
	v_pk_fma_f32 v[30:31], v[6:7], v[2:3], v[30:31]
	s_cmp_lt_u32 s16, 22
	s_mov_b32 s29, s16
	s_cbranch_scc1 .LBB209_27
; %bb.28:                               ;   in Loop: Header=BB209_5 Depth=1
	s_or_b32 s2, s27, 0x180
	s_cmp_ge_i32 s2, s15
	s_barrier
	s_cbranch_scc1 .LBB209_4
; %bb.29:                               ;   in Loop: Header=BB209_5 Depth=1
	v_add_u32_e32 v2, s28, v102
	v_cmp_gt_i32_e64 s[2:3], s5, v2
	s_and_b64 s[16:17], s[0:1], s[2:3]
	s_and_saveexec_b64 s[2:3], s[16:17]
	s_cbranch_execz .LBB209_31
; %bb.30:                               ;   in Loop: Header=BB209_5 Depth=1
	v_add_u32_e32 v2, v34, v2
	v_mad_i64_i32 v[2:3], s[16:17], v2, 36, v[36:37]
	global_load_dword v2, v[2:3], off offset:4
	s_waitcnt vmcnt(0)
	ds_write_b32 v69, v2
.LBB209_31:                             ;   in Loop: Header=BB209_5 Depth=1
	s_or_b64 exec, exec, s[2:3]
	s_and_saveexec_b64 s[16:17], vcc
	s_cbranch_execz .LBB209_34
; %bb.32:                               ;   in Loop: Header=BB209_5 Depth=1
	v_or_b32_e32 v2, 12, v90
	v_cmp_gt_i32_e64 s[2:3], s5, v2
	s_and_b64 s[2:3], s[0:1], s[2:3]
	s_and_b64 exec, exec, s[2:3]
	s_cbranch_execz .LBB209_34
; %bb.33:                               ;   in Loop: Header=BB209_5 Depth=1
	v_ashrrev_i32_e32 v91, 31, v90
	v_lshl_add_u64 v[2:3], v[34:35], 0, v[90:91]
	v_mad_u64_u32 v[4:5], s[2:3], v2, 36, s[10:11]
	v_mad_i32_i24 v5, v3, 36, v5
	global_load_dword v2, v[4:5], off offset:432
	s_waitcnt vmcnt(0)
	v_cvt_f32_f16_e32 v2, v2
	ds_write_b32 v73, v2
.LBB209_34:                             ;   in Loop: Header=BB209_5 Depth=1
	s_or_b64 exec, exec, s[16:17]
	s_mov_b32 s2, 24
	s_mov_b32 s27, 22
	;; [unrolled: 1-line block ×3, first 2 shown]
	v_mov_b32_e32 v91, v67
	v_mov_b32_e32 v95, v71
	s_waitcnt lgkmcnt(0)
	s_barrier
.LBB209_35:                             ;   Parent Loop BB209_5 Depth=1
                                        ; =>  This Inner Loop Header: Depth=2
	s_add_i32 s16, s27, 2
	s_lshr_b32 s30, s16, 4
	s_and_b32 s29, s16, 0x3ffffff8
	v_lshl_add_u32 v96, s29, 2, v104
	s_lshl_b32 s29, s30, 5
	s_addk_i32 s29, 0x4200
	v_add3_u32 v130, s29, v109, v110
	ds_read_b32 v90, v95
	ds_read_b128 v[6:9], v91
	ds_read_b128 v[2:5], v91 offset:16
	ds_read2_b32 v[92:93], v96 offset1:1
	ds_read2_b32 v[128:129], v130 offset1:1
	s_sub_i32 s17, s27, 22
	s_and_b32 s28, s2, -16
	s_add_i32 s28, s27, s28
	s_waitcnt lgkmcnt(1)
	v_ashrrev_i32_e32 v92, s17, v92
	s_waitcnt lgkmcnt(0)
	v_ashrrev_i32_e32 v128, s3, v128
	v_lshlrev_b32_e32 v128, 2, v128
	v_bfe_u32 v94, v92, 24, 2
	v_and_b32_e32 v92, 0x3030303, v92
	v_and_b32_e32 v128, 0x4040404, v128
	v_sub_u16_e32 v131, v92, v128
	v_sub_u16_sdwa v132, v92, v128 dst_sel:BYTE_1 dst_unused:UNUSED_PAD src0_sel:BYTE_1 src1_sel:BYTE_1
	v_sub_u16_sdwa v92, v92, v128 dst_sel:DWORD dst_unused:UNUSED_PAD src0_sel:WORD_1 src1_sel:WORD_1
	v_sub_u16_sdwa v94, v94, v128 dst_sel:BYTE_1 dst_unused:UNUSED_PAD src0_sel:DWORD src1_sel:BYTE_3
	v_bitop3_b16 v131, v131, v132, s23 bitop3:0xec
	v_bitop3_b16 v92, v92, v94, s23 bitop3:0xec
	v_lshlrev_b32_e32 v92, 16, v92
	v_ashrrev_i32_e32 v128, s3, v129
	v_or_b32_sdwa v94, v131, v92 dst_sel:DWORD dst_unused:UNUSED_PAD src0_sel:WORD_0 src1_sel:DWORD
	v_ashrrev_i32_e32 v92, s17, v93
	v_lshlrev_b32_e32 v128, 2, v128
	v_bfe_u32 v93, v92, 24, 2
	v_and_b32_e32 v92, 0x3030303, v92
	v_and_b32_e32 v128, 0x4040404, v128
	v_sub_u16_e32 v129, v92, v128
	v_sub_u16_sdwa v131, v92, v128 dst_sel:BYTE_1 dst_unused:UNUSED_PAD src0_sel:BYTE_1 src1_sel:BYTE_1
	v_sub_u16_sdwa v92, v92, v128 dst_sel:DWORD dst_unused:UNUSED_PAD src0_sel:WORD_1 src1_sel:WORD_1
	v_sub_u16_sdwa v93, v93, v128 dst_sel:BYTE_1 dst_unused:UNUSED_PAD src0_sel:DWORD src1_sel:BYTE_3
	v_bitop3_b16 v129, v129, v131, s23 bitop3:0xec
	v_bitop3_b16 v92, v92, v93, s23 bitop3:0xec
	v_lshlrev_b32_e32 v92, 16, v92
	v_or_b32_sdwa v131, v129, v92 dst_sel:DWORD dst_unused:UNUSED_PAD src0_sel:WORD_0 src1_sel:DWORD
	ds_read2_b32 v[92:93], v96 offset0:2 offset1:3
	ds_read2_b32 v[128:129], v130 offset0:2 offset1:3
	s_lshl_b32 s27, s30, 2
	s_addk_i32 s27, 0x7380
	s_add_i32 s2, s2, 2
	s_waitcnt lgkmcnt(1)
	v_ashrrev_i32_e32 v92, s17, v92
	s_waitcnt lgkmcnt(0)
	v_ashrrev_i32_e32 v128, s3, v128
	v_lshlrev_b32_e32 v128, 2, v128
	v_bfe_u32 v132, v92, 24, 2
	v_and_b32_e32 v92, 0x3030303, v92
	v_and_b32_e32 v128, 0x4040404, v128
	v_sub_u16_e32 v133, v92, v128
	v_sub_u16_sdwa v134, v92, v128 dst_sel:BYTE_1 dst_unused:UNUSED_PAD src0_sel:BYTE_1 src1_sel:BYTE_1
	v_sub_u16_sdwa v92, v92, v128 dst_sel:DWORD dst_unused:UNUSED_PAD src0_sel:WORD_1 src1_sel:WORD_1
	v_sub_u16_sdwa v128, v132, v128 dst_sel:BYTE_1 dst_unused:UNUSED_PAD src0_sel:DWORD src1_sel:BYTE_3
	v_bitop3_b16 v133, v133, v134, s23 bitop3:0xec
	v_bitop3_b16 v92, v92, v128, s23 bitop3:0xec
	v_lshlrev_b32_e32 v92, 16, v92
	v_ashrrev_i32_e32 v128, s3, v129
	v_or_b32_sdwa v132, v133, v92 dst_sel:DWORD dst_unused:UNUSED_PAD src0_sel:WORD_0 src1_sel:DWORD
	v_ashrrev_i32_e32 v92, s17, v93
	v_lshlrev_b32_e32 v128, 2, v128
	v_bfe_u32 v93, v92, 24, 2
	v_and_b32_e32 v92, 0x3030303, v92
	v_and_b32_e32 v128, 0x4040404, v128
	v_sub_u16_e32 v129, v92, v128
	v_sub_u16_sdwa v133, v92, v128 dst_sel:BYTE_1 dst_unused:UNUSED_PAD src0_sel:BYTE_1 src1_sel:BYTE_1
	v_sub_u16_sdwa v92, v92, v128 dst_sel:DWORD dst_unused:UNUSED_PAD src0_sel:WORD_1 src1_sel:WORD_1
	v_sub_u16_sdwa v93, v93, v128 dst_sel:BYTE_1 dst_unused:UNUSED_PAD src0_sel:DWORD src1_sel:BYTE_3
	v_bitop3_b16 v129, v129, v133, s23 bitop3:0xec
	v_bitop3_b16 v92, v92, v93, s23 bitop3:0xec
	v_lshlrev_b32_e32 v92, 16, v92
	v_or_b32_sdwa v133, v129, v92 dst_sel:DWORD dst_unused:UNUSED_PAD src0_sel:WORD_0 src1_sel:DWORD
	ds_read2_b32 v[92:93], v96 offset0:4 offset1:5
	ds_read2_b32 v[128:129], v130 offset0:4 offset1:5
	s_waitcnt lgkmcnt(1)
	v_ashrrev_i32_e32 v92, s17, v92
	s_waitcnt lgkmcnt(0)
	v_ashrrev_i32_e32 v128, s3, v128
	v_lshlrev_b32_e32 v128, 2, v128
	v_bfe_u32 v134, v92, 24, 2
	v_and_b32_e32 v92, 0x3030303, v92
	v_and_b32_e32 v128, 0x4040404, v128
	v_sub_u16_e32 v135, v92, v128
	v_sub_u16_sdwa v136, v92, v128 dst_sel:BYTE_1 dst_unused:UNUSED_PAD src0_sel:BYTE_1 src1_sel:BYTE_1
	v_sub_u16_sdwa v92, v92, v128 dst_sel:DWORD dst_unused:UNUSED_PAD src0_sel:WORD_1 src1_sel:WORD_1
	v_sub_u16_sdwa v128, v134, v128 dst_sel:BYTE_1 dst_unused:UNUSED_PAD src0_sel:DWORD src1_sel:BYTE_3
	v_bitop3_b16 v135, v135, v136, s23 bitop3:0xec
	v_bitop3_b16 v92, v92, v128, s23 bitop3:0xec
	v_lshlrev_b32_e32 v92, 16, v92
	v_ashrrev_i32_e32 v128, s3, v129
	v_or_b32_sdwa v134, v135, v92 dst_sel:DWORD dst_unused:UNUSED_PAD src0_sel:WORD_0 src1_sel:DWORD
	v_ashrrev_i32_e32 v92, s17, v93
	v_lshlrev_b32_e32 v128, 2, v128
	v_bfe_u32 v93, v92, 24, 2
	v_and_b32_e32 v92, 0x3030303, v92
	v_and_b32_e32 v128, 0x4040404, v128
	v_sub_u16_e32 v129, v92, v128
	v_sub_u16_sdwa v135, v92, v128 dst_sel:BYTE_1 dst_unused:UNUSED_PAD src0_sel:BYTE_1 src1_sel:BYTE_1
	v_sub_u16_sdwa v92, v92, v128 dst_sel:DWORD dst_unused:UNUSED_PAD src0_sel:WORD_1 src1_sel:WORD_1
	v_sub_u16_sdwa v93, v93, v128 dst_sel:BYTE_1 dst_unused:UNUSED_PAD src0_sel:DWORD src1_sel:BYTE_3
	v_bitop3_b16 v129, v129, v135, s23 bitop3:0xec
	v_bitop3_b16 v92, v92, v93, s23 bitop3:0xec
	v_lshlrev_b32_e32 v92, 16, v92
	v_or_b32_sdwa v135, v129, v92 dst_sel:DWORD dst_unused:UNUSED_PAD src0_sel:WORD_0 src1_sel:DWORD
	ds_read2_b32 v[92:93], v96 offset0:6 offset1:7
	ds_read2_b32 v[128:129], v130 offset0:6 offset1:7
	s_waitcnt lgkmcnt(1)
	v_ashrrev_i32_e32 v92, s17, v92
	s_waitcnt lgkmcnt(0)
	v_ashrrev_i32_e32 v128, s3, v128
	v_lshlrev_b32_e32 v128, 2, v128
	v_bfe_u32 v136, v92, 24, 2
	v_and_b32_e32 v92, 0x3030303, v92
	v_and_b32_e32 v128, 0x4040404, v128
	v_sub_u16_e32 v130, v92, v128
	v_sub_u16_sdwa v137, v92, v128 dst_sel:BYTE_1 dst_unused:UNUSED_PAD src0_sel:BYTE_1 src1_sel:BYTE_1
	v_sub_u16_sdwa v92, v92, v128 dst_sel:DWORD dst_unused:UNUSED_PAD src0_sel:WORD_1 src1_sel:WORD_1
	v_sub_u16_sdwa v128, v136, v128 dst_sel:BYTE_1 dst_unused:UNUSED_PAD src0_sel:DWORD src1_sel:BYTE_3
	v_bitop3_b16 v130, v130, v137, s23 bitop3:0xec
	v_bitop3_b16 v92, v92, v128, s23 bitop3:0xec
	v_lshlrev_b32_e32 v92, 16, v92
	v_ashrrev_i32_e32 v129, s3, v129
	v_or_b32_sdwa v128, v130, v92 dst_sel:DWORD dst_unused:UNUSED_PAD src0_sel:WORD_0 src1_sel:DWORD
	v_ashrrev_i32_e32 v92, s17, v93
	v_lshlrev_b32_e32 v129, 2, v129
	v_bfe_u32 v93, v92, 24, 2
	v_and_b32_e32 v92, 0x3030303, v92
	v_and_b32_e32 v129, 0x4040404, v129
	v_sub_u16_e32 v130, v92, v129
	v_sub_u16_sdwa v136, v92, v129 dst_sel:BYTE_1 dst_unused:UNUSED_PAD src0_sel:BYTE_1 src1_sel:BYTE_1
	v_sub_u16_sdwa v92, v92, v129 dst_sel:DWORD dst_unused:UNUSED_PAD src0_sel:WORD_1 src1_sel:WORD_1
	v_sub_u16_sdwa v93, v93, v129 dst_sel:BYTE_1 dst_unused:UNUSED_PAD src0_sel:DWORD src1_sel:BYTE_3
	v_bitop3_b16 v130, v130, v136, s23 bitop3:0xec
	v_bitop3_b16 v92, v92, v93, s23 bitop3:0xec
	v_lshlrev_b32_e32 v92, 16, v92
	v_or_b32_sdwa v93, v130, v92 dst_sel:DWORD dst_unused:UNUSED_PAD src0_sel:WORD_0 src1_sel:DWORD
	v_mov_b32_e32 v130, 0
	v_dot4c_i32_i8_e32 v130, v94, v6
	v_dot4c_i32_i8_e32 v130, v131, v7
	;; [unrolled: 1-line block ×3, first 2 shown]
	v_mov_b32_e32 v132, 0
	v_dot4c_i32_i8_e32 v132, v134, v2
	v_dot4c_i32_i8_e32 v132, v135, v3
	v_add_u32_e32 v129, s28, v81
	v_dot4c_i32_i8_e32 v132, v128, v4
	v_dot4c_i32_i8_e32 v132, v93, v5
	ds_read_u16 v93, v129 offset:25330
	v_dot4c_i32_i8_e32 v130, v133, v9
	v_add3_u32 v92, s27, v127, v111
	v_add3_u32 v134, s29, v112, v113
	ds_read_b32 v92, v92
	s_waitcnt lgkmcnt(1)
	v_lshrrev_b16_e32 v94, 8, v93
	v_bfe_i32 v93, v93, 0, 8
	v_bfe_i32 v133, v94, 0, 8
	v_mul_lo_u32 v94, v130, v93
	v_add_u32_e32 v93, 0x1080, v96
	ds_read2_b32 v[128:129], v93 offset1:1
	ds_read2_b32 v[130:131], v134 offset1:1
	s_waitcnt lgkmcnt(1)
	v_ashrrev_i32_e32 v93, s17, v128
	s_waitcnt lgkmcnt(0)
	v_ashrrev_i32_e32 v130, s3, v130
	v_lshlrev_b32_e32 v130, 2, v130
	v_bfe_u32 v128, v93, 24, 2
	v_and_b32_e32 v93, 0x3030303, v93
	v_and_b32_e32 v130, 0x4040404, v130
	v_sub_u16_e32 v135, v93, v130
	v_sub_u16_sdwa v136, v93, v130 dst_sel:BYTE_1 dst_unused:UNUSED_PAD src0_sel:BYTE_1 src1_sel:BYTE_1
	v_sub_u16_sdwa v93, v93, v130 dst_sel:DWORD dst_unused:UNUSED_PAD src0_sel:WORD_1 src1_sel:WORD_1
	v_sub_u16_sdwa v128, v128, v130 dst_sel:BYTE_1 dst_unused:UNUSED_PAD src0_sel:DWORD src1_sel:BYTE_3
	v_bitop3_b16 v135, v135, v136, s23 bitop3:0xec
	v_bitop3_b16 v93, v93, v128, s23 bitop3:0xec
	v_lshlrev_b32_e32 v93, 16, v93
	v_or_b32_sdwa v135, v135, v93 dst_sel:DWORD dst_unused:UNUSED_PAD src0_sel:WORD_0 src1_sel:DWORD
	v_ashrrev_i32_e32 v93, s17, v129
	v_ashrrev_i32_e32 v129, s3, v131
	v_lshlrev_b32_e32 v129, 2, v129
	v_bfe_u32 v128, v93, 24, 2
	v_and_b32_e32 v93, 0x3030303, v93
	v_and_b32_e32 v129, 0x4040404, v129
	v_sub_u16_e32 v130, v93, v129
	v_sub_u16_sdwa v131, v93, v129 dst_sel:BYTE_1 dst_unused:UNUSED_PAD src0_sel:BYTE_1 src1_sel:BYTE_1
	v_sub_u16_sdwa v93, v93, v129 dst_sel:DWORD dst_unused:UNUSED_PAD src0_sel:WORD_1 src1_sel:WORD_1
	v_sub_u16_sdwa v128, v128, v129 dst_sel:BYTE_1 dst_unused:UNUSED_PAD src0_sel:DWORD src1_sel:BYTE_3
	v_bitop3_b16 v130, v130, v131, s23 bitop3:0xec
	v_bitop3_b16 v93, v93, v128, s23 bitop3:0xec
	v_lshlrev_b32_e32 v93, 16, v93
	v_or_b32_sdwa v136, v130, v93 dst_sel:DWORD dst_unused:UNUSED_PAD src0_sel:WORD_0 src1_sel:DWORD
	v_add_u32_e32 v93, 0x1088, v96
	ds_read2_b32 v[128:129], v93 offset1:1
	ds_read2_b32 v[130:131], v134 offset0:2 offset1:3
	s_waitcnt lgkmcnt(1)
	v_ashrrev_i32_e32 v93, s17, v128
	s_waitcnt lgkmcnt(0)
	v_ashrrev_i32_e32 v130, s3, v130
	v_lshlrev_b32_e32 v130, 2, v130
	v_bfe_u32 v128, v93, 24, 2
	v_and_b32_e32 v93, 0x3030303, v93
	v_and_b32_e32 v130, 0x4040404, v130
	v_sub_u16_e32 v137, v93, v130
	v_sub_u16_sdwa v138, v93, v130 dst_sel:BYTE_1 dst_unused:UNUSED_PAD src0_sel:BYTE_1 src1_sel:BYTE_1
	v_sub_u16_sdwa v93, v93, v130 dst_sel:DWORD dst_unused:UNUSED_PAD src0_sel:WORD_1 src1_sel:WORD_1
	v_sub_u16_sdwa v128, v128, v130 dst_sel:BYTE_1 dst_unused:UNUSED_PAD src0_sel:DWORD src1_sel:BYTE_3
	v_bitop3_b16 v137, v137, v138, s23 bitop3:0xec
	v_bitop3_b16 v93, v93, v128, s23 bitop3:0xec
	v_lshlrev_b32_e32 v93, 16, v93
	v_or_b32_sdwa v137, v137, v93 dst_sel:DWORD dst_unused:UNUSED_PAD src0_sel:WORD_0 src1_sel:DWORD
	v_ashrrev_i32_e32 v93, s17, v129
	v_ashrrev_i32_e32 v129, s3, v131
	v_lshlrev_b32_e32 v129, 2, v129
	v_bfe_u32 v128, v93, 24, 2
	v_and_b32_e32 v93, 0x3030303, v93
	v_and_b32_e32 v129, 0x4040404, v129
	v_sub_u16_e32 v130, v93, v129
	v_sub_u16_sdwa v131, v93, v129 dst_sel:BYTE_1 dst_unused:UNUSED_PAD src0_sel:BYTE_1 src1_sel:BYTE_1
	v_sub_u16_sdwa v93, v93, v129 dst_sel:DWORD dst_unused:UNUSED_PAD src0_sel:WORD_1 src1_sel:WORD_1
	v_sub_u16_sdwa v128, v128, v129 dst_sel:BYTE_1 dst_unused:UNUSED_PAD src0_sel:DWORD src1_sel:BYTE_3
	v_bitop3_b16 v130, v130, v131, s23 bitop3:0xec
	v_bitop3_b16 v93, v93, v128, s23 bitop3:0xec
	v_lshlrev_b32_e32 v93, 16, v93
	v_or_b32_sdwa v138, v130, v93 dst_sel:DWORD dst_unused:UNUSED_PAD src0_sel:WORD_0 src1_sel:DWORD
	v_add_u32_e32 v93, 0x1090, v96
	ds_read2_b32 v[128:129], v93 offset1:1
	ds_read2_b32 v[130:131], v134 offset0:4 offset1:5
	s_waitcnt lgkmcnt(1)
	v_ashrrev_i32_e32 v93, s17, v128
	s_waitcnt lgkmcnt(0)
	v_ashrrev_i32_e32 v130, s3, v130
	v_lshlrev_b32_e32 v130, 2, v130
	v_bfe_u32 v128, v93, 24, 2
	v_and_b32_e32 v93, 0x3030303, v93
	v_and_b32_e32 v130, 0x4040404, v130
	v_sub_u16_e32 v139, v93, v130
	v_sub_u16_sdwa v140, v93, v130 dst_sel:BYTE_1 dst_unused:UNUSED_PAD src0_sel:BYTE_1 src1_sel:BYTE_1
	v_sub_u16_sdwa v93, v93, v130 dst_sel:DWORD dst_unused:UNUSED_PAD src0_sel:WORD_1 src1_sel:WORD_1
	v_sub_u16_sdwa v128, v128, v130 dst_sel:BYTE_1 dst_unused:UNUSED_PAD src0_sel:DWORD src1_sel:BYTE_3
	v_bitop3_b16 v139, v139, v140, s23 bitop3:0xec
	v_bitop3_b16 v93, v93, v128, s23 bitop3:0xec
	v_lshlrev_b32_e32 v93, 16, v93
	v_or_b32_sdwa v139, v139, v93 dst_sel:DWORD dst_unused:UNUSED_PAD src0_sel:WORD_0 src1_sel:DWORD
	v_ashrrev_i32_e32 v93, s17, v129
	v_ashrrev_i32_e32 v129, s3, v131
	v_lshlrev_b32_e32 v129, 2, v129
	v_bfe_u32 v128, v93, 24, 2
	v_and_b32_e32 v93, 0x3030303, v93
	v_and_b32_e32 v129, 0x4040404, v129
	v_sub_u16_e32 v130, v93, v129
	v_sub_u16_sdwa v131, v93, v129 dst_sel:BYTE_1 dst_unused:UNUSED_PAD src0_sel:BYTE_1 src1_sel:BYTE_1
	v_sub_u16_sdwa v93, v93, v129 dst_sel:DWORD dst_unused:UNUSED_PAD src0_sel:WORD_1 src1_sel:WORD_1
	v_sub_u16_sdwa v128, v128, v129 dst_sel:BYTE_1 dst_unused:UNUSED_PAD src0_sel:DWORD src1_sel:BYTE_3
	v_bitop3_b16 v130, v130, v131, s23 bitop3:0xec
	v_bitop3_b16 v93, v93, v128, s23 bitop3:0xec
	v_lshlrev_b32_e32 v93, 16, v93
	v_or_b32_sdwa v140, v130, v93 dst_sel:DWORD dst_unused:UNUSED_PAD src0_sel:WORD_0 src1_sel:DWORD
	v_add_u32_e32 v93, 0x1098, v96
	ds_read2_b32 v[128:129], v93 offset1:1
	ds_read2_b32 v[130:131], v134 offset0:6 offset1:7
	s_waitcnt lgkmcnt(1)
	v_ashrrev_i32_e32 v93, s17, v128
	s_waitcnt lgkmcnt(0)
	v_ashrrev_i32_e32 v130, s3, v130
	v_lshlrev_b32_e32 v130, 2, v130
	v_bfe_u32 v128, v93, 24, 2
	v_and_b32_e32 v93, 0x3030303, v93
	v_and_b32_e32 v130, 0x4040404, v130
	v_sub_u16_e32 v134, v93, v130
	v_sub_u16_sdwa v141, v93, v130 dst_sel:BYTE_1 dst_unused:UNUSED_PAD src0_sel:BYTE_1 src1_sel:BYTE_1
	v_sub_u16_sdwa v93, v93, v130 dst_sel:DWORD dst_unused:UNUSED_PAD src0_sel:WORD_1 src1_sel:WORD_1
	v_sub_u16_sdwa v128, v128, v130 dst_sel:BYTE_1 dst_unused:UNUSED_PAD src0_sel:DWORD src1_sel:BYTE_3
	v_bitop3_b16 v134, v134, v141, s23 bitop3:0xec
	v_bitop3_b16 v93, v93, v128, s23 bitop3:0xec
	v_lshlrev_b32_e32 v93, 16, v93
	v_or_b32_sdwa v130, v134, v93 dst_sel:DWORD dst_unused:UNUSED_PAD src0_sel:WORD_0 src1_sel:DWORD
	v_ashrrev_i32_e32 v93, s17, v129
	v_ashrrev_i32_e32 v129, s3, v131
	v_lshlrev_b32_e32 v129, 2, v129
	v_bfe_u32 v128, v93, 24, 2
	v_and_b32_e32 v93, 0x3030303, v93
	v_and_b32_e32 v129, 0x4040404, v129
	v_sub_u16_e32 v131, v93, v129
	v_sub_u16_sdwa v134, v93, v129 dst_sel:BYTE_1 dst_unused:UNUSED_PAD src0_sel:BYTE_1 src1_sel:BYTE_1
	v_sub_u16_sdwa v93, v93, v129 dst_sel:DWORD dst_unused:UNUSED_PAD src0_sel:WORD_1 src1_sel:WORD_1
	v_sub_u16_sdwa v128, v128, v129 dst_sel:BYTE_1 dst_unused:UNUSED_PAD src0_sel:DWORD src1_sel:BYTE_3
	v_bitop3_b16 v131, v131, v134, s23 bitop3:0xec
	v_bitop3_b16 v93, v93, v128, s23 bitop3:0xec
	v_lshlrev_b32_e32 v93, 16, v93
	v_or_b32_sdwa v129, v131, v93 dst_sel:DWORD dst_unused:UNUSED_PAD src0_sel:WORD_0 src1_sel:DWORD
	v_add_u32_e32 v128, s28, v79
	v_add3_u32 v93, s27, v114, v115
	ds_read_b32 v93, v93
	ds_read_u16 v128, v128 offset:26354
	v_mov_b32_e32 v131, 0
	v_dot4c_i32_i8_e32 v131, v135, v6
	v_mov_b32_e32 v135, 0
	v_dot4c_i32_i8_e32 v131, v136, v7
	v_dot4c_i32_i8_e32 v135, v139, v2
	;; [unrolled: 1-line block ×5, first 2 shown]
	s_waitcnt lgkmcnt(0)
	v_lshrrev_b16_e32 v134, 8, v128
	v_bfe_i32 v128, v128, 0, 8
	v_dot4c_i32_i8_e32 v135, v130, v4
	v_mul_lo_u32 v128, v131, v128
	v_dot4c_i32_i8_e32 v135, v129, v5
	v_bfe_i32 v129, v134, 0, 8
	v_mad_u64_u32 v[130:131], s[30:31], v132, v133, v[94:95]
	s_nop 0
	v_mad_u64_u32 v[128:129], s[30:31], v135, v129, v[128:129]
	v_cvt_f32_i32_e32 v129, v128
	v_cvt_f32_i32_e32 v128, v130
	v_pk_mul_f32 v[92:93], v[90:91], v[92:93] op_sel_hi:[0,1]
	v_add3_u32 v130, s29, v116, v117
	v_pk_fma_f32 v[32:33], v[92:93], v[128:129], v[32:33]
	v_add_u32_e32 v92, 0x2100, v96
	ds_read2_b32 v[92:93], v92 offset1:1
	ds_read2_b32 v[128:129], v130 offset1:1
	s_waitcnt lgkmcnt(1)
	v_ashrrev_i32_e32 v92, s17, v92
	s_waitcnt lgkmcnt(0)
	v_ashrrev_i32_e32 v128, s3, v128
	v_lshlrev_b32_e32 v128, 2, v128
	v_bfe_u32 v94, v92, 24, 2
	v_and_b32_e32 v92, 0x3030303, v92
	v_and_b32_e32 v128, 0x4040404, v128
	v_sub_u16_e32 v131, v92, v128
	v_sub_u16_sdwa v132, v92, v128 dst_sel:BYTE_1 dst_unused:UNUSED_PAD src0_sel:BYTE_1 src1_sel:BYTE_1
	v_sub_u16_sdwa v92, v92, v128 dst_sel:DWORD dst_unused:UNUSED_PAD src0_sel:WORD_1 src1_sel:WORD_1
	v_sub_u16_sdwa v94, v94, v128 dst_sel:BYTE_1 dst_unused:UNUSED_PAD src0_sel:DWORD src1_sel:BYTE_3
	v_bitop3_b16 v131, v131, v132, s23 bitop3:0xec
	v_bitop3_b16 v92, v92, v94, s23 bitop3:0xec
	v_lshlrev_b32_e32 v92, 16, v92
	v_ashrrev_i32_e32 v128, s3, v129
	v_or_b32_sdwa v94, v131, v92 dst_sel:DWORD dst_unused:UNUSED_PAD src0_sel:WORD_0 src1_sel:DWORD
	v_ashrrev_i32_e32 v92, s17, v93
	v_lshlrev_b32_e32 v128, 2, v128
	v_bfe_u32 v93, v92, 24, 2
	v_and_b32_e32 v92, 0x3030303, v92
	v_and_b32_e32 v128, 0x4040404, v128
	v_sub_u16_e32 v129, v92, v128
	v_sub_u16_sdwa v131, v92, v128 dst_sel:BYTE_1 dst_unused:UNUSED_PAD src0_sel:BYTE_1 src1_sel:BYTE_1
	v_sub_u16_sdwa v92, v92, v128 dst_sel:DWORD dst_unused:UNUSED_PAD src0_sel:WORD_1 src1_sel:WORD_1
	v_sub_u16_sdwa v93, v93, v128 dst_sel:BYTE_1 dst_unused:UNUSED_PAD src0_sel:DWORD src1_sel:BYTE_3
	v_bitop3_b16 v129, v129, v131, s23 bitop3:0xec
	v_bitop3_b16 v92, v92, v93, s23 bitop3:0xec
	v_lshlrev_b32_e32 v92, 16, v92
	v_or_b32_sdwa v131, v129, v92 dst_sel:DWORD dst_unused:UNUSED_PAD src0_sel:WORD_0 src1_sel:DWORD
	v_add_u32_e32 v92, 0x2108, v96
	ds_read2_b32 v[92:93], v92 offset1:1
	ds_read2_b32 v[128:129], v130 offset0:2 offset1:3
	s_waitcnt lgkmcnt(1)
	v_ashrrev_i32_e32 v92, s17, v92
	s_waitcnt lgkmcnt(0)
	v_ashrrev_i32_e32 v128, s3, v128
	v_lshlrev_b32_e32 v128, 2, v128
	v_bfe_u32 v132, v92, 24, 2
	v_and_b32_e32 v92, 0x3030303, v92
	v_and_b32_e32 v128, 0x4040404, v128
	v_sub_u16_e32 v133, v92, v128
	v_sub_u16_sdwa v134, v92, v128 dst_sel:BYTE_1 dst_unused:UNUSED_PAD src0_sel:BYTE_1 src1_sel:BYTE_1
	v_sub_u16_sdwa v92, v92, v128 dst_sel:DWORD dst_unused:UNUSED_PAD src0_sel:WORD_1 src1_sel:WORD_1
	v_sub_u16_sdwa v128, v132, v128 dst_sel:BYTE_1 dst_unused:UNUSED_PAD src0_sel:DWORD src1_sel:BYTE_3
	v_bitop3_b16 v133, v133, v134, s23 bitop3:0xec
	v_bitop3_b16 v92, v92, v128, s23 bitop3:0xec
	v_lshlrev_b32_e32 v92, 16, v92
	v_ashrrev_i32_e32 v128, s3, v129
	v_or_b32_sdwa v132, v133, v92 dst_sel:DWORD dst_unused:UNUSED_PAD src0_sel:WORD_0 src1_sel:DWORD
	v_ashrrev_i32_e32 v92, s17, v93
	v_lshlrev_b32_e32 v128, 2, v128
	v_bfe_u32 v93, v92, 24, 2
	v_and_b32_e32 v92, 0x3030303, v92
	v_and_b32_e32 v128, 0x4040404, v128
	v_sub_u16_e32 v129, v92, v128
	v_sub_u16_sdwa v133, v92, v128 dst_sel:BYTE_1 dst_unused:UNUSED_PAD src0_sel:BYTE_1 src1_sel:BYTE_1
	v_sub_u16_sdwa v92, v92, v128 dst_sel:DWORD dst_unused:UNUSED_PAD src0_sel:WORD_1 src1_sel:WORD_1
	v_sub_u16_sdwa v93, v93, v128 dst_sel:BYTE_1 dst_unused:UNUSED_PAD src0_sel:DWORD src1_sel:BYTE_3
	v_bitop3_b16 v129, v129, v133, s23 bitop3:0xec
	v_bitop3_b16 v92, v92, v93, s23 bitop3:0xec
	v_lshlrev_b32_e32 v92, 16, v92
	v_or_b32_sdwa v133, v129, v92 dst_sel:DWORD dst_unused:UNUSED_PAD src0_sel:WORD_0 src1_sel:DWORD
	v_add_u32_e32 v92, 0x2110, v96
	ds_read2_b32 v[92:93], v92 offset1:1
	ds_read2_b32 v[128:129], v130 offset0:4 offset1:5
	s_waitcnt lgkmcnt(1)
	v_ashrrev_i32_e32 v92, s17, v92
	s_waitcnt lgkmcnt(0)
	v_ashrrev_i32_e32 v128, s3, v128
	v_lshlrev_b32_e32 v128, 2, v128
	v_bfe_u32 v134, v92, 24, 2
	v_and_b32_e32 v92, 0x3030303, v92
	v_and_b32_e32 v128, 0x4040404, v128
	v_sub_u16_e32 v135, v92, v128
	v_sub_u16_sdwa v136, v92, v128 dst_sel:BYTE_1 dst_unused:UNUSED_PAD src0_sel:BYTE_1 src1_sel:BYTE_1
	v_sub_u16_sdwa v92, v92, v128 dst_sel:DWORD dst_unused:UNUSED_PAD src0_sel:WORD_1 src1_sel:WORD_1
	v_sub_u16_sdwa v128, v134, v128 dst_sel:BYTE_1 dst_unused:UNUSED_PAD src0_sel:DWORD src1_sel:BYTE_3
	v_bitop3_b16 v135, v135, v136, s23 bitop3:0xec
	v_bitop3_b16 v92, v92, v128, s23 bitop3:0xec
	v_lshlrev_b32_e32 v92, 16, v92
	v_ashrrev_i32_e32 v128, s3, v129
	v_or_b32_sdwa v134, v135, v92 dst_sel:DWORD dst_unused:UNUSED_PAD src0_sel:WORD_0 src1_sel:DWORD
	v_ashrrev_i32_e32 v92, s17, v93
	v_lshlrev_b32_e32 v128, 2, v128
	v_bfe_u32 v93, v92, 24, 2
	v_and_b32_e32 v92, 0x3030303, v92
	v_and_b32_e32 v128, 0x4040404, v128
	v_sub_u16_e32 v129, v92, v128
	v_sub_u16_sdwa v135, v92, v128 dst_sel:BYTE_1 dst_unused:UNUSED_PAD src0_sel:BYTE_1 src1_sel:BYTE_1
	v_sub_u16_sdwa v92, v92, v128 dst_sel:DWORD dst_unused:UNUSED_PAD src0_sel:WORD_1 src1_sel:WORD_1
	v_sub_u16_sdwa v93, v93, v128 dst_sel:BYTE_1 dst_unused:UNUSED_PAD src0_sel:DWORD src1_sel:BYTE_3
	v_bitop3_b16 v129, v129, v135, s23 bitop3:0xec
	v_bitop3_b16 v92, v92, v93, s23 bitop3:0xec
	v_lshlrev_b32_e32 v92, 16, v92
	v_or_b32_sdwa v135, v129, v92 dst_sel:DWORD dst_unused:UNUSED_PAD src0_sel:WORD_0 src1_sel:DWORD
	v_add_u32_e32 v92, 0x2118, v96
	ds_read2_b32 v[92:93], v92 offset1:1
	ds_read2_b32 v[128:129], v130 offset0:6 offset1:7
	s_waitcnt lgkmcnt(1)
	v_ashrrev_i32_e32 v92, s17, v92
	s_waitcnt lgkmcnt(0)
	v_ashrrev_i32_e32 v128, s3, v128
	v_lshlrev_b32_e32 v128, 2, v128
	v_bfe_u32 v136, v92, 24, 2
	v_and_b32_e32 v92, 0x3030303, v92
	v_and_b32_e32 v128, 0x4040404, v128
	v_sub_u16_e32 v130, v92, v128
	v_sub_u16_sdwa v137, v92, v128 dst_sel:BYTE_1 dst_unused:UNUSED_PAD src0_sel:BYTE_1 src1_sel:BYTE_1
	v_sub_u16_sdwa v92, v92, v128 dst_sel:DWORD dst_unused:UNUSED_PAD src0_sel:WORD_1 src1_sel:WORD_1
	v_sub_u16_sdwa v128, v136, v128 dst_sel:BYTE_1 dst_unused:UNUSED_PAD src0_sel:DWORD src1_sel:BYTE_3
	v_bitop3_b16 v130, v130, v137, s23 bitop3:0xec
	v_bitop3_b16 v92, v92, v128, s23 bitop3:0xec
	v_lshlrev_b32_e32 v92, 16, v92
	v_ashrrev_i32_e32 v128, s3, v129
	v_or_b32_sdwa v130, v130, v92 dst_sel:DWORD dst_unused:UNUSED_PAD src0_sel:WORD_0 src1_sel:DWORD
	v_ashrrev_i32_e32 v92, s17, v93
	v_lshlrev_b32_e32 v128, 2, v128
	v_bfe_u32 v93, v92, 24, 2
	v_and_b32_e32 v92, 0x3030303, v92
	v_and_b32_e32 v128, 0x4040404, v128
	v_sub_u16_e32 v129, v92, v128
	v_sub_u16_sdwa v136, v92, v128 dst_sel:BYTE_1 dst_unused:UNUSED_PAD src0_sel:BYTE_1 src1_sel:BYTE_1
	v_sub_u16_sdwa v92, v92, v128 dst_sel:DWORD dst_unused:UNUSED_PAD src0_sel:WORD_1 src1_sel:WORD_1
	v_sub_u16_sdwa v93, v93, v128 dst_sel:BYTE_1 dst_unused:UNUSED_PAD src0_sel:DWORD src1_sel:BYTE_3
	v_mov_b32_e32 v128, 0
	v_bitop3_b16 v92, v92, v93, s23 bitop3:0xec
	v_dot4c_i32_i8_e32 v128, v134, v2
	v_bitop3_b16 v129, v129, v136, s23 bitop3:0xec
	v_lshlrev_b32_e32 v92, 16, v92
	v_dot4c_i32_i8_e32 v128, v135, v3
	v_or_b32_sdwa v93, v129, v92 dst_sel:DWORD dst_unused:UNUSED_PAD src0_sel:WORD_0 src1_sel:DWORD
	v_add_u32_e32 v129, s28, v77
	v_dot4c_i32_i8_e32 v128, v130, v4
	v_dot4c_i32_i8_e32 v128, v93, v5
	ds_read_u16 v93, v129 offset:27378
	v_mov_b32_e32 v136, 0
	v_dot4c_i32_i8_e32 v136, v94, v6
	v_dot4c_i32_i8_e32 v136, v131, v7
	;; [unrolled: 1-line block ×4, first 2 shown]
	s_waitcnt lgkmcnt(0)
	v_lshrrev_b16_e32 v94, 8, v93
	v_bfe_i32 v93, v93, 0, 8
	v_add3_u32 v92, s27, v118, v119
	v_bfe_i32 v129, v94, 0, 8
	v_mul_lo_u32 v94, v136, v93
	v_add_u32_e32 v93, 0x3180, v96
	v_add3_u32 v136, s29, v120, v121
	ds_read_b32 v92, v92
	ds_read2_b32 v[130:131], v93 offset1:1
	ds_read2_b32 v[132:133], v136 offset1:1
	s_waitcnt lgkmcnt(1)
	v_ashrrev_i32_e32 v93, s17, v130
	s_waitcnt lgkmcnt(0)
	v_ashrrev_i32_e32 v132, s3, v132
	v_lshlrev_b32_e32 v132, 2, v132
	v_bfe_u32 v130, v93, 24, 2
	v_and_b32_e32 v93, 0x3030303, v93
	v_and_b32_e32 v132, 0x4040404, v132
	v_sub_u16_e32 v134, v93, v132
	v_sub_u16_sdwa v135, v93, v132 dst_sel:BYTE_1 dst_unused:UNUSED_PAD src0_sel:BYTE_1 src1_sel:BYTE_1
	v_sub_u16_sdwa v93, v93, v132 dst_sel:DWORD dst_unused:UNUSED_PAD src0_sel:WORD_1 src1_sel:WORD_1
	v_sub_u16_sdwa v130, v130, v132 dst_sel:BYTE_1 dst_unused:UNUSED_PAD src0_sel:DWORD src1_sel:BYTE_3
	v_bitop3_b16 v134, v134, v135, s23 bitop3:0xec
	v_bitop3_b16 v93, v93, v130, s23 bitop3:0xec
	v_lshlrev_b32_e32 v93, 16, v93
	v_ashrrev_i32_e32 v132, s3, v133
	v_or_b32_sdwa v130, v134, v93 dst_sel:DWORD dst_unused:UNUSED_PAD src0_sel:WORD_0 src1_sel:DWORD
	v_ashrrev_i32_e32 v93, s17, v131
	v_lshlrev_b32_e32 v132, 2, v132
	v_bfe_u32 v131, v93, 24, 2
	v_and_b32_e32 v93, 0x3030303, v93
	v_and_b32_e32 v132, 0x4040404, v132
	v_sub_u16_e32 v133, v93, v132
	v_sub_u16_sdwa v134, v93, v132 dst_sel:BYTE_1 dst_unused:UNUSED_PAD src0_sel:BYTE_1 src1_sel:BYTE_1
	v_sub_u16_sdwa v93, v93, v132 dst_sel:DWORD dst_unused:UNUSED_PAD src0_sel:WORD_1 src1_sel:WORD_1
	v_sub_u16_sdwa v131, v131, v132 dst_sel:BYTE_1 dst_unused:UNUSED_PAD src0_sel:DWORD src1_sel:BYTE_3
	v_bitop3_b16 v133, v133, v134, s23 bitop3:0xec
	v_bitop3_b16 v93, v93, v131, s23 bitop3:0xec
	v_lshlrev_b32_e32 v93, 16, v93
	v_or_b32_sdwa v131, v133, v93 dst_sel:DWORD dst_unused:UNUSED_PAD src0_sel:WORD_0 src1_sel:DWORD
	v_add_u32_e32 v93, 0x3188, v96
	ds_read2_b32 v[132:133], v93 offset1:1
	ds_read2_b32 v[134:135], v136 offset0:2 offset1:3
	s_waitcnt lgkmcnt(1)
	v_ashrrev_i32_e32 v93, s17, v132
	s_waitcnt lgkmcnt(0)
	v_ashrrev_i32_e32 v134, s3, v134
	v_lshlrev_b32_e32 v134, 2, v134
	v_bfe_u32 v132, v93, 24, 2
	v_and_b32_e32 v93, 0x3030303, v93
	v_and_b32_e32 v134, 0x4040404, v134
	v_sub_u16_e32 v137, v93, v134
	v_sub_u16_sdwa v138, v93, v134 dst_sel:BYTE_1 dst_unused:UNUSED_PAD src0_sel:BYTE_1 src1_sel:BYTE_1
	v_sub_u16_sdwa v93, v93, v134 dst_sel:DWORD dst_unused:UNUSED_PAD src0_sel:WORD_1 src1_sel:WORD_1
	v_sub_u16_sdwa v132, v132, v134 dst_sel:BYTE_1 dst_unused:UNUSED_PAD src0_sel:DWORD src1_sel:BYTE_3
	v_bitop3_b16 v137, v137, v138, s23 bitop3:0xec
	v_bitop3_b16 v93, v93, v132, s23 bitop3:0xec
	v_lshlrev_b32_e32 v93, 16, v93
	v_or_b32_sdwa v137, v137, v93 dst_sel:DWORD dst_unused:UNUSED_PAD src0_sel:WORD_0 src1_sel:DWORD
	v_ashrrev_i32_e32 v93, s17, v133
	v_ashrrev_i32_e32 v133, s3, v135
	v_lshlrev_b32_e32 v133, 2, v133
	v_bfe_u32 v132, v93, 24, 2
	v_and_b32_e32 v93, 0x3030303, v93
	v_and_b32_e32 v133, 0x4040404, v133
	v_sub_u16_e32 v134, v93, v133
	v_sub_u16_sdwa v135, v93, v133 dst_sel:BYTE_1 dst_unused:UNUSED_PAD src0_sel:BYTE_1 src1_sel:BYTE_1
	v_sub_u16_sdwa v93, v93, v133 dst_sel:DWORD dst_unused:UNUSED_PAD src0_sel:WORD_1 src1_sel:WORD_1
	v_sub_u16_sdwa v132, v132, v133 dst_sel:BYTE_1 dst_unused:UNUSED_PAD src0_sel:DWORD src1_sel:BYTE_3
	v_bitop3_b16 v134, v134, v135, s23 bitop3:0xec
	v_bitop3_b16 v93, v93, v132, s23 bitop3:0xec
	v_lshlrev_b32_e32 v93, 16, v93
	v_or_b32_sdwa v138, v134, v93 dst_sel:DWORD dst_unused:UNUSED_PAD src0_sel:WORD_0 src1_sel:DWORD
	v_add_u32_e32 v93, 0x3190, v96
	ds_read2_b32 v[132:133], v93 offset1:1
	ds_read2_b32 v[134:135], v136 offset0:4 offset1:5
	s_waitcnt lgkmcnt(1)
	v_ashrrev_i32_e32 v93, s17, v132
	s_waitcnt lgkmcnt(0)
	v_ashrrev_i32_e32 v134, s3, v134
	v_lshlrev_b32_e32 v134, 2, v134
	v_bfe_u32 v132, v93, 24, 2
	v_and_b32_e32 v93, 0x3030303, v93
	v_and_b32_e32 v134, 0x4040404, v134
	v_sub_u16_e32 v139, v93, v134
	v_sub_u16_sdwa v140, v93, v134 dst_sel:BYTE_1 dst_unused:UNUSED_PAD src0_sel:BYTE_1 src1_sel:BYTE_1
	v_sub_u16_sdwa v93, v93, v134 dst_sel:DWORD dst_unused:UNUSED_PAD src0_sel:WORD_1 src1_sel:WORD_1
	v_sub_u16_sdwa v132, v132, v134 dst_sel:BYTE_1 dst_unused:UNUSED_PAD src0_sel:DWORD src1_sel:BYTE_3
	v_bitop3_b16 v139, v139, v140, s23 bitop3:0xec
	v_bitop3_b16 v93, v93, v132, s23 bitop3:0xec
	v_lshlrev_b32_e32 v93, 16, v93
	v_or_b32_sdwa v139, v139, v93 dst_sel:DWORD dst_unused:UNUSED_PAD src0_sel:WORD_0 src1_sel:DWORD
	v_ashrrev_i32_e32 v93, s17, v133
	;; [unrolled: 33-line block ×3, first 2 shown]
	v_ashrrev_i32_e32 v133, s3, v135
	v_lshlrev_b32_e32 v133, 2, v133
	v_bfe_u32 v132, v93, 24, 2
	v_and_b32_e32 v93, 0x3030303, v93
	v_and_b32_e32 v133, 0x4040404, v133
	v_sub_u16_e32 v134, v93, v133
	v_sub_u16_sdwa v135, v93, v133 dst_sel:BYTE_1 dst_unused:UNUSED_PAD src0_sel:BYTE_1 src1_sel:BYTE_1
	v_sub_u16_sdwa v93, v93, v133 dst_sel:DWORD dst_unused:UNUSED_PAD src0_sel:WORD_1 src1_sel:WORD_1
	v_sub_u16_sdwa v132, v132, v133 dst_sel:BYTE_1 dst_unused:UNUSED_PAD src0_sel:DWORD src1_sel:BYTE_3
	v_bitop3_b16 v134, v134, v135, s23 bitop3:0xec
	v_bitop3_b16 v93, v93, v132, s23 bitop3:0xec
	v_lshlrev_b32_e32 v93, 16, v93
	v_or_b32_sdwa v132, v134, v93 dst_sel:DWORD dst_unused:UNUSED_PAD src0_sel:WORD_0 src1_sel:DWORD
	v_mov_b32_e32 v134, 0
	v_add_u32_e32 v133, s28, v75
	v_add3_u32 v93, s27, v122, v123
	v_dot4c_i32_i8_e32 v134, v130, v6
	v_mov_b32_e32 v6, 0
	ds_read_b32 v93, v93
	v_dot4c_i32_i8_e32 v6, v139, v2
	ds_read_u16 v2, v133 offset:28402
	v_dot4c_i32_i8_e32 v134, v131, v7
	v_dot4c_i32_i8_e32 v134, v137, v8
	;; [unrolled: 1-line block ×5, first 2 shown]
	s_waitcnt lgkmcnt(0)
	v_lshrrev_b16_e32 v3, 8, v2
	v_bfe_i32 v2, v2, 0, 8
	v_dot4c_i32_i8_e32 v6, v132, v5
	v_bfe_i32 v5, v3, 0, 8
	v_mul_lo_u32 v4, v134, v2
	v_mad_u64_u32 v[2:3], s[28:29], v128, v129, v[94:95]
	v_mad_u64_u32 v[4:5], s[28:29], v6, v5, v[4:5]
	v_cvt_f32_i32_e32 v3, v4
	v_cvt_f32_i32_e32 v2, v2
	v_pk_mul_f32 v[6:7], v[90:91], v[92:93] op_sel_hi:[0,1]
	s_add_i32 s3, s3, 1
	v_add_u32_e32 v95, 4, v95
	v_pk_fma_f32 v[30:31], v[6:7], v[2:3], v[30:31]
	v_add_u32_e32 v91, 32, v91
	s_cmp_lt_u32 s16, 30
	s_mov_b32 s27, s16
	s_cbranch_scc1 .LBB209_35
; %bb.36:                               ;   in Loop: Header=BB209_5 Depth=1
	s_barrier
	s_branch .LBB209_4
.LBB209_37:
	s_mul_i32 s0, s7, s4
	s_waitcnt vmcnt(0)
	v_cmp_gt_i32_e32 vcc, s0, v1
	s_and_saveexec_b64 s[0:1], vcc
	s_cbranch_execz .LBB209_46
; %bb.38:
	v_and_b32_e32 v0, 0x3ff, v0
	v_add_u32_e32 v2, s18, v0
	v_mul_lo_u32 v0, v1, s6
	v_cmp_gt_u32_e32 vcc, s6, v2
	s_and_saveexec_b64 s[0:1], vcc
	s_cbranch_execz .LBB209_40
; %bb.39:
	v_cvt_f16_f32_e32 v1, v32
	v_add_u32_e32 v4, v0, v2
	v_mov_b32_e32 v5, 0
	v_lshl_add_u64 v[4:5], v[4:5], 1, s[12:13]
	global_store_short v[4:5], v1, off
.LBB209_40:
	s_or_b64 exec, exec, s[0:1]
	v_add_u32_e32 v1, 32, v2
	v_cmp_gt_u32_e32 vcc, s6, v1
	s_and_saveexec_b64 s[0:1], vcc
	s_cbranch_execz .LBB209_42
; %bb.41:
	v_cvt_f16_f32_e32 v3, v33
	v_add_u32_e32 v4, v0, v1
	v_mov_b32_e32 v5, 0
	v_lshl_add_u64 v[4:5], v[4:5], 1, s[12:13]
	global_store_short v[4:5], v3, off
.LBB209_42:
	s_or_b64 exec, exec, s[0:1]
	v_add_u32_e32 v1, 64, v2
	;; [unrolled: 12-line block ×3, first 2 shown]
	v_cmp_gt_u32_e32 vcc, s6, v1
	s_and_b64 exec, exec, vcc
	s_cbranch_execz .LBB209_46
; %bb.45:
	v_cvt_f16_f32_e32 v2, v31
	v_add_u32_e32 v0, v0, v1
	v_mov_b32_e32 v1, 0
	v_lshl_add_u64 v[0:1], v[0:1], 1, s[12:13]
	global_store_short v[0:1], v2, off
.LBB209_46:
	s_endpgm
	.section	.rodata,"a",@progbits
	.p2align	6, 0x0
	.amdhsa_kernel _ZL8moe_q3_KIN3c104HalfELb0EEvPKvS3_PT_PKiS7_S7_iiiiiii
		.amdhsa_group_segment_fixed_size 31776
		.amdhsa_private_segment_fixed_size 0
		.amdhsa_kernarg_size 76
		.amdhsa_user_sgpr_count 2
		.amdhsa_user_sgpr_dispatch_ptr 0
		.amdhsa_user_sgpr_queue_ptr 0
		.amdhsa_user_sgpr_kernarg_segment_ptr 1
		.amdhsa_user_sgpr_dispatch_id 0
		.amdhsa_user_sgpr_kernarg_preload_length 0
		.amdhsa_user_sgpr_kernarg_preload_offset 0
		.amdhsa_user_sgpr_private_segment_size 0
		.amdhsa_uses_dynamic_stack 0
		.amdhsa_enable_private_segment 0
		.amdhsa_system_sgpr_workgroup_id_x 1
		.amdhsa_system_sgpr_workgroup_id_y 1
		.amdhsa_system_sgpr_workgroup_id_z 0
		.amdhsa_system_sgpr_workgroup_info 0
		.amdhsa_system_vgpr_workitem_id 1
		.amdhsa_next_free_vgpr 153
		.amdhsa_next_free_sgpr 96
		.amdhsa_accum_offset 156
		.amdhsa_reserve_vcc 1
		.amdhsa_float_round_mode_32 0
		.amdhsa_float_round_mode_16_64 0
		.amdhsa_float_denorm_mode_32 3
		.amdhsa_float_denorm_mode_16_64 3
		.amdhsa_dx10_clamp 1
		.amdhsa_ieee_mode 1
		.amdhsa_fp16_overflow 0
		.amdhsa_tg_split 0
		.amdhsa_exception_fp_ieee_invalid_op 0
		.amdhsa_exception_fp_denorm_src 0
		.amdhsa_exception_fp_ieee_div_zero 0
		.amdhsa_exception_fp_ieee_overflow 0
		.amdhsa_exception_fp_ieee_underflow 0
		.amdhsa_exception_fp_ieee_inexact 0
		.amdhsa_exception_int_div_zero 0
	.end_amdhsa_kernel
	.section	.text._ZL8moe_q3_KIN3c104HalfELb0EEvPKvS3_PT_PKiS7_S7_iiiiiii,"axG",@progbits,_ZL8moe_q3_KIN3c104HalfELb0EEvPKvS3_PT_PKiS7_S7_iiiiiii,comdat
.Lfunc_end209:
	.size	_ZL8moe_q3_KIN3c104HalfELb0EEvPKvS3_PT_PKiS7_S7_iiiiiii, .Lfunc_end209-_ZL8moe_q3_KIN3c104HalfELb0EEvPKvS3_PT_PKiS7_S7_iiiiiii
                                        ; -- End function
	.set _ZL8moe_q3_KIN3c104HalfELb0EEvPKvS3_PT_PKiS7_S7_iiiiiii.num_vgpr, 153
	.set _ZL8moe_q3_KIN3c104HalfELb0EEvPKvS3_PT_PKiS7_S7_iiiiiii.num_agpr, 0
	.set _ZL8moe_q3_KIN3c104HalfELb0EEvPKvS3_PT_PKiS7_S7_iiiiiii.numbered_sgpr, 36
	.set _ZL8moe_q3_KIN3c104HalfELb0EEvPKvS3_PT_PKiS7_S7_iiiiiii.num_named_barrier, 0
	.set _ZL8moe_q3_KIN3c104HalfELb0EEvPKvS3_PT_PKiS7_S7_iiiiiii.private_seg_size, 0
	.set _ZL8moe_q3_KIN3c104HalfELb0EEvPKvS3_PT_PKiS7_S7_iiiiiii.uses_vcc, 1
	.set _ZL8moe_q3_KIN3c104HalfELb0EEvPKvS3_PT_PKiS7_S7_iiiiiii.uses_flat_scratch, 0
	.set _ZL8moe_q3_KIN3c104HalfELb0EEvPKvS3_PT_PKiS7_S7_iiiiiii.has_dyn_sized_stack, 0
	.set _ZL8moe_q3_KIN3c104HalfELb0EEvPKvS3_PT_PKiS7_S7_iiiiiii.has_recursion, 0
	.set _ZL8moe_q3_KIN3c104HalfELb0EEvPKvS3_PT_PKiS7_S7_iiiiiii.has_indirect_call, 0
	.section	.AMDGPU.csdata,"",@progbits
; Kernel info:
; codeLenInByte = 20348
; TotalNumSgprs: 42
; NumVgprs: 153
; NumAgprs: 0
; TotalNumVgprs: 153
; ScratchSize: 0
; MemoryBound: 0
; FloatMode: 240
; IeeeMode: 1
; LDSByteSize: 31776 bytes/workgroup (compile time only)
; SGPRBlocks: 12
; VGPRBlocks: 19
; NumSGPRsForWavesPerEU: 102
; NumVGPRsForWavesPerEU: 153
; AccumOffset: 156
; Occupancy: 3
; WaveLimiterHint : 1
; COMPUTE_PGM_RSRC2:SCRATCH_EN: 0
; COMPUTE_PGM_RSRC2:USER_SGPR: 2
; COMPUTE_PGM_RSRC2:TRAP_HANDLER: 0
; COMPUTE_PGM_RSRC2:TGID_X_EN: 1
; COMPUTE_PGM_RSRC2:TGID_Y_EN: 1
; COMPUTE_PGM_RSRC2:TGID_Z_EN: 0
; COMPUTE_PGM_RSRC2:TIDIG_COMP_CNT: 1
; COMPUTE_PGM_RSRC3_GFX90A:ACCUM_OFFSET: 38
; COMPUTE_PGM_RSRC3_GFX90A:TG_SPLIT: 0
	.section	.text._ZL8moe_q3_KIN3c104HalfELb1EEvPKvS3_PT_PKiS7_S7_iiiiiii,"axG",@progbits,_ZL8moe_q3_KIN3c104HalfELb1EEvPKvS3_PT_PKiS7_S7_iiiiiii,comdat
	.globl	_ZL8moe_q3_KIN3c104HalfELb1EEvPKvS3_PT_PKiS7_S7_iiiiiii ; -- Begin function _ZL8moe_q3_KIN3c104HalfELb1EEvPKvS3_PT_PKiS7_S7_iiiiiii
	.p2align	8
	.type	_ZL8moe_q3_KIN3c104HalfELb1EEvPKvS3_PT_PKiS7_S7_iiiiiii,@function
_ZL8moe_q3_KIN3c104HalfELb1EEvPKvS3_PT_PKiS7_S7_iiiiiii: ; @_ZL8moe_q3_KIN3c104HalfELb1EEvPKvS3_PT_PKiS7_S7_iiiiiii
; %bb.0:
	s_load_dwordx4 s[4:7], s[0:1], 0x18
	s_mov_b32 s8, s3
	s_mov_b32 s9, 0
	s_lshl_b64 s[10:11], s[8:9], 2
	s_waitcnt lgkmcnt(0)
	s_add_u32 s6, s6, s10
	s_addc_u32 s7, s7, s11
	s_load_dword s3, s[6:7], 0x0
	s_waitcnt lgkmcnt(0)
	s_cmpk_gt_u32 s3, 0xff
	s_cbranch_scc1 .LBB210_46
; %bb.1:
	s_load_dwordx2 s[6:7], s[0:1], 0x28
	s_waitcnt lgkmcnt(0)
	s_load_dword s7, s[6:7], 0x0
	s_lshl_b32 s6, s8, 3
	s_waitcnt lgkmcnt(0)
	s_cmp_gt_u32 s6, s7
	s_cbranch_scc1 .LBB210_46
; %bb.2:
	v_bfe_u32 v3, v0, 10, 10
	v_mov_b32_e32 v4, s4
	v_mov_b32_e32 v5, s5
	v_add_u32_e32 v40, s6, v3
	v_mov_b32_e32 v41, 0
	v_lshl_add_u64 v[4:5], v[40:41], 2, v[4:5]
	global_load_dword v1, v[4:5], off
	s_load_dwordx8 s[4:11], s[0:1], 0x30
	s_load_dwordx2 s[16:17], s[0:1], 0x10
	s_waitcnt lgkmcnt(0)
	s_lshl_b32 s11, s2, 7
	v_mov_b32_e32 v40, v41
	v_mov_b32_e32 v43, v41
	s_cmpk_lt_i32 s5, 0x100
	v_mov_b32_e32 v42, v41
	s_cbranch_scc1 .LBB210_37
; %bb.3:
	s_load_dwordx4 s[12:15], s[0:1], 0x0
	s_ashr_i32 s0, s5, 31
	s_lshr_b32 s0, s0, 24
	s_add_i32 s0, s5, s0
	s_ashr_i32 s20, s0, 8
	s_ashr_i32 s0, s8, 31
	s_lshr_b32 s0, s0, 27
	s_add_i32 s0, s8, s0
	s_mul_i32 s3, s3, s4
	s_ashr_i32 s8, s0, 5
	s_ashr_i32 s0, s3, 31
	s_waitcnt lgkmcnt(0)
	s_add_u32 s1, s12, s3
	s_mul_i32 s2, s20, s11
	s_addc_u32 s0, s13, s0
	s_mul_hi_i32 s3, s2, 0x6e
	s_mulk_i32 s2, 0x6e
	s_add_u32 s21, s1, s2
	s_addc_u32 s22, s0, s3
	s_not_b32 s0, s11
	s_add_i32 s1, s6, s0
	v_and_b32_e32 v11, 0x3ff, v0
	v_min_i32_e32 v5, s1, v3
	v_lshlrev_b32_e32 v2, 2, v11
	s_movk_i32 s0, 0x84
	v_mad_u64_u32 v[14:15], s[2:3], v5, s0, v[2:3]
	v_add_u32_e32 v15, 40, v3
	v_min_i32_e32 v70, s1, v15
	v_add_u32_e32 v15, 48, v3
	v_min_i32_e32 v72, s1, v15
	;; [unrolled: 2-line block ×10, first 2 shown]
	v_add_u32_e32 v15, 0x78, v3
	v_lshlrev_b32_e32 v40, 4, v3
	v_bfe_u32 v41, v0, 1, 9
	v_min_i32_e32 v90, s1, v15
	v_add_u32_e32 v15, v41, v40
	v_and_b32_e32 v15, 0x7f, v15
	v_min_i32_e32 v92, s1, v15
	v_ashrrev_i32_e32 v15, 31, v92
	v_add_u32_e32 v6, 8, v3
	v_add_u32_e32 v7, 16, v3
	;; [unrolled: 1-line block ×4, first 2 shown]
	v_lshrrev_b32_e32 v15, 28, v15
	v_min_i32_e32 v6, s1, v6
	v_min_i32_e32 v7, s1, v7
	;; [unrolled: 1-line block ×4, first 2 shown]
	v_add_u32_e32 v15, v92, v15
	v_mad_u64_u32 v[16:17], s[2:3], v6, s0, v[2:3]
	v_mad_u64_u32 v[18:19], s[2:3], v7, s0, v[2:3]
	;; [unrolled: 1-line block ×10, first 2 shown]
	v_and_b32_e32 v36, 1, v0
	v_ashrrev_i32_e32 v15, 4, v15
	v_bfe_u32 v10, v0, 4, 6
	v_lshlrev_b32_e32 v15, 2, v15
	v_lshlrev_b32_e32 v17, 2, v36
	s_movk_i32 s2, 0x7380
	v_add3_u32 v27, v15, v17, s2
	v_lshl_add_u32 v15, v3, 1, v10
	v_min_i32_e32 v94, s1, v15
	v_lshrrev_b32_e32 v17, 31, v94
	v_and_b32_e32 v4, 15, v0
	v_add_lshl_u32 v17, v94, v17, 1
	v_lshlrev_b32_e32 v12, 2, v4
	v_and_b32_e32 v17, -4, v17
	s_movk_i32 s2, 0x4200
	v_add3_u32 v31, v17, v12, s2
	v_add_u32_e32 v17, 16, v15
	v_min_i32_e32 v96, s1, v17
	v_lshrrev_b32_e32 v17, 31, v96
	v_add_lshl_u32 v17, v96, v17, 1
	v_and_b32_e32 v17, -4, v17
	v_add3_u32 v35, v17, v12, s2
	v_add_u32_e32 v17, 32, v15
	v_min_i32_e32 v98, s1, v17
	v_lshrrev_b32_e32 v17, 31, v98
	v_add_lshl_u32 v17, v98, v17, 1
	v_and_b32_e32 v17, -4, v17
	;; [unrolled: 6-line block ×5, first 2 shown]
	v_add3_u32 v48, v17, v12, s2
	v_add_u32_e32 v17, 0x60, v15
	v_add_u32_e32 v15, 0x70, v15
	v_min_i32_e32 v106, s1, v17
	v_min_i32_e32 v108, s1, v15
	v_lshrrev_b32_e32 v17, 31, v106
	v_lshrrev_b32_e32 v15, 31, v108
	v_add_lshl_u32 v17, v106, v17, 1
	v_add_lshl_u32 v15, v108, v15, 1
	v_and_b32_e32 v17, -4, v17
	v_and_b32_e32 v15, -4, v15
	v_add3_u32 v50, v17, v12, s2
	v_add3_u32 v52, v15, v12, s2
	v_bfe_u32 v15, v0, 3, 7
	v_mov_b32_e32 v17, 0x77a0
	s_abs_i32 s2, s10
	v_lshl_add_u32 v54, v3, 2, v15
	v_lshl_add_u32 v17, v3, 7, v17
	v_cvt_f32_u32_e32 v3, s2
	s_sub_i32 s3, 0, s2
	s_waitcnt vmcnt(0)
	v_sub_u32_e32 v21, 0, v1
	v_max_i32_e32 v21, v1, v21
	v_rcp_iflag_f32_e32 v3, v3
	v_xor_b32_e32 v19, s10, v1
	v_ashrrev_i32_e32 v19, 31, v19
	v_add_u32_e32 v58, 0x60, v11
	v_mul_f32_e32 v3, 0x4f7ffffe, v3
	v_cvt_u32_f32_e32 v3, v3
	v_lshlrev_b32_e32 v25, 5, v11
	v_add_u32_e32 v57, 64, v11
	v_add_u32_e32 v56, 32, v11
	v_mul_lo_u32 v23, s3, v3
	v_mul_hi_u32 v23, v3, v23
	v_add_u32_e32 v3, v3, v23
	v_mul_hi_u32 v3, v21, v3
	v_mul_lo_u32 v23, v3, s2
	v_sub_u32_e32 v21, v21, v23
	v_add_u32_e32 v23, 1, v3
	v_cmp_le_u32_e32 vcc, s2, v21
	v_lshlrev_b32_e32 v29, 3, v92
	v_lshlrev_b32_e32 v33, 6, v94
	v_cndmask_b32_e32 v3, v3, v23, vcc
	v_subrev_u32_e32 v23, s2, v21
	v_cndmask_b32_e32 v21, v21, v23, vcc
	v_add_u32_e32 v23, 1, v3
	v_cmp_le_u32_e32 vcc, s2, v21
	v_add_u32_e32 v27, v27, v29
	v_min_i32_e32 v110, s1, v54
	v_cndmask_b32_e32 v3, v3, v23, vcc
	v_xor_b32_e32 v3, v3, v19
	v_sub_u32_e32 v59, v3, v19
	v_and_b32_e32 v3, 0x1fc, v58
	v_add_u32_e32 v19, v25, v3
	v_and_b32_e32 v3, 0x1fc, v57
	v_add_u32_e32 v21, v25, v3
	;; [unrolled: 2-line block ×4, first 2 shown]
	v_and_b32_e32 v3, 3, v0
	v_add_u16_e32 v29, -2, v3
	v_cmp_gt_u32_e32 vcc, 2, v3
	v_lshlrev_b32_e32 v37, 6, v96
	v_and_b32_e32 v119, 7, v0
	v_cndmask_b32_e32 v55, v29, v3, vcc
	v_add_u32_e32 v29, v31, v33
	v_ashrrev_i32_e32 v33, 31, v110
	v_lshrrev_b32_e32 v33, 30, v33
	v_add_u32_e32 v31, v35, v37
	v_add_u32_e32 v33, v110, v33
	;; [unrolled: 1-line block ×3, first 2 shown]
	v_lshlrev_b32_e32 v38, 2, v119
	v_lshlrev_b32_e32 v43, 6, v98
	v_and_b32_e32 v33, -4, v33
	s_movk_i32 s2, 0x6300
	v_min_i32_e32 v112, s1, v37
	v_add3_u32 v60, v33, v38, s2
	v_add_u32_e32 v33, v42, v43
	v_ashrrev_i32_e32 v43, 31, v112
	v_lshlrev_b32_e32 v45, 6, v100
	v_lshrrev_b32_e32 v43, 30, v43
	v_lshlrev_b32_e32 v47, 6, v102
	v_add_u32_e32 v35, v44, v45
	v_add_u32_e32 v43, v112, v43
	;; [unrolled: 1-line block ×4, first 2 shown]
	v_and_b32_e32 v43, -4, v43
	v_min_i32_e32 v113, s1, v45
	v_add_u32_e32 v46, 0x60, v54
	v_add3_u32 v43, v43, v38, s2
	v_lshlrev_b32_e32 v44, 5, v112
	v_ashrrev_i32_e32 v45, 31, v113
	v_min_i32_e32 v115, s1, v46
	v_lshrrev_b32_e32 v45, 30, v45
	v_add_u32_e32 v69, v43, v44
	v_ashrrev_i32_e32 v43, 31, v115
	v_add_u32_e32 v45, v113, v45
	v_lshrrev_b32_e32 v43, 30, v43
	v_lshlrev_b32_e32 v42, 5, v110
	v_and_b32_e32 v45, -4, v45
	v_add_u32_e32 v43, v115, v43
	v_add3_u32 v45, v45, v38, s2
	v_add_u32_e32 v67, v60, v42
	v_lshlrev_b32_e32 v42, 5, v113
	v_and_b32_e32 v43, -4, v43
	v_add3_u32 v43, v43, v38, s2
	v_add_u32_e32 v71, v45, v42
	v_lshlrev_b32_e32 v42, 5, v115
	v_mov_b32_e32 v13, 0
	v_lshlrev_b32_e32 v49, 6, v104
	v_lshlrev_b32_e32 v51, 6, v106
	;; [unrolled: 1-line block ×3, first 2 shown]
	v_add_u32_e32 v73, v43, v42
	v_mov_b32_e32 v42, 2
	v_add_u32_e32 v77, 0x7ba0, v40
	v_add_u32_e32 v61, v48, v49
	v_add_u32_e32 v63, v50, v51
	v_add_u32_e32 v65, v52, v53
	v_lshlrev_b32_sdwa v44, v42, v55 dst_sel:DWORD dst_unused:UNUSED_PAD src0_sel:DWORD src1_sel:BYTE_0
	v_lshlrev_b32_e32 v75, 1, v3
	v_add_u32_e32 v79, v77, v2
	v_mad_u64_u32 v[46:47], s[2:3], v82, s0, v[2:3]
	v_mad_u64_u32 v[48:49], s[2:3], v84, s0, v[2:3]
	;; [unrolled: 1-line block ×5, first 2 shown]
	v_and_b32_e32 v2, 28, v2
	v_mov_b32_e32 v3, v13
	v_and_b32_e32 v40, 31, v0
	v_lshl_add_u32 v47, v40, 2, v17
	v_lshlrev_b32_e32 v40, 4, v56
	v_lshrrev_b32_e32 v42, 1, v56
	v_lshlrev_b32_e32 v43, 1, v56
	v_lshrrev_b32_e32 v60, 4, v56
	v_lshrrev_b32_e32 v49, 3, v56
	v_lshlrev_b32_e32 v62, 4, v57
	v_lshrrev_b32_e32 v64, 1, v57
	v_lshlrev_b32_e32 v66, 1, v57
	v_lshrrev_b32_e32 v68, 4, v57
	v_lshrrev_b32_e32 v51, 3, v57
	v_lshl_add_u64 v[56:57], s[14:15], 0, v[2:3]
	v_mul_u32_u24_e32 v2, 33, v11
	v_lshlrev_b32_e32 v55, 2, v2
	v_lshlrev_b32_e32 v2, 4, v11
	v_cmp_lt_u32_e64 s[2:3], 7, v4
	v_cmp_gt_u32_e32 vcc, 4, v11
	v_lshlrev_b32_e32 v107, 4, v58
	v_lshrrev_b32_e32 v105, 1, v58
	v_lshlrev_b32_e32 v111, 1, v58
	v_lshrrev_b32_e32 v109, 4, v58
	v_lshrrev_b32_e32 v53, 3, v58
	v_cmp_gt_i32_e64 s[0:1], s7, v59
	v_mul_lo_u32 v58, v59, s8
	v_lshlrev_b32_e32 v83, 2, v2
	v_lshlrev_b32_e32 v2, 1, v11
	v_cndmask_b32_e64 v118, 0, 1, s[2:3]
	v_cmp_lt_u32_e64 s[2:3], 3, v119
	s_movk_i32 s4, 0x6e
	s_mov_b32 s6, 0
	v_mov_b32_e32 v39, v13
	s_movk_i32 s23, 0xff
	v_mov_b32_e32 v45, v13
	s_and_b64 s[12:13], vcc, s[0:1]
	v_ashrrev_i32_e32 v59, 31, v58
	s_mov_b32 s24, 0x30303030
	s_movk_i32 s25, 0xe000
	s_movk_i32 s26, 0x3f00
	v_lshlrev_b32_e32 v81, 2, v41
	v_and_b32_e32 v85, 4, v2
	v_lshlrev_b32_e32 v87, 2, v2
	v_lshlrev_b32_e32 v89, 2, v42
	;; [unrolled: 1-line block ×13, first 2 shown]
	v_mov_b32_e32 v42, v13
	v_mov_b32_e32 v43, v13
	;; [unrolled: 1-line block ×4, first 2 shown]
	v_mul_lo_u32 v60, v5, s20
	v_mul_lo_u32 v62, v6, s20
	v_mul_lo_u32 v64, v7, s20
	v_mul_lo_u32 v66, v8, s20
	v_mul_lo_u32 v68, v9, s20
	v_mul_lo_u32 v70, v70, s20
	v_mul_lo_u32 v72, v72, s20
	v_mul_lo_u32 v74, v74, s20
	v_mul_lo_u32 v76, v76, s20
	v_mul_lo_u32 v78, v78, s20
	v_mul_lo_u32 v80, v80, s20
	v_mul_lo_u32 v82, v82, s20
	v_mul_lo_u32 v84, v84, s20
	v_mul_lo_u32 v86, v86, s20
	v_mul_lo_u32 v88, v88, s20
	v_mul_lo_u32 v90, v90, s20
	v_mul_lo_u32 v92, v92, s20
	v_mul_lo_u32 v94, v94, s20
	v_mul_lo_u32 v96, v96, s20
	v_mul_lo_u32 v98, v98, s20
	v_mul_lo_u32 v100, v100, s20
	v_mul_lo_u32 v102, v102, s20
	v_mul_lo_u32 v104, v104, s20
	v_mul_lo_u32 v106, v106, s20
	v_mul_lo_u32 v108, v108, s20
	v_mul_lo_u32 v110, v110, s20
	v_mul_lo_u32 v112, v112, s20
	v_mul_lo_u32 v114, v113, s20
	v_mul_lo_u32 v116, v115, s20
	v_add_u32_e32 v113, 0x6f00, v19
	v_add_u32_e32 v115, 0x6b00, v21
	v_add_u32_e32 v117, 0x6300, v25
	v_cndmask_b32_e64 v120, 0, 1, s[2:3]
	s_branch .LBB210_5
.LBB210_4:                              ;   in Loop: Header=BB210_5 Depth=1
	s_add_i32 s6, s6, 2
	s_cmp_ge_i32 s6, s20
	s_cbranch_scc1 .LBB210_37
.LBB210_5:                              ; =>This Loop Header: Depth=1
                                        ;     Child Loop BB210_11 Depth 2
                                        ;     Child Loop BB210_19 Depth 2
	;; [unrolled: 1-line block ×4, first 2 shown]
	s_mul_i32 s2, s6, 0x6e
	s_mul_hi_u32 s3, s6, 0x6e
	s_add_u32 s2, s21, s2
	s_addc_u32 s3, s22, s3
	v_mov_b64_e32 v[2:3], s[2:3]
	v_mad_u64_u32 v[4:5], s[2:3], v10, s4, v[2:3]
	v_mad_i64_i32 v[6:7], s[2:3], v60, s4, v[4:5]
	v_lshl_add_u64 v[6:7], v[6:7], 0, v[12:13]
	v_mad_i64_i32 v[8:9], s[2:3], v62, s4, v[4:5]
	v_mad_i64_i32 v[122:123], s[2:3], v64, s4, v[4:5]
	;; [unrolled: 1-line block ×7, first 2 shown]
	v_lshl_add_u64 v[8:9], v[8:9], 0, v[12:13]
	v_lshl_add_u64 v[122:123], v[122:123], 0, v[12:13]
	;; [unrolled: 1-line block ×7, first 2 shown]
	global_load_dword v119, v[6:7], off offset:32
	global_load_dword v121, v[8:9], off offset:32
	;; [unrolled: 1-line block ×8, first 2 shown]
	v_mad_i64_i32 v[6:7], s[2:3], v76, s4, v[4:5]
	v_lshl_add_u64 v[6:7], v[6:7], 0, v[12:13]
	v_mad_i64_i32 v[8:9], s[2:3], v78, s4, v[4:5]
	v_mad_i64_i32 v[122:123], s[2:3], v80, s4, v[4:5]
	;; [unrolled: 1-line block ×7, first 2 shown]
	v_lshl_add_u64 v[8:9], v[8:9], 0, v[12:13]
	v_lshl_add_u64 v[122:123], v[122:123], 0, v[12:13]
	;; [unrolled: 1-line block ×7, first 2 shown]
	global_load_dword v140, v[6:7], off offset:32
	global_load_dword v141, v[8:9], off offset:32
	;; [unrolled: 1-line block ×8, first 2 shown]
	v_mad_u64_u32 v[6:7], s[2:3], v118, s4, v[2:3]
	v_mad_i64_i32 v[4:5], s[2:3], v92, s4, v[2:3]
	v_lshl_add_u64 v[6:7], v[6:7], 0, v[38:39]
	v_mad_u64_u32 v[4:5], s[2:3], v36, s4, v[4:5]
	v_mad_i64_i32 v[126:127], s[2:3], v100, s4, v[6:7]
	v_mad_i64_i32 v[128:129], s[2:3], v102, s4, v[6:7]
	v_mad_u64_u32 v[2:3], s[2:3], v120, s4, v[2:3]
	v_mad_i64_i32 v[8:9], s[2:3], v94, s4, v[6:7]
	v_mad_i64_i32 v[122:123], s[2:3], v96, s4, v[6:7]
	v_mad_i64_i32 v[124:125], s[2:3], v98, s4, v[6:7]
	v_mad_i64_i32 v[130:131], s[2:3], v104, s4, v[6:7]
	v_mad_i64_i32 v[132:133], s[2:3], v106, s4, v[6:7]
	global_load_ushort v148, v[4:5], off offset:108
	global_load_dword v149, v[8:9], off
	global_load_dword v150, v[122:123], off
	;; [unrolled: 1-line block ×3, first 2 shown]
	s_nop 0
	global_load_dword v126, v[126:127], off
	s_nop 0
	global_load_dword v127, v[128:129], off
	;; [unrolled: 2-line block ×3, first 2 shown]
	global_load_dword v129, v[132:133], off
	v_mad_i64_i32 v[4:5], s[2:3], v108, s4, v[6:7]
	v_mad_i64_i32 v[6:7], s[2:3], v110, s4, v[2:3]
	v_lshl_add_u64 v[8:9], v[6:7], 0, v[44:45]
	v_mad_i64_i32 v[122:123], s[2:3], v112, s4, v[2:3]
	v_mad_i64_i32 v[124:125], s[2:3], v114, s4, v[2:3]
	;; [unrolled: 1-line block ×3, first 2 shown]
	global_load_dword v130, v[4:5], off
	s_nop 0
	global_load_dword v8, v[8:9], off offset:96
	s_nop 0
	global_load_dword v9, v[2:3], off offset:104
	global_load_dword v131, v[124:125], off offset:104
	;; [unrolled: 1-line block ×3, first 2 shown]
	s_nop 0
	global_load_dword v6, v[6:7], off offset:104
	v_lshl_add_u64 v[4:5], v[122:123], 0, v[44:45]
	global_load_dword v7, v[4:5], off offset:96
	v_lshl_add_u64 v[4:5], v[124:125], 0, v[44:45]
	global_load_dword v4, v[4:5], off offset:96
	s_waitcnt vmcnt(31)
	ds_write_b32 v14, v119
	s_waitcnt vmcnt(30)
	ds_write_b32 v16, v121
	;; [unrolled: 2-line block ×9, first 2 shown]
	v_lshl_add_u64 v[2:3], v[2:3], 0, v[44:45]
	global_load_dword v2, v[2:3], off offset:96
	s_waitcnt vmcnt(23)
	ds_write_b32 v32, v141
	s_waitcnt vmcnt(22)
	ds_write_b32 v34, v142
	s_waitcnt vmcnt(21)
	ds_write_b32 v46, v143
	s_waitcnt vmcnt(20)
	ds_write_b32 v48, v144
	s_lshl_b32 s27, s6, 8
	s_cmp_lt_i32 s27, s5
	s_waitcnt vmcnt(16)
	v_cvt_f32_f16_e32 v3, v148
	ds_write_b32 v50, v145
	ds_write_b32 v52, v146
	;; [unrolled: 1-line block ×4, first 2 shown]
	s_waitcnt vmcnt(15)
	v_not_b32_e32 v3, v149
	ds_write_b32 v29, v3
	s_waitcnt vmcnt(14)
	v_not_b32_e32 v3, v150
	ds_write_b32 v31, v3
	;; [unrolled: 3-line block ×8, first 2 shown]
	s_waitcnt vmcnt(7)
	v_ashrrev_i32_e32 v3, v85, v8
	s_waitcnt vmcnt(3)
	v_ashrrev_i32_e32 v5, v75, v6
	v_and_b32_e32 v3, 0xf0f0f0f, v3
	v_lshlrev_b32_e32 v5, 4, v5
	v_and_or_b32 v3, v5, s24, v3
	v_lshlrev_b16_e32 v6, 8, v3
	v_add_u16_e32 v6, 0xe000, v6
	v_lshrrev_b32_e32 v5, 16, v3
	v_lshrrev_b16_e32 v6, 8, v6
	v_bitop3_b16 v3, v3, v6, s26 bitop3:0xec
	v_lshlrev_b16_e32 v6, 8, v5
	v_add_u16_e32 v6, 0xe000, v6
	v_lshrrev_b16_e32 v6, 8, v6
	v_bitop3_b16 v5, v5, v6, s26 bitop3:0xec
	v_add_u16_e32 v3, 0xe000, v3
	v_add_u16_sdwa v5, v5, s25 dst_sel:WORD_1 dst_unused:UNUSED_PAD src0_sel:DWORD src1_sel:DWORD
	s_waitcnt vmcnt(0)
	v_ashrrev_i32_e32 v2, v85, v2
	v_or_b32_e32 v3, v3, v5
	ds_write_b32 v67, v3
	v_ashrrev_i32_e32 v3, v85, v7
	v_ashrrev_i32_e32 v5, v75, v132
	v_and_b32_e32 v3, 0xf0f0f0f, v3
	v_lshlrev_b32_e32 v5, 4, v5
	v_and_or_b32 v3, v5, s24, v3
	v_lshlrev_b16_e32 v6, 8, v3
	v_add_u16_e32 v6, 0xe000, v6
	v_lshrrev_b32_e32 v5, 16, v3
	v_lshrrev_b16_e32 v6, 8, v6
	v_bitop3_b16 v3, v3, v6, s26 bitop3:0xec
	v_lshlrev_b16_e32 v6, 8, v5
	v_add_u16_e32 v6, 0xe000, v6
	v_lshrrev_b16_e32 v6, 8, v6
	v_bitop3_b16 v5, v5, v6, s26 bitop3:0xec
	v_add_u16_e32 v3, 0xe000, v3
	v_add_u16_sdwa v5, v5, s25 dst_sel:WORD_1 dst_unused:UNUSED_PAD src0_sel:DWORD src1_sel:DWORD
	v_and_b32_e32 v2, 0xf0f0f0f, v2
	v_or_b32_e32 v3, v3, v5
	ds_write_b32 v69, v3
	v_ashrrev_i32_e32 v3, v85, v4
	v_ashrrev_i32_e32 v4, v75, v131
	v_and_b32_e32 v3, 0xf0f0f0f, v3
	v_lshlrev_b32_e32 v4, 4, v4
	v_and_or_b32 v3, v4, s24, v3
	v_lshlrev_b16_e32 v5, 8, v3
	v_add_u16_e32 v5, 0xe000, v5
	v_lshrrev_b32_e32 v4, 16, v3
	v_lshrrev_b16_e32 v5, 8, v5
	v_bitop3_b16 v3, v3, v5, s26 bitop3:0xec
	v_lshlrev_b16_e32 v5, 8, v4
	v_add_u16_e32 v5, 0xe000, v5
	v_lshrrev_b16_e32 v5, 8, v5
	v_bitop3_b16 v4, v4, v5, s26 bitop3:0xec
	v_add_u16_e32 v3, 0xe000, v3
	v_add_u16_sdwa v4, v4, s25 dst_sel:WORD_1 dst_unused:UNUSED_PAD src0_sel:DWORD src1_sel:DWORD
	s_nop 0
	v_or_b32_e32 v3, v3, v4
	ds_write_b32 v71, v3
	v_ashrrev_i32_e32 v3, v75, v9
	v_lshlrev_b32_e32 v3, 4, v3
	v_and_or_b32 v2, v3, s24, v2
	v_lshlrev_b16_e32 v4, 8, v2
	v_add_u16_e32 v4, 0xe000, v4
	v_lshrrev_b32_e32 v3, 16, v2
	v_lshrrev_b16_e32 v4, 8, v4
	v_bitop3_b16 v2, v2, v4, s26 bitop3:0xec
	v_lshlrev_b16_e32 v4, 8, v3
	v_add_u16_e32 v4, 0xe000, v4
	v_lshrrev_b16_e32 v4, 8, v4
	v_bitop3_b16 v3, v3, v4, s26 bitop3:0xec
	v_add_u16_e32 v2, 0xe000, v2
	v_add_u16_sdwa v3, v3, s25 dst_sel:WORD_1 dst_unused:UNUSED_PAD src0_sel:DWORD src1_sel:DWORD
	s_nop 0
	v_or_b32_e32 v2, v2, v3
	ds_write_b32 v73, v2
	s_cbranch_scc0 .LBB210_4
; %bb.6:                                ;   in Loop: Header=BB210_5 Depth=1
	s_lshl_b32 s28, s6, 3
	v_add_u32_e32 v2, s28, v15
	v_cmp_gt_i32_e64 s[2:3], s8, v2
	s_and_b64 s[18:19], s[0:1], s[2:3]
	s_and_saveexec_b64 s[2:3], s[18:19]
	s_cbranch_execz .LBB210_8
; %bb.7:                                ;   in Loop: Header=BB210_5 Depth=1
	v_add_u32_e32 v2, v58, v2
	v_mad_i64_i32 v[2:3], s[18:19], v2, 36, v[56:57]
	global_load_dword v2, v[2:3], off offset:4
	s_waitcnt vmcnt(0)
	ds_write_b32 v47, v2
.LBB210_8:                              ;   in Loop: Header=BB210_5 Depth=1
	s_or_b64 exec, exec, s[2:3]
	v_add_u32_e32 v122, s28, v11
	v_cmp_gt_i32_e64 s[2:3], s8, v122
	s_and_b64 s[18:19], s[12:13], s[2:3]
	s_and_saveexec_b64 s[2:3], s[18:19]
	s_cbranch_execz .LBB210_10
; %bb.9:                                ;   in Loop: Header=BB210_5 Depth=1
	v_add_u32_e32 v2, v58, v122
	v_mad_i64_i32 v[2:3], s[18:19], v2, 36, s[14:15]
	global_load_dword v2, v[2:3], off
	s_waitcnt vmcnt(0)
	v_cvt_f32_f16_e32 v2, v2
	ds_write_b32 v79, v2
.LBB210_10:                             ;   in Loop: Header=BB210_5 Depth=1
	s_or_b64 exec, exec, s[2:3]
	s_mov_b32 s19, -2
	s_mov_b32 s2, 0
	v_mov_b32_e32 v121, v77
	v_mov_b32_e32 v123, v17
	s_mov_b32 s3, 0
	s_waitcnt lgkmcnt(0)
	s_barrier
.LBB210_11:                             ;   Parent Loop BB210_5 Depth=1
                                        ; =>  This Inner Loop Header: Depth=2
	s_add_i32 s18, s19, 2
	s_lshr_b32 s31, s18, 4
	s_and_b32 s30, s18, 0x3ffffff8
	v_lshl_add_u32 v125, s30, 2, v55
	s_lshl_b32 s30, s31, 5
	s_addk_i32 s30, 0x4200
	v_add3_u32 v130, s30, v81, v83
	ds_read_b32 v124, v121
	ds_read_b128 v[6:9], v123
	ds_read_b128 v[2:5], v123 offset:16
	ds_read2_b32 v[126:127], v125 offset1:1
	ds_read2_b32 v[128:129], v130 offset1:1
	s_and_b32 s29, s3, -16
	s_add_i32 s29, s19, s29
	s_lshl_b32 s19, s31, 2
	s_waitcnt lgkmcnt(1)
	v_ashrrev_i32_e32 v119, s18, v126
	s_waitcnt lgkmcnt(0)
	v_ashrrev_i32_e32 v128, s2, v128
	v_lshlrev_b32_e32 v128, 2, v128
	v_bfe_u32 v126, v119, 24, 2
	v_and_b32_e32 v119, 0x3030303, v119
	v_and_b32_e32 v128, 0x4040404, v128
	v_sub_u16_e32 v131, v119, v128
	v_sub_u16_sdwa v132, v119, v128 dst_sel:BYTE_1 dst_unused:UNUSED_PAD src0_sel:BYTE_1 src1_sel:BYTE_1
	v_sub_u16_sdwa v119, v119, v128 dst_sel:DWORD dst_unused:UNUSED_PAD src0_sel:WORD_1 src1_sel:WORD_1
	v_sub_u16_sdwa v126, v126, v128 dst_sel:BYTE_1 dst_unused:UNUSED_PAD src0_sel:DWORD src1_sel:BYTE_3
	v_bitop3_b16 v131, v131, v132, s23 bitop3:0xec
	v_bitop3_b16 v119, v119, v126, s23 bitop3:0xec
	v_lshlrev_b32_e32 v119, 16, v119
	v_or_b32_sdwa v131, v131, v119 dst_sel:DWORD dst_unused:UNUSED_PAD src0_sel:WORD_0 src1_sel:DWORD
	v_ashrrev_i32_e32 v119, s18, v127
	v_ashrrev_i32_e32 v127, s2, v129
	v_lshlrev_b32_e32 v127, 2, v127
	v_bfe_u32 v126, v119, 24, 2
	v_and_b32_e32 v119, 0x3030303, v119
	v_and_b32_e32 v127, 0x4040404, v127
	v_sub_u16_e32 v128, v119, v127
	v_sub_u16_sdwa v129, v119, v127 dst_sel:BYTE_1 dst_unused:UNUSED_PAD src0_sel:BYTE_1 src1_sel:BYTE_1
	v_sub_u16_sdwa v119, v119, v127 dst_sel:DWORD dst_unused:UNUSED_PAD src0_sel:WORD_1 src1_sel:WORD_1
	v_sub_u16_sdwa v126, v126, v127 dst_sel:BYTE_1 dst_unused:UNUSED_PAD src0_sel:DWORD src1_sel:BYTE_3
	v_bitop3_b16 v128, v128, v129, s23 bitop3:0xec
	v_bitop3_b16 v119, v119, v126, s23 bitop3:0xec
	v_lshlrev_b32_e32 v119, 16, v119
	v_or_b32_sdwa v132, v128, v119 dst_sel:DWORD dst_unused:UNUSED_PAD src0_sel:WORD_0 src1_sel:DWORD
	ds_read2_b32 v[126:127], v125 offset0:2 offset1:3
	ds_read2_b32 v[128:129], v130 offset0:2 offset1:3
	s_addk_i32 s19, 0x7380
	s_add_i32 s3, s3, 2
	v_add_u32_e32 v123, 32, v123
	s_waitcnt lgkmcnt(1)
	v_ashrrev_i32_e32 v119, s18, v126
	s_waitcnt lgkmcnt(0)
	v_ashrrev_i32_e32 v128, s2, v128
	v_lshlrev_b32_e32 v128, 2, v128
	v_bfe_u32 v126, v119, 24, 2
	v_and_b32_e32 v119, 0x3030303, v119
	v_and_b32_e32 v128, 0x4040404, v128
	v_sub_u16_e32 v133, v119, v128
	v_sub_u16_sdwa v134, v119, v128 dst_sel:BYTE_1 dst_unused:UNUSED_PAD src0_sel:BYTE_1 src1_sel:BYTE_1
	v_sub_u16_sdwa v119, v119, v128 dst_sel:DWORD dst_unused:UNUSED_PAD src0_sel:WORD_1 src1_sel:WORD_1
	v_sub_u16_sdwa v126, v126, v128 dst_sel:BYTE_1 dst_unused:UNUSED_PAD src0_sel:DWORD src1_sel:BYTE_3
	v_bitop3_b16 v133, v133, v134, s23 bitop3:0xec
	v_bitop3_b16 v119, v119, v126, s23 bitop3:0xec
	v_lshlrev_b32_e32 v119, 16, v119
	v_or_b32_sdwa v133, v133, v119 dst_sel:DWORD dst_unused:UNUSED_PAD src0_sel:WORD_0 src1_sel:DWORD
	v_ashrrev_i32_e32 v119, s18, v127
	v_ashrrev_i32_e32 v127, s2, v129
	v_lshlrev_b32_e32 v127, 2, v127
	v_bfe_u32 v126, v119, 24, 2
	v_and_b32_e32 v119, 0x3030303, v119
	v_and_b32_e32 v127, 0x4040404, v127
	v_sub_u16_e32 v128, v119, v127
	v_sub_u16_sdwa v129, v119, v127 dst_sel:BYTE_1 dst_unused:UNUSED_PAD src0_sel:BYTE_1 src1_sel:BYTE_1
	v_sub_u16_sdwa v119, v119, v127 dst_sel:DWORD dst_unused:UNUSED_PAD src0_sel:WORD_1 src1_sel:WORD_1
	v_sub_u16_sdwa v126, v126, v127 dst_sel:BYTE_1 dst_unused:UNUSED_PAD src0_sel:DWORD src1_sel:BYTE_3
	v_bitop3_b16 v128, v128, v129, s23 bitop3:0xec
	v_bitop3_b16 v119, v119, v126, s23 bitop3:0xec
	v_lshlrev_b32_e32 v119, 16, v119
	v_or_b32_sdwa v134, v128, v119 dst_sel:DWORD dst_unused:UNUSED_PAD src0_sel:WORD_0 src1_sel:DWORD
	ds_read2_b32 v[126:127], v125 offset0:4 offset1:5
	ds_read2_b32 v[128:129], v130 offset0:4 offset1:5
	v_add_u32_e32 v121, 4, v121
	s_waitcnt lgkmcnt(1)
	v_ashrrev_i32_e32 v119, s18, v126
	s_waitcnt lgkmcnt(0)
	v_ashrrev_i32_e32 v128, s2, v128
	v_lshlrev_b32_e32 v128, 2, v128
	v_bfe_u32 v126, v119, 24, 2
	v_and_b32_e32 v119, 0x3030303, v119
	v_and_b32_e32 v128, 0x4040404, v128
	v_sub_u16_e32 v135, v119, v128
	v_sub_u16_sdwa v136, v119, v128 dst_sel:BYTE_1 dst_unused:UNUSED_PAD src0_sel:BYTE_1 src1_sel:BYTE_1
	v_sub_u16_sdwa v119, v119, v128 dst_sel:DWORD dst_unused:UNUSED_PAD src0_sel:WORD_1 src1_sel:WORD_1
	v_sub_u16_sdwa v126, v126, v128 dst_sel:BYTE_1 dst_unused:UNUSED_PAD src0_sel:DWORD src1_sel:BYTE_3
	v_bitop3_b16 v135, v135, v136, s23 bitop3:0xec
	v_bitop3_b16 v119, v119, v126, s23 bitop3:0xec
	v_lshlrev_b32_e32 v119, 16, v119
	v_or_b32_sdwa v135, v135, v119 dst_sel:DWORD dst_unused:UNUSED_PAD src0_sel:WORD_0 src1_sel:DWORD
	v_ashrrev_i32_e32 v119, s18, v127
	v_ashrrev_i32_e32 v127, s2, v129
	v_lshlrev_b32_e32 v127, 2, v127
	v_bfe_u32 v126, v119, 24, 2
	v_and_b32_e32 v119, 0x3030303, v119
	v_and_b32_e32 v127, 0x4040404, v127
	v_sub_u16_e32 v128, v119, v127
	v_sub_u16_sdwa v129, v119, v127 dst_sel:BYTE_1 dst_unused:UNUSED_PAD src0_sel:BYTE_1 src1_sel:BYTE_1
	v_sub_u16_sdwa v119, v119, v127 dst_sel:DWORD dst_unused:UNUSED_PAD src0_sel:WORD_1 src1_sel:WORD_1
	v_sub_u16_sdwa v126, v126, v127 dst_sel:BYTE_1 dst_unused:UNUSED_PAD src0_sel:DWORD src1_sel:BYTE_3
	v_bitop3_b16 v128, v128, v129, s23 bitop3:0xec
	v_bitop3_b16 v119, v119, v126, s23 bitop3:0xec
	v_lshlrev_b32_e32 v119, 16, v119
	v_or_b32_sdwa v136, v128, v119 dst_sel:DWORD dst_unused:UNUSED_PAD src0_sel:WORD_0 src1_sel:DWORD
	ds_read2_b32 v[126:127], v125 offset0:6 offset1:7
	ds_read2_b32 v[128:129], v130 offset0:6 offset1:7
	s_waitcnt lgkmcnt(1)
	v_ashrrev_i32_e32 v119, s18, v126
	s_waitcnt lgkmcnt(0)
	v_ashrrev_i32_e32 v128, s2, v128
	v_lshlrev_b32_e32 v128, 2, v128
	v_bfe_u32 v126, v119, 24, 2
	v_and_b32_e32 v119, 0x3030303, v119
	v_and_b32_e32 v128, 0x4040404, v128
	v_sub_u16_e32 v130, v119, v128
	v_sub_u16_sdwa v137, v119, v128 dst_sel:BYTE_1 dst_unused:UNUSED_PAD src0_sel:BYTE_1 src1_sel:BYTE_1
	v_sub_u16_sdwa v119, v119, v128 dst_sel:DWORD dst_unused:UNUSED_PAD src0_sel:WORD_1 src1_sel:WORD_1
	v_sub_u16_sdwa v126, v126, v128 dst_sel:BYTE_1 dst_unused:UNUSED_PAD src0_sel:DWORD src1_sel:BYTE_3
	v_bitop3_b16 v130, v130, v137, s23 bitop3:0xec
	v_bitop3_b16 v119, v119, v126, s23 bitop3:0xec
	v_lshlrev_b32_e32 v119, 16, v119
	v_or_b32_sdwa v128, v130, v119 dst_sel:DWORD dst_unused:UNUSED_PAD src0_sel:WORD_0 src1_sel:DWORD
	v_ashrrev_i32_e32 v119, s18, v127
	v_ashrrev_i32_e32 v127, s2, v129
	v_lshlrev_b32_e32 v127, 2, v127
	v_bfe_u32 v126, v119, 24, 2
	v_and_b32_e32 v119, 0x3030303, v119
	v_and_b32_e32 v127, 0x4040404, v127
	v_sub_u16_e32 v129, v119, v127
	v_sub_u16_sdwa v130, v119, v127 dst_sel:BYTE_1 dst_unused:UNUSED_PAD src0_sel:BYTE_1 src1_sel:BYTE_1
	v_sub_u16_sdwa v119, v119, v127 dst_sel:DWORD dst_unused:UNUSED_PAD src0_sel:WORD_1 src1_sel:WORD_1
	v_bitop3_b16 v129, v129, v130, s23 bitop3:0xec
	v_mov_b32_e32 v130, 0
	v_dot4c_i32_i8_e32 v130, v131, v6
	v_dot4c_i32_i8_e32 v130, v132, v7
	;; [unrolled: 1-line block ×3, first 2 shown]
	v_sub_u16_sdwa v126, v126, v127 dst_sel:BYTE_1 dst_unused:UNUSED_PAD src0_sel:DWORD src1_sel:BYTE_3
	v_dot4c_i32_i8_e32 v130, v134, v9
	v_mov_b32_e32 v134, 0
	v_bitop3_b16 v119, v119, v126, s23 bitop3:0xec
	v_dot4c_i32_i8_e32 v134, v135, v2
	v_lshlrev_b32_e32 v119, 16, v119
	v_dot4c_i32_i8_e32 v134, v136, v3
	v_or_b32_sdwa v127, v129, v119 dst_sel:DWORD dst_unused:UNUSED_PAD src0_sel:WORD_0 src1_sel:DWORD
	v_add_u32_e32 v129, s29, v117
	v_dot4c_i32_i8_e32 v134, v128, v4
	v_dot4c_i32_i8_e32 v134, v127, v5
	ds_read_u16 v127, v129 offset:2
	v_lshlrev_b32_e32 v119, 2, v10
	v_add3_u32 v126, s19, v119, v87
	v_add3_u32 v135, s30, v89, v91
	ds_read_b32 v126, v126
	ds_read2_b32 v[132:133], v135 offset1:1
	s_waitcnt lgkmcnt(2)
	v_lshrrev_b16_e32 v128, 8, v127
	v_bfe_i32 v127, v127, 0, 8
	v_bfe_i32 v129, v128, 0, 8
	v_mul_lo_u32 v128, v130, v127
	v_add_u32_e32 v127, 0x1080, v125
	ds_read2_b32 v[130:131], v127 offset1:1
	s_waitcnt lgkmcnt(1)
	v_ashrrev_i32_e32 v132, s2, v132
	v_lshlrev_b32_e32 v132, 2, v132
	v_and_b32_e32 v132, 0x4040404, v132
	v_mad_u64_u32 v[128:129], s[34:35], v134, v129, v[128:129]
	s_waitcnt lgkmcnt(0)
	v_ashrrev_i32_e32 v127, s18, v130
	v_bfe_u32 v130, v127, 24, 2
	v_and_b32_e32 v127, 0x3030303, v127
	v_sub_u16_e32 v136, v127, v132
	v_sub_u16_sdwa v137, v127, v132 dst_sel:BYTE_1 dst_unused:UNUSED_PAD src0_sel:BYTE_1 src1_sel:BYTE_1
	v_sub_u16_sdwa v127, v127, v132 dst_sel:DWORD dst_unused:UNUSED_PAD src0_sel:WORD_1 src1_sel:WORD_1
	v_sub_u16_sdwa v130, v130, v132 dst_sel:BYTE_1 dst_unused:UNUSED_PAD src0_sel:DWORD src1_sel:BYTE_3
	v_bitop3_b16 v136, v136, v137, s23 bitop3:0xec
	v_bitop3_b16 v127, v127, v130, s23 bitop3:0xec
	v_lshlrev_b32_e32 v127, 16, v127
	v_or_b32_sdwa v136, v136, v127 dst_sel:DWORD dst_unused:UNUSED_PAD src0_sel:WORD_0 src1_sel:DWORD
	v_ashrrev_i32_e32 v127, s18, v131
	v_ashrrev_i32_e32 v131, s2, v133
	v_lshlrev_b32_e32 v131, 2, v131
	v_bfe_u32 v130, v127, 24, 2
	v_and_b32_e32 v127, 0x3030303, v127
	v_and_b32_e32 v131, 0x4040404, v131
	v_sub_u16_e32 v132, v127, v131
	v_sub_u16_sdwa v133, v127, v131 dst_sel:BYTE_1 dst_unused:UNUSED_PAD src0_sel:BYTE_1 src1_sel:BYTE_1
	v_sub_u16_sdwa v127, v127, v131 dst_sel:DWORD dst_unused:UNUSED_PAD src0_sel:WORD_1 src1_sel:WORD_1
	v_sub_u16_sdwa v130, v130, v131 dst_sel:BYTE_1 dst_unused:UNUSED_PAD src0_sel:DWORD src1_sel:BYTE_3
	v_bitop3_b16 v132, v132, v133, s23 bitop3:0xec
	v_bitop3_b16 v127, v127, v130, s23 bitop3:0xec
	v_lshlrev_b32_e32 v127, 16, v127
	v_or_b32_sdwa v137, v132, v127 dst_sel:DWORD dst_unused:UNUSED_PAD src0_sel:WORD_0 src1_sel:DWORD
	v_add_u32_e32 v127, 0x1088, v125
	ds_read2_b32 v[130:131], v127 offset1:1
	ds_read2_b32 v[132:133], v135 offset0:2 offset1:3
	v_cvt_f32_i32_e32 v128, v128
	s_waitcnt lgkmcnt(1)
	v_ashrrev_i32_e32 v127, s18, v130
	s_waitcnt lgkmcnt(0)
	v_ashrrev_i32_e32 v132, s2, v132
	v_lshlrev_b32_e32 v132, 2, v132
	v_bfe_u32 v130, v127, 24, 2
	v_and_b32_e32 v127, 0x3030303, v127
	v_and_b32_e32 v132, 0x4040404, v132
	v_sub_u16_e32 v138, v127, v132
	v_sub_u16_sdwa v139, v127, v132 dst_sel:BYTE_1 dst_unused:UNUSED_PAD src0_sel:BYTE_1 src1_sel:BYTE_1
	v_sub_u16_sdwa v127, v127, v132 dst_sel:DWORD dst_unused:UNUSED_PAD src0_sel:WORD_1 src1_sel:WORD_1
	v_sub_u16_sdwa v130, v130, v132 dst_sel:BYTE_1 dst_unused:UNUSED_PAD src0_sel:DWORD src1_sel:BYTE_3
	v_bitop3_b16 v138, v138, v139, s23 bitop3:0xec
	v_bitop3_b16 v127, v127, v130, s23 bitop3:0xec
	v_lshlrev_b32_e32 v127, 16, v127
	v_or_b32_sdwa v138, v138, v127 dst_sel:DWORD dst_unused:UNUSED_PAD src0_sel:WORD_0 src1_sel:DWORD
	v_ashrrev_i32_e32 v127, s18, v131
	v_ashrrev_i32_e32 v131, s2, v133
	v_lshlrev_b32_e32 v131, 2, v131
	v_bfe_u32 v130, v127, 24, 2
	v_and_b32_e32 v127, 0x3030303, v127
	v_and_b32_e32 v131, 0x4040404, v131
	v_sub_u16_e32 v132, v127, v131
	v_sub_u16_sdwa v133, v127, v131 dst_sel:BYTE_1 dst_unused:UNUSED_PAD src0_sel:BYTE_1 src1_sel:BYTE_1
	v_sub_u16_sdwa v127, v127, v131 dst_sel:DWORD dst_unused:UNUSED_PAD src0_sel:WORD_1 src1_sel:WORD_1
	v_sub_u16_sdwa v130, v130, v131 dst_sel:BYTE_1 dst_unused:UNUSED_PAD src0_sel:DWORD src1_sel:BYTE_3
	v_bitop3_b16 v132, v132, v133, s23 bitop3:0xec
	v_bitop3_b16 v127, v127, v130, s23 bitop3:0xec
	v_lshlrev_b32_e32 v127, 16, v127
	v_or_b32_sdwa v139, v132, v127 dst_sel:DWORD dst_unused:UNUSED_PAD src0_sel:WORD_0 src1_sel:DWORD
	v_add_u32_e32 v127, 0x1090, v125
	ds_read2_b32 v[130:131], v127 offset1:1
	ds_read2_b32 v[132:133], v135 offset0:4 offset1:5
	s_waitcnt lgkmcnt(1)
	v_ashrrev_i32_e32 v127, s18, v130
	s_waitcnt lgkmcnt(0)
	v_ashrrev_i32_e32 v132, s2, v132
	v_lshlrev_b32_e32 v132, 2, v132
	v_bfe_u32 v130, v127, 24, 2
	v_and_b32_e32 v127, 0x3030303, v127
	v_and_b32_e32 v132, 0x4040404, v132
	v_sub_u16_e32 v140, v127, v132
	v_sub_u16_sdwa v141, v127, v132 dst_sel:BYTE_1 dst_unused:UNUSED_PAD src0_sel:BYTE_1 src1_sel:BYTE_1
	v_sub_u16_sdwa v127, v127, v132 dst_sel:DWORD dst_unused:UNUSED_PAD src0_sel:WORD_1 src1_sel:WORD_1
	v_sub_u16_sdwa v130, v130, v132 dst_sel:BYTE_1 dst_unused:UNUSED_PAD src0_sel:DWORD src1_sel:BYTE_3
	v_bitop3_b16 v140, v140, v141, s23 bitop3:0xec
	v_bitop3_b16 v127, v127, v130, s23 bitop3:0xec
	v_lshlrev_b32_e32 v127, 16, v127
	v_or_b32_sdwa v140, v140, v127 dst_sel:DWORD dst_unused:UNUSED_PAD src0_sel:WORD_0 src1_sel:DWORD
	v_ashrrev_i32_e32 v127, s18, v131
	v_ashrrev_i32_e32 v131, s2, v133
	v_lshlrev_b32_e32 v131, 2, v131
	v_bfe_u32 v130, v127, 24, 2
	v_and_b32_e32 v127, 0x3030303, v127
	v_and_b32_e32 v131, 0x4040404, v131
	v_sub_u16_e32 v132, v127, v131
	v_sub_u16_sdwa v133, v127, v131 dst_sel:BYTE_1 dst_unused:UNUSED_PAD src0_sel:BYTE_1 src1_sel:BYTE_1
	v_sub_u16_sdwa v127, v127, v131 dst_sel:DWORD dst_unused:UNUSED_PAD src0_sel:WORD_1 src1_sel:WORD_1
	v_sub_u16_sdwa v130, v130, v131 dst_sel:BYTE_1 dst_unused:UNUSED_PAD src0_sel:DWORD src1_sel:BYTE_3
	v_bitop3_b16 v132, v132, v133, s23 bitop3:0xec
	v_bitop3_b16 v127, v127, v130, s23 bitop3:0xec
	v_lshlrev_b32_e32 v127, 16, v127
	v_or_b32_sdwa v141, v132, v127 dst_sel:DWORD dst_unused:UNUSED_PAD src0_sel:WORD_0 src1_sel:DWORD
	v_add_u32_e32 v127, 0x1098, v125
	ds_read2_b32 v[130:131], v127 offset1:1
	ds_read2_b32 v[132:133], v135 offset0:6 offset1:7
	s_waitcnt lgkmcnt(1)
	v_ashrrev_i32_e32 v127, s18, v130
	s_waitcnt lgkmcnt(0)
	v_ashrrev_i32_e32 v132, s2, v132
	v_lshlrev_b32_e32 v132, 2, v132
	v_bfe_u32 v130, v127, 24, 2
	v_and_b32_e32 v127, 0x3030303, v127
	v_and_b32_e32 v132, 0x4040404, v132
	v_sub_u16_e32 v135, v127, v132
	v_sub_u16_sdwa v142, v127, v132 dst_sel:BYTE_1 dst_unused:UNUSED_PAD src0_sel:BYTE_1 src1_sel:BYTE_1
	v_sub_u16_sdwa v127, v127, v132 dst_sel:DWORD dst_unused:UNUSED_PAD src0_sel:WORD_1 src1_sel:WORD_1
	v_sub_u16_sdwa v130, v130, v132 dst_sel:BYTE_1 dst_unused:UNUSED_PAD src0_sel:DWORD src1_sel:BYTE_3
	v_bitop3_b16 v135, v135, v142, s23 bitop3:0xec
	v_bitop3_b16 v127, v127, v130, s23 bitop3:0xec
	v_lshlrev_b32_e32 v127, 16, v127
	v_or_b32_sdwa v132, v135, v127 dst_sel:DWORD dst_unused:UNUSED_PAD src0_sel:WORD_0 src1_sel:DWORD
	v_ashrrev_i32_e32 v127, s18, v131
	v_ashrrev_i32_e32 v131, s2, v133
	v_lshlrev_b32_e32 v131, 2, v131
	v_bfe_u32 v130, v127, 24, 2
	v_and_b32_e32 v127, 0x3030303, v127
	v_and_b32_e32 v131, 0x4040404, v131
	v_sub_u16_e32 v133, v127, v131
	v_sub_u16_sdwa v135, v127, v131 dst_sel:BYTE_1 dst_unused:UNUSED_PAD src0_sel:BYTE_1 src1_sel:BYTE_1
	v_sub_u16_sdwa v127, v127, v131 dst_sel:DWORD dst_unused:UNUSED_PAD src0_sel:WORD_1 src1_sel:WORD_1
	v_sub_u16_sdwa v130, v130, v131 dst_sel:BYTE_1 dst_unused:UNUSED_PAD src0_sel:DWORD src1_sel:BYTE_3
	v_bitop3_b16 v133, v133, v135, s23 bitop3:0xec
	v_bitop3_b16 v127, v127, v130, s23 bitop3:0xec
	v_lshlrev_b32_e32 v127, 16, v127
	v_or_b32_sdwa v131, v133, v127 dst_sel:DWORD dst_unused:UNUSED_PAD src0_sel:WORD_0 src1_sel:DWORD
	v_add_u32_e32 v130, s29, v23
	v_add3_u32 v127, s19, v93, v95
	ds_read_b32 v127, v127
	ds_read_u16 v130, v130 offset:26370
	v_mov_b32_e32 v133, 0
	v_dot4c_i32_i8_e32 v133, v136, v6
	v_dot4c_i32_i8_e32 v133, v137, v7
	;; [unrolled: 1-line block ×4, first 2 shown]
	s_waitcnt lgkmcnt(0)
	v_lshrrev_b16_e32 v135, 8, v130
	v_bfe_i32 v130, v130, 0, 8
	v_pk_mul_f32 v[126:127], v[124:125], v[126:127] op_sel_hi:[0,1]
	v_mul_lo_u32 v130, v133, v130
	v_mov_b32_e32 v133, 0
	v_dot4c_i32_i8_e32 v133, v140, v2
	v_dot4c_i32_i8_e32 v133, v141, v3
	;; [unrolled: 1-line block ×4, first 2 shown]
	v_bfe_i32 v131, v135, 0, 8
	v_add3_u32 v136, s30, v97, v99
	v_add3_u32 v140, s30, v105, v107
	v_mad_u64_u32 v[130:131], s[34:35], v133, v131, v[130:131]
	v_cvt_f32_i32_e32 v129, v130
	ds_read2_b32 v[130:131], v136 offset1:1
	v_pk_fma_f32 v[42:43], v[126:127], v[128:129], v[42:43]
	v_add_u32_e32 v126, 0x2100, v125
	ds_read2_b32 v[128:129], v126 offset1:1
	s_waitcnt lgkmcnt(0)
	v_ashrrev_i32_e32 v126, s18, v128
	v_ashrrev_i32_e32 v128, s2, v130
	v_lshlrev_b32_e32 v128, 2, v128
	v_bfe_u32 v127, v126, 24, 2
	v_and_b32_e32 v126, 0x3030303, v126
	v_and_b32_e32 v128, 0x4040404, v128
	v_sub_u16_e32 v130, v126, v128
	v_sub_u16_sdwa v132, v126, v128 dst_sel:BYTE_1 dst_unused:UNUSED_PAD src0_sel:BYTE_1 src1_sel:BYTE_1
	v_sub_u16_sdwa v126, v126, v128 dst_sel:DWORD dst_unused:UNUSED_PAD src0_sel:WORD_1 src1_sel:WORD_1
	v_sub_u16_sdwa v127, v127, v128 dst_sel:BYTE_1 dst_unused:UNUSED_PAD src0_sel:DWORD src1_sel:BYTE_3
	v_bitop3_b16 v130, v130, v132, s23 bitop3:0xec
	v_bitop3_b16 v126, v126, v127, s23 bitop3:0xec
	v_lshlrev_b32_e32 v126, 16, v126
	v_or_b32_sdwa v127, v130, v126 dst_sel:DWORD dst_unused:UNUSED_PAD src0_sel:WORD_0 src1_sel:DWORD
	v_ashrrev_i32_e32 v126, s18, v129
	v_ashrrev_i32_e32 v129, s2, v131
	v_lshlrev_b32_e32 v129, 2, v129
	v_bfe_u32 v128, v126, 24, 2
	v_and_b32_e32 v126, 0x3030303, v126
	v_and_b32_e32 v129, 0x4040404, v129
	v_sub_u16_e32 v130, v126, v129
	v_sub_u16_sdwa v131, v126, v129 dst_sel:BYTE_1 dst_unused:UNUSED_PAD src0_sel:BYTE_1 src1_sel:BYTE_1
	v_sub_u16_sdwa v126, v126, v129 dst_sel:DWORD dst_unused:UNUSED_PAD src0_sel:WORD_1 src1_sel:WORD_1
	v_sub_u16_sdwa v128, v128, v129 dst_sel:BYTE_1 dst_unused:UNUSED_PAD src0_sel:DWORD src1_sel:BYTE_3
	v_bitop3_b16 v130, v130, v131, s23 bitop3:0xec
	v_bitop3_b16 v126, v126, v128, s23 bitop3:0xec
	v_lshlrev_b32_e32 v126, 16, v126
	v_or_b32_sdwa v128, v130, v126 dst_sel:DWORD dst_unused:UNUSED_PAD src0_sel:WORD_0 src1_sel:DWORD
	v_add_u32_e32 v126, 0x2108, v125
	ds_read2_b32 v[130:131], v126 offset1:1
	ds_read2_b32 v[132:133], v136 offset0:2 offset1:3
	s_waitcnt lgkmcnt(1)
	v_ashrrev_i32_e32 v126, s18, v130
	s_waitcnt lgkmcnt(0)
	v_ashrrev_i32_e32 v130, s2, v132
	v_lshlrev_b32_e32 v130, 2, v130
	v_bfe_u32 v129, v126, 24, 2
	v_and_b32_e32 v126, 0x3030303, v126
	v_and_b32_e32 v130, 0x4040404, v130
	v_sub_u16_e32 v132, v126, v130
	v_sub_u16_sdwa v134, v126, v130 dst_sel:BYTE_1 dst_unused:UNUSED_PAD src0_sel:BYTE_1 src1_sel:BYTE_1
	v_sub_u16_sdwa v126, v126, v130 dst_sel:DWORD dst_unused:UNUSED_PAD src0_sel:WORD_1 src1_sel:WORD_1
	v_sub_u16_sdwa v129, v129, v130 dst_sel:BYTE_1 dst_unused:UNUSED_PAD src0_sel:DWORD src1_sel:BYTE_3
	v_bitop3_b16 v132, v132, v134, s23 bitop3:0xec
	v_bitop3_b16 v126, v126, v129, s23 bitop3:0xec
	v_lshlrev_b32_e32 v126, 16, v126
	v_or_b32_sdwa v129, v132, v126 dst_sel:DWORD dst_unused:UNUSED_PAD src0_sel:WORD_0 src1_sel:DWORD
	v_ashrrev_i32_e32 v126, s18, v131
	v_ashrrev_i32_e32 v131, s2, v133
	v_lshlrev_b32_e32 v131, 2, v131
	v_bfe_u32 v130, v126, 24, 2
	v_and_b32_e32 v126, 0x3030303, v126
	v_and_b32_e32 v131, 0x4040404, v131
	v_sub_u16_e32 v132, v126, v131
	v_sub_u16_sdwa v133, v126, v131 dst_sel:BYTE_1 dst_unused:UNUSED_PAD src0_sel:BYTE_1 src1_sel:BYTE_1
	v_sub_u16_sdwa v126, v126, v131 dst_sel:DWORD dst_unused:UNUSED_PAD src0_sel:WORD_1 src1_sel:WORD_1
	v_sub_u16_sdwa v130, v130, v131 dst_sel:BYTE_1 dst_unused:UNUSED_PAD src0_sel:DWORD src1_sel:BYTE_3
	v_bitop3_b16 v132, v132, v133, s23 bitop3:0xec
	v_bitop3_b16 v126, v126, v130, s23 bitop3:0xec
	v_lshlrev_b32_e32 v126, 16, v126
	v_or_b32_sdwa v130, v132, v126 dst_sel:DWORD dst_unused:UNUSED_PAD src0_sel:WORD_0 src1_sel:DWORD
	v_add_u32_e32 v126, 0x2110, v125
	ds_read2_b32 v[132:133], v126 offset1:1
	ds_read2_b32 v[134:135], v136 offset0:4 offset1:5
	s_waitcnt lgkmcnt(1)
	v_ashrrev_i32_e32 v126, s18, v132
	s_waitcnt lgkmcnt(0)
	;; [unrolled: 33-line block ×3, first 2 shown]
	v_ashrrev_i32_e32 v134, s2, v134
	v_lshlrev_b32_e32 v134, 2, v134
	v_bfe_u32 v132, v126, 24, 2
	v_and_b32_e32 v126, 0x3030303, v126
	v_and_b32_e32 v134, 0x4040404, v134
	v_sub_u16_e32 v136, v126, v134
	v_sub_u16_sdwa v138, v126, v134 dst_sel:BYTE_1 dst_unused:UNUSED_PAD src0_sel:BYTE_1 src1_sel:BYTE_1
	v_sub_u16_sdwa v126, v126, v134 dst_sel:DWORD dst_unused:UNUSED_PAD src0_sel:WORD_1 src1_sel:WORD_1
	v_sub_u16_sdwa v132, v132, v134 dst_sel:BYTE_1 dst_unused:UNUSED_PAD src0_sel:DWORD src1_sel:BYTE_3
	v_bitop3_b16 v136, v136, v138, s23 bitop3:0xec
	v_bitop3_b16 v126, v126, v132, s23 bitop3:0xec
	v_lshlrev_b32_e32 v126, 16, v126
	v_ashrrev_i32_e32 v134, s2, v135
	v_or_b32_sdwa v132, v136, v126 dst_sel:DWORD dst_unused:UNUSED_PAD src0_sel:WORD_0 src1_sel:DWORD
	v_ashrrev_i32_e32 v126, s18, v133
	v_lshlrev_b32_e32 v134, 2, v134
	v_bfe_u32 v133, v126, 24, 2
	v_and_b32_e32 v126, 0x3030303, v126
	v_and_b32_e32 v134, 0x4040404, v134
	v_sub_u16_e32 v135, v126, v134
	v_sub_u16_sdwa v136, v126, v134 dst_sel:BYTE_1 dst_unused:UNUSED_PAD src0_sel:BYTE_1 src1_sel:BYTE_1
	v_sub_u16_sdwa v126, v126, v134 dst_sel:DWORD dst_unused:UNUSED_PAD src0_sel:WORD_1 src1_sel:WORD_1
	v_sub_u16_sdwa v133, v133, v134 dst_sel:BYTE_1 dst_unused:UNUSED_PAD src0_sel:DWORD src1_sel:BYTE_3
	v_bitop3_b16 v135, v135, v136, s23 bitop3:0xec
	v_bitop3_b16 v126, v126, v133, s23 bitop3:0xec
	v_lshlrev_b32_e32 v126, 16, v126
	v_or_b32_sdwa v133, v135, v126 dst_sel:DWORD dst_unused:UNUSED_PAD src0_sel:WORD_0 src1_sel:DWORD
	v_add_u32_e32 v134, s29, v115
	v_mov_b32_e32 v135, 0
	v_dot4c_i32_i8_e32 v135, v127, v6
	ds_read_u16 v127, v134 offset:2
	v_dot4c_i32_i8_e32 v135, v128, v7
	v_dot4c_i32_i8_e32 v135, v129, v8
	v_mov_b32_e32 v129, 0
	v_dot4c_i32_i8_e32 v129, v131, v2
	v_dot4c_i32_i8_e32 v135, v130, v9
	;; [unrolled: 1-line block ×3, first 2 shown]
	s_waitcnt lgkmcnt(0)
	v_lshrrev_b16_e32 v128, 8, v127
	v_bfe_i32 v127, v127, 0, 8
	v_add3_u32 v126, s19, v101, v103
	v_dot4c_i32_i8_e32 v129, v132, v4
	v_bfe_i32 v130, v128, 0, 8
	v_mul_lo_u32 v128, v135, v127
	v_add_u32_e32 v127, 0x3180, v125
	ds_read_b32 v126, v126
	ds_read2_b32 v[134:135], v140 offset1:1
	v_dot4c_i32_i8_e32 v129, v133, v5
	ds_read2_b32 v[132:133], v127 offset1:1
	s_waitcnt lgkmcnt(0)
	v_ashrrev_i32_e32 v127, s18, v132
	v_ashrrev_i32_e32 v132, s2, v134
	v_lshlrev_b32_e32 v132, 2, v132
	v_bfe_u32 v131, v127, 24, 2
	v_and_b32_e32 v127, 0x3030303, v127
	v_and_b32_e32 v132, 0x4040404, v132
	v_sub_u16_e32 v134, v127, v132
	v_sub_u16_sdwa v136, v127, v132 dst_sel:BYTE_1 dst_unused:UNUSED_PAD src0_sel:BYTE_1 src1_sel:BYTE_1
	v_sub_u16_sdwa v127, v127, v132 dst_sel:DWORD dst_unused:UNUSED_PAD src0_sel:WORD_1 src1_sel:WORD_1
	v_sub_u16_sdwa v131, v131, v132 dst_sel:BYTE_1 dst_unused:UNUSED_PAD src0_sel:DWORD src1_sel:BYTE_3
	v_bitop3_b16 v134, v134, v136, s23 bitop3:0xec
	v_bitop3_b16 v127, v127, v131, s23 bitop3:0xec
	v_lshlrev_b32_e32 v127, 16, v127
	v_or_b32_sdwa v131, v134, v127 dst_sel:DWORD dst_unused:UNUSED_PAD src0_sel:WORD_0 src1_sel:DWORD
	v_ashrrev_i32_e32 v127, s18, v133
	v_ashrrev_i32_e32 v133, s2, v135
	v_lshlrev_b32_e32 v133, 2, v133
	v_bfe_u32 v132, v127, 24, 2
	v_and_b32_e32 v127, 0x3030303, v127
	v_and_b32_e32 v133, 0x4040404, v133
	v_sub_u16_e32 v134, v127, v133
	v_sub_u16_sdwa v135, v127, v133 dst_sel:BYTE_1 dst_unused:UNUSED_PAD src0_sel:BYTE_1 src1_sel:BYTE_1
	v_sub_u16_sdwa v127, v127, v133 dst_sel:DWORD dst_unused:UNUSED_PAD src0_sel:WORD_1 src1_sel:WORD_1
	v_sub_u16_sdwa v132, v132, v133 dst_sel:BYTE_1 dst_unused:UNUSED_PAD src0_sel:DWORD src1_sel:BYTE_3
	v_bitop3_b16 v134, v134, v135, s23 bitop3:0xec
	v_bitop3_b16 v127, v127, v132, s23 bitop3:0xec
	v_lshlrev_b32_e32 v127, 16, v127
	v_or_b32_sdwa v132, v134, v127 dst_sel:DWORD dst_unused:UNUSED_PAD src0_sel:WORD_0 src1_sel:DWORD
	v_add_u32_e32 v127, 0x3188, v125
	ds_read2_b32 v[134:135], v127 offset1:1
	ds_read2_b32 v[136:137], v140 offset0:2 offset1:3
	s_waitcnt lgkmcnt(1)
	v_ashrrev_i32_e32 v127, s18, v134
	s_waitcnt lgkmcnt(0)
	v_ashrrev_i32_e32 v134, s2, v136
	v_lshlrev_b32_e32 v134, 2, v134
	v_bfe_u32 v133, v127, 24, 2
	v_and_b32_e32 v127, 0x3030303, v127
	v_and_b32_e32 v134, 0x4040404, v134
	v_sub_u16_e32 v136, v127, v134
	v_sub_u16_sdwa v138, v127, v134 dst_sel:BYTE_1 dst_unused:UNUSED_PAD src0_sel:BYTE_1 src1_sel:BYTE_1
	v_sub_u16_sdwa v127, v127, v134 dst_sel:DWORD dst_unused:UNUSED_PAD src0_sel:WORD_1 src1_sel:WORD_1
	v_sub_u16_sdwa v133, v133, v134 dst_sel:BYTE_1 dst_unused:UNUSED_PAD src0_sel:DWORD src1_sel:BYTE_3
	v_bitop3_b16 v136, v136, v138, s23 bitop3:0xec
	v_bitop3_b16 v127, v127, v133, s23 bitop3:0xec
	v_lshlrev_b32_e32 v127, 16, v127
	v_or_b32_sdwa v133, v136, v127 dst_sel:DWORD dst_unused:UNUSED_PAD src0_sel:WORD_0 src1_sel:DWORD
	v_ashrrev_i32_e32 v127, s18, v135
	v_ashrrev_i32_e32 v135, s2, v137
	v_lshlrev_b32_e32 v135, 2, v135
	v_bfe_u32 v134, v127, 24, 2
	v_and_b32_e32 v127, 0x3030303, v127
	v_and_b32_e32 v135, 0x4040404, v135
	v_sub_u16_e32 v136, v127, v135
	v_sub_u16_sdwa v137, v127, v135 dst_sel:BYTE_1 dst_unused:UNUSED_PAD src0_sel:BYTE_1 src1_sel:BYTE_1
	v_sub_u16_sdwa v127, v127, v135 dst_sel:DWORD dst_unused:UNUSED_PAD src0_sel:WORD_1 src1_sel:WORD_1
	v_sub_u16_sdwa v134, v134, v135 dst_sel:BYTE_1 dst_unused:UNUSED_PAD src0_sel:DWORD src1_sel:BYTE_3
	v_bitop3_b16 v136, v136, v137, s23 bitop3:0xec
	v_bitop3_b16 v127, v127, v134, s23 bitop3:0xec
	v_lshlrev_b32_e32 v127, 16, v127
	v_or_b32_sdwa v134, v136, v127 dst_sel:DWORD dst_unused:UNUSED_PAD src0_sel:WORD_0 src1_sel:DWORD
	v_add_u32_e32 v127, 0x3190, v125
	ds_read2_b32 v[136:137], v127 offset1:1
	ds_read2_b32 v[138:139], v140 offset0:4 offset1:5
	v_add_u32_e32 v125, 0x3198, v125
	s_waitcnt lgkmcnt(1)
	v_ashrrev_i32_e32 v127, s18, v136
	s_waitcnt lgkmcnt(0)
	v_ashrrev_i32_e32 v136, s2, v138
	v_lshlrev_b32_e32 v136, 2, v136
	v_bfe_u32 v135, v127, 24, 2
	v_and_b32_e32 v127, 0x3030303, v127
	v_and_b32_e32 v136, 0x4040404, v136
	v_sub_u16_e32 v138, v127, v136
	v_sub_u16_sdwa v141, v127, v136 dst_sel:BYTE_1 dst_unused:UNUSED_PAD src0_sel:BYTE_1 src1_sel:BYTE_1
	v_sub_u16_sdwa v127, v127, v136 dst_sel:DWORD dst_unused:UNUSED_PAD src0_sel:WORD_1 src1_sel:WORD_1
	v_sub_u16_sdwa v135, v135, v136 dst_sel:BYTE_1 dst_unused:UNUSED_PAD src0_sel:DWORD src1_sel:BYTE_3
	v_bitop3_b16 v138, v138, v141, s23 bitop3:0xec
	v_bitop3_b16 v127, v127, v135, s23 bitop3:0xec
	v_lshlrev_b32_e32 v127, 16, v127
	v_or_b32_sdwa v135, v138, v127 dst_sel:DWORD dst_unused:UNUSED_PAD src0_sel:WORD_0 src1_sel:DWORD
	v_ashrrev_i32_e32 v127, s18, v137
	v_ashrrev_i32_e32 v137, s2, v139
	v_lshlrev_b32_e32 v137, 2, v137
	v_bfe_u32 v136, v127, 24, 2
	v_and_b32_e32 v127, 0x3030303, v127
	v_and_b32_e32 v137, 0x4040404, v137
	v_sub_u16_e32 v138, v127, v137
	v_sub_u16_sdwa v139, v127, v137 dst_sel:BYTE_1 dst_unused:UNUSED_PAD src0_sel:BYTE_1 src1_sel:BYTE_1
	v_sub_u16_sdwa v127, v127, v137 dst_sel:DWORD dst_unused:UNUSED_PAD src0_sel:WORD_1 src1_sel:WORD_1
	v_sub_u16_sdwa v136, v136, v137 dst_sel:BYTE_1 dst_unused:UNUSED_PAD src0_sel:DWORD src1_sel:BYTE_3
	v_bitop3_b16 v138, v138, v139, s23 bitop3:0xec
	v_bitop3_b16 v127, v127, v136, s23 bitop3:0xec
	v_lshlrev_b32_e32 v127, 16, v127
	ds_read2_b32 v[140:141], v140 offset0:6 offset1:7
	v_or_b32_sdwa v136, v138, v127 dst_sel:DWORD dst_unused:UNUSED_PAD src0_sel:WORD_0 src1_sel:DWORD
	ds_read2_b32 v[138:139], v125 offset1:1
	s_waitcnt lgkmcnt(1)
	v_ashrrev_i32_e32 v137, s2, v140
	v_lshlrev_b32_e32 v137, 2, v137
	s_waitcnt lgkmcnt(0)
	v_ashrrev_i32_e32 v125, s18, v138
	v_bfe_u32 v127, v125, 24, 2
	v_and_b32_e32 v125, 0x3030303, v125
	v_and_b32_e32 v137, 0x4040404, v137
	v_sub_u16_e32 v138, v125, v137
	v_sub_u16_sdwa v140, v125, v137 dst_sel:BYTE_1 dst_unused:UNUSED_PAD src0_sel:BYTE_1 src1_sel:BYTE_1
	v_sub_u16_sdwa v125, v125, v137 dst_sel:DWORD dst_unused:UNUSED_PAD src0_sel:WORD_1 src1_sel:WORD_1
	v_sub_u16_sdwa v127, v127, v137 dst_sel:BYTE_1 dst_unused:UNUSED_PAD src0_sel:DWORD src1_sel:BYTE_3
	v_bitop3_b16 v138, v138, v140, s23 bitop3:0xec
	v_bitop3_b16 v125, v125, v127, s23 bitop3:0xec
	v_lshlrev_b32_e32 v125, 16, v125
	v_or_b32_sdwa v125, v138, v125 dst_sel:DWORD dst_unused:UNUSED_PAD src0_sel:WORD_0 src1_sel:DWORD
	v_ashrrev_i32_e32 v138, s2, v141
	v_ashrrev_i32_e32 v127, s18, v139
	v_lshlrev_b32_e32 v138, 2, v138
	v_bfe_u32 v137, v127, 24, 2
	v_and_b32_e32 v127, 0x3030303, v127
	v_and_b32_e32 v138, 0x4040404, v138
	v_sub_u16_e32 v139, v127, v138
	v_sub_u16_sdwa v140, v127, v138 dst_sel:BYTE_1 dst_unused:UNUSED_PAD src0_sel:BYTE_1 src1_sel:BYTE_1
	v_sub_u16_sdwa v127, v127, v138 dst_sel:DWORD dst_unused:UNUSED_PAD src0_sel:WORD_1 src1_sel:WORD_1
	v_sub_u16_sdwa v137, v137, v138 dst_sel:BYTE_1 dst_unused:UNUSED_PAD src0_sel:DWORD src1_sel:BYTE_3
	v_bitop3_b16 v139, v139, v140, s23 bitop3:0xec
	v_bitop3_b16 v127, v127, v137, s23 bitop3:0xec
	v_lshlrev_b32_e32 v127, 16, v127
	v_or_b32_sdwa v137, v139, v127 dst_sel:DWORD dst_unused:UNUSED_PAD src0_sel:WORD_0 src1_sel:DWORD
	v_mov_b32_e32 v139, 0
	v_add_u32_e32 v138, s29, v113
	v_add3_u32 v127, s19, v109, v111
	v_dot4c_i32_i8_e32 v139, v131, v6
	v_mov_b32_e32 v6, 0
	ds_read_b32 v127, v127
	v_dot4c_i32_i8_e32 v6, v135, v2
	ds_read_u16 v2, v138 offset:2
	v_dot4c_i32_i8_e32 v139, v132, v7
	v_dot4c_i32_i8_e32 v139, v133, v8
	;; [unrolled: 1-line block ×5, first 2 shown]
	s_waitcnt lgkmcnt(0)
	v_lshrrev_b16_e32 v3, 8, v2
	v_bfe_i32 v2, v2, 0, 8
	v_dot4c_i32_i8_e32 v6, v137, v5
	v_bfe_i32 v5, v3, 0, 8
	v_mul_lo_u32 v4, v139, v2
	v_mad_u64_u32 v[2:3], s[30:31], v129, v130, v[128:129]
	v_mad_u64_u32 v[4:5], s[30:31], v6, v5, v[4:5]
	v_cvt_f32_i32_e32 v3, v4
	v_cvt_f32_i32_e32 v2, v2
	v_pk_mul_f32 v[6:7], v[124:125], v[126:127] op_sel_hi:[0,1]
	s_add_i32 s2, s2, 1
	s_cmp_lt_u32 s18, 6
	v_pk_fma_f32 v[40:41], v[6:7], v[2:3], v[40:41]
	s_mov_b32 s19, s18
	s_cbranch_scc1 .LBB210_11
; %bb.12:                               ;   in Loop: Header=BB210_5 Depth=1
	s_or_b32 s2, s27, 0x80
	s_cmp_ge_i32 s2, s5
	s_barrier
	s_cbranch_scc1 .LBB210_4
; %bb.13:                               ;   in Loop: Header=BB210_5 Depth=1
	v_add_u32_e32 v2, s28, v49
	v_cmp_gt_i32_e64 s[2:3], s8, v2
	s_and_b64 s[18:19], s[0:1], s[2:3]
	s_and_saveexec_b64 s[2:3], s[18:19]
	s_cbranch_execz .LBB210_15
; %bb.14:                               ;   in Loop: Header=BB210_5 Depth=1
	v_add_u32_e32 v2, v58, v2
	v_mad_i64_i32 v[2:3], s[18:19], v2, 36, v[56:57]
	global_load_dword v2, v[2:3], off offset:4
	s_waitcnt vmcnt(0)
	ds_write_b32 v47, v2
.LBB210_15:                             ;   in Loop: Header=BB210_5 Depth=1
	s_or_b64 exec, exec, s[2:3]
	s_and_saveexec_b64 s[18:19], vcc
	s_cbranch_execz .LBB210_18
; %bb.16:                               ;   in Loop: Header=BB210_5 Depth=1
	v_or_b32_e32 v2, 4, v122
	v_cmp_gt_i32_e64 s[2:3], s8, v2
	s_and_b64 s[2:3], s[0:1], s[2:3]
	s_and_b64 exec, exec, s[2:3]
	s_cbranch_execz .LBB210_18
; %bb.17:                               ;   in Loop: Header=BB210_5 Depth=1
	v_ashrrev_i32_e32 v123, 31, v122
	v_lshl_add_u64 v[2:3], v[58:59], 0, v[122:123]
	v_mad_u64_u32 v[4:5], s[2:3], v2, 36, s[14:15]
	v_mad_i32_i24 v5, v3, 36, v5
	global_load_dword v2, v[4:5], off offset:144
	s_waitcnt vmcnt(0)
	v_cvt_f32_f16_e32 v2, v2
	ds_write_b32 v79, v2
.LBB210_18:                             ;   in Loop: Header=BB210_5 Depth=1
	s_or_b64 exec, exec, s[18:19]
	s_mov_b32 s2, 8
	s_mov_b32 s29, 6
	;; [unrolled: 1-line block ×3, first 2 shown]
	v_mov_b32_e32 v121, v17
	v_mov_b32_e32 v123, v77
	s_waitcnt lgkmcnt(0)
	s_barrier
.LBB210_19:                             ;   Parent Loop BB210_5 Depth=1
                                        ; =>  This Inner Loop Header: Depth=2
	s_add_i32 s18, s29, 2
	s_lshr_b32 s33, s18, 4
	s_and_b32 s31, s18, 0x3ffffff8
	v_lshl_add_u32 v125, s31, 2, v55
	s_lshl_b32 s31, s33, 5
	s_addk_i32 s31, 0x4200
	v_add3_u32 v131, s31, v81, v83
	ds_read_b32 v124, v123
	ds_read_b128 v[6:9], v121
	ds_read_b128 v[2:5], v121 offset:16
	ds_read2_b32 v[126:127], v125 offset1:1
	ds_read2_b32 v[128:129], v131 offset1:1
	s_add_i32 s19, s29, -6
	s_and_b32 s30, s2, -16
	s_add_i32 s30, s29, s30
	s_waitcnt lgkmcnt(1)
	v_ashrrev_i32_e32 v126, s19, v126
	s_waitcnt lgkmcnt(0)
	v_ashrrev_i32_e32 v128, s3, v128
	v_lshlrev_b32_e32 v128, 2, v128
	v_bfe_u32 v130, v126, 24, 2
	v_and_b32_e32 v126, 0x3030303, v126
	v_and_b32_e32 v128, 0x4040404, v128
	v_sub_u16_e32 v132, v126, v128
	v_sub_u16_sdwa v133, v126, v128 dst_sel:BYTE_1 dst_unused:UNUSED_PAD src0_sel:BYTE_1 src1_sel:BYTE_1
	v_sub_u16_sdwa v126, v126, v128 dst_sel:DWORD dst_unused:UNUSED_PAD src0_sel:WORD_1 src1_sel:WORD_1
	v_sub_u16_sdwa v128, v130, v128 dst_sel:BYTE_1 dst_unused:UNUSED_PAD src0_sel:DWORD src1_sel:BYTE_3
	v_bitop3_b16 v132, v132, v133, s23 bitop3:0xec
	v_bitop3_b16 v126, v126, v128, s23 bitop3:0xec
	v_lshlrev_b32_e32 v126, 16, v126
	v_ashrrev_i32_e32 v128, s3, v129
	v_or_b32_sdwa v130, v132, v126 dst_sel:DWORD dst_unused:UNUSED_PAD src0_sel:WORD_0 src1_sel:DWORD
	v_ashrrev_i32_e32 v126, s19, v127
	v_lshlrev_b32_e32 v128, 2, v128
	v_bfe_u32 v127, v126, 24, 2
	v_and_b32_e32 v126, 0x3030303, v126
	v_and_b32_e32 v128, 0x4040404, v128
	v_sub_u16_e32 v129, v126, v128
	v_sub_u16_sdwa v132, v126, v128 dst_sel:BYTE_1 dst_unused:UNUSED_PAD src0_sel:BYTE_1 src1_sel:BYTE_1
	v_sub_u16_sdwa v126, v126, v128 dst_sel:DWORD dst_unused:UNUSED_PAD src0_sel:WORD_1 src1_sel:WORD_1
	v_sub_u16_sdwa v127, v127, v128 dst_sel:BYTE_1 dst_unused:UNUSED_PAD src0_sel:DWORD src1_sel:BYTE_3
	v_bitop3_b16 v129, v129, v132, s23 bitop3:0xec
	v_bitop3_b16 v126, v126, v127, s23 bitop3:0xec
	v_lshlrev_b32_e32 v126, 16, v126
	v_or_b32_sdwa v132, v129, v126 dst_sel:DWORD dst_unused:UNUSED_PAD src0_sel:WORD_0 src1_sel:DWORD
	ds_read2_b32 v[126:127], v125 offset0:2 offset1:3
	ds_read2_b32 v[128:129], v131 offset0:2 offset1:3
	s_lshl_b32 s29, s33, 2
	s_addk_i32 s29, 0x7380
	s_add_i32 s2, s2, 2
	s_waitcnt lgkmcnt(1)
	v_ashrrev_i32_e32 v126, s19, v126
	s_waitcnt lgkmcnt(0)
	v_ashrrev_i32_e32 v128, s3, v128
	v_lshlrev_b32_e32 v128, 2, v128
	v_bfe_u32 v133, v126, 24, 2
	v_and_b32_e32 v126, 0x3030303, v126
	v_and_b32_e32 v128, 0x4040404, v128
	v_sub_u16_e32 v134, v126, v128
	v_sub_u16_sdwa v135, v126, v128 dst_sel:BYTE_1 dst_unused:UNUSED_PAD src0_sel:BYTE_1 src1_sel:BYTE_1
	v_sub_u16_sdwa v126, v126, v128 dst_sel:DWORD dst_unused:UNUSED_PAD src0_sel:WORD_1 src1_sel:WORD_1
	v_sub_u16_sdwa v128, v133, v128 dst_sel:BYTE_1 dst_unused:UNUSED_PAD src0_sel:DWORD src1_sel:BYTE_3
	v_bitop3_b16 v134, v134, v135, s23 bitop3:0xec
	v_bitop3_b16 v126, v126, v128, s23 bitop3:0xec
	v_lshlrev_b32_e32 v126, 16, v126
	v_ashrrev_i32_e32 v128, s3, v129
	v_or_b32_sdwa v133, v134, v126 dst_sel:DWORD dst_unused:UNUSED_PAD src0_sel:WORD_0 src1_sel:DWORD
	v_ashrrev_i32_e32 v126, s19, v127
	v_lshlrev_b32_e32 v128, 2, v128
	v_bfe_u32 v127, v126, 24, 2
	v_and_b32_e32 v126, 0x3030303, v126
	v_and_b32_e32 v128, 0x4040404, v128
	v_sub_u16_e32 v129, v126, v128
	v_sub_u16_sdwa v134, v126, v128 dst_sel:BYTE_1 dst_unused:UNUSED_PAD src0_sel:BYTE_1 src1_sel:BYTE_1
	v_sub_u16_sdwa v126, v126, v128 dst_sel:DWORD dst_unused:UNUSED_PAD src0_sel:WORD_1 src1_sel:WORD_1
	v_sub_u16_sdwa v127, v127, v128 dst_sel:BYTE_1 dst_unused:UNUSED_PAD src0_sel:DWORD src1_sel:BYTE_3
	v_bitop3_b16 v129, v129, v134, s23 bitop3:0xec
	v_bitop3_b16 v126, v126, v127, s23 bitop3:0xec
	v_lshlrev_b32_e32 v126, 16, v126
	v_or_b32_sdwa v134, v129, v126 dst_sel:DWORD dst_unused:UNUSED_PAD src0_sel:WORD_0 src1_sel:DWORD
	ds_read2_b32 v[126:127], v125 offset0:4 offset1:5
	ds_read2_b32 v[128:129], v131 offset0:4 offset1:5
	v_add_u32_e32 v123, 4, v123
	v_add_u32_e32 v121, 32, v121
	s_waitcnt lgkmcnt(1)
	v_ashrrev_i32_e32 v126, s19, v126
	s_waitcnt lgkmcnt(0)
	v_ashrrev_i32_e32 v128, s3, v128
	v_lshlrev_b32_e32 v128, 2, v128
	v_bfe_u32 v135, v126, 24, 2
	v_and_b32_e32 v126, 0x3030303, v126
	v_and_b32_e32 v128, 0x4040404, v128
	v_sub_u16_e32 v136, v126, v128
	v_sub_u16_sdwa v137, v126, v128 dst_sel:BYTE_1 dst_unused:UNUSED_PAD src0_sel:BYTE_1 src1_sel:BYTE_1
	v_sub_u16_sdwa v126, v126, v128 dst_sel:DWORD dst_unused:UNUSED_PAD src0_sel:WORD_1 src1_sel:WORD_1
	v_sub_u16_sdwa v128, v135, v128 dst_sel:BYTE_1 dst_unused:UNUSED_PAD src0_sel:DWORD src1_sel:BYTE_3
	v_bitop3_b16 v136, v136, v137, s23 bitop3:0xec
	v_bitop3_b16 v126, v126, v128, s23 bitop3:0xec
	v_lshlrev_b32_e32 v126, 16, v126
	v_ashrrev_i32_e32 v128, s3, v129
	v_or_b32_sdwa v135, v136, v126 dst_sel:DWORD dst_unused:UNUSED_PAD src0_sel:WORD_0 src1_sel:DWORD
	v_ashrrev_i32_e32 v126, s19, v127
	v_lshlrev_b32_e32 v128, 2, v128
	v_bfe_u32 v127, v126, 24, 2
	v_and_b32_e32 v126, 0x3030303, v126
	v_and_b32_e32 v128, 0x4040404, v128
	v_sub_u16_e32 v129, v126, v128
	v_sub_u16_sdwa v136, v126, v128 dst_sel:BYTE_1 dst_unused:UNUSED_PAD src0_sel:BYTE_1 src1_sel:BYTE_1
	v_sub_u16_sdwa v126, v126, v128 dst_sel:DWORD dst_unused:UNUSED_PAD src0_sel:WORD_1 src1_sel:WORD_1
	v_sub_u16_sdwa v127, v127, v128 dst_sel:BYTE_1 dst_unused:UNUSED_PAD src0_sel:DWORD src1_sel:BYTE_3
	v_bitop3_b16 v129, v129, v136, s23 bitop3:0xec
	v_bitop3_b16 v126, v126, v127, s23 bitop3:0xec
	v_lshlrev_b32_e32 v126, 16, v126
	v_or_b32_sdwa v136, v129, v126 dst_sel:DWORD dst_unused:UNUSED_PAD src0_sel:WORD_0 src1_sel:DWORD
	ds_read2_b32 v[126:127], v125 offset0:6 offset1:7
	ds_read2_b32 v[128:129], v131 offset0:6 offset1:7
	s_waitcnt lgkmcnt(1)
	v_ashrrev_i32_e32 v126, s19, v126
	s_waitcnt lgkmcnt(0)
	v_ashrrev_i32_e32 v128, s3, v128
	v_lshlrev_b32_e32 v128, 2, v128
	v_bfe_u32 v137, v126, 24, 2
	v_and_b32_e32 v126, 0x3030303, v126
	v_and_b32_e32 v128, 0x4040404, v128
	v_sub_u16_e32 v131, v126, v128
	v_sub_u16_sdwa v138, v126, v128 dst_sel:BYTE_1 dst_unused:UNUSED_PAD src0_sel:BYTE_1 src1_sel:BYTE_1
	v_sub_u16_sdwa v126, v126, v128 dst_sel:DWORD dst_unused:UNUSED_PAD src0_sel:WORD_1 src1_sel:WORD_1
	v_sub_u16_sdwa v128, v137, v128 dst_sel:BYTE_1 dst_unused:UNUSED_PAD src0_sel:DWORD src1_sel:BYTE_3
	v_bitop3_b16 v131, v131, v138, s23 bitop3:0xec
	v_bitop3_b16 v126, v126, v128, s23 bitop3:0xec
	v_lshlrev_b32_e32 v126, 16, v126
	v_ashrrev_i32_e32 v129, s3, v129
	v_or_b32_sdwa v128, v131, v126 dst_sel:DWORD dst_unused:UNUSED_PAD src0_sel:WORD_0 src1_sel:DWORD
	v_ashrrev_i32_e32 v126, s19, v127
	v_lshlrev_b32_e32 v129, 2, v129
	v_bfe_u32 v127, v126, 24, 2
	v_and_b32_e32 v126, 0x3030303, v126
	v_and_b32_e32 v129, 0x4040404, v129
	v_sub_u16_e32 v131, v126, v129
	v_sub_u16_sdwa v137, v126, v129 dst_sel:BYTE_1 dst_unused:UNUSED_PAD src0_sel:BYTE_1 src1_sel:BYTE_1
	v_sub_u16_sdwa v126, v126, v129 dst_sel:DWORD dst_unused:UNUSED_PAD src0_sel:WORD_1 src1_sel:WORD_1
	v_sub_u16_sdwa v127, v127, v129 dst_sel:BYTE_1 dst_unused:UNUSED_PAD src0_sel:DWORD src1_sel:BYTE_3
	v_bitop3_b16 v131, v131, v137, s23 bitop3:0xec
	v_bitop3_b16 v126, v126, v127, s23 bitop3:0xec
	v_lshlrev_b32_e32 v126, 16, v126
	v_or_b32_sdwa v127, v131, v126 dst_sel:DWORD dst_unused:UNUSED_PAD src0_sel:WORD_0 src1_sel:DWORD
	v_mov_b32_e32 v131, 0
	v_dot4c_i32_i8_e32 v131, v130, v6
	v_dot4c_i32_i8_e32 v131, v132, v7
	;; [unrolled: 1-line block ×4, first 2 shown]
	v_mov_b32_e32 v134, 0
	v_dot4c_i32_i8_e32 v134, v135, v2
	v_dot4c_i32_i8_e32 v134, v136, v3
	v_add_u32_e32 v129, s30, v25
	v_dot4c_i32_i8_e32 v134, v128, v4
	v_dot4c_i32_i8_e32 v134, v127, v5
	ds_read_u16 v127, v129 offset:25346
	v_add3_u32 v126, s29, v119, v87
	v_add3_u32 v135, s31, v89, v91
	ds_read_b32 v126, v126
	ds_read2_b32 v[132:133], v135 offset1:1
	s_waitcnt lgkmcnt(2)
	v_lshrrev_b16_e32 v128, 8, v127
	v_bfe_i32 v127, v127, 0, 8
	v_bfe_i32 v129, v128, 0, 8
	v_mul_lo_u32 v128, v131, v127
	v_add_u32_e32 v127, 0x1080, v125
	ds_read2_b32 v[130:131], v127 offset1:1
	s_waitcnt lgkmcnt(1)
	v_ashrrev_i32_e32 v132, s3, v132
	v_lshlrev_b32_e32 v132, 2, v132
	v_and_b32_e32 v132, 0x4040404, v132
	v_mad_u64_u32 v[128:129], s[34:35], v134, v129, v[128:129]
	s_waitcnt lgkmcnt(0)
	v_ashrrev_i32_e32 v127, s19, v130
	v_bfe_u32 v130, v127, 24, 2
	v_and_b32_e32 v127, 0x3030303, v127
	v_sub_u16_e32 v136, v127, v132
	v_sub_u16_sdwa v137, v127, v132 dst_sel:BYTE_1 dst_unused:UNUSED_PAD src0_sel:BYTE_1 src1_sel:BYTE_1
	v_sub_u16_sdwa v127, v127, v132 dst_sel:DWORD dst_unused:UNUSED_PAD src0_sel:WORD_1 src1_sel:WORD_1
	v_sub_u16_sdwa v130, v130, v132 dst_sel:BYTE_1 dst_unused:UNUSED_PAD src0_sel:DWORD src1_sel:BYTE_3
	v_bitop3_b16 v136, v136, v137, s23 bitop3:0xec
	v_bitop3_b16 v127, v127, v130, s23 bitop3:0xec
	v_lshlrev_b32_e32 v127, 16, v127
	v_or_b32_sdwa v136, v136, v127 dst_sel:DWORD dst_unused:UNUSED_PAD src0_sel:WORD_0 src1_sel:DWORD
	v_ashrrev_i32_e32 v127, s19, v131
	v_ashrrev_i32_e32 v131, s3, v133
	v_lshlrev_b32_e32 v131, 2, v131
	v_bfe_u32 v130, v127, 24, 2
	v_and_b32_e32 v127, 0x3030303, v127
	v_and_b32_e32 v131, 0x4040404, v131
	v_sub_u16_e32 v132, v127, v131
	v_sub_u16_sdwa v133, v127, v131 dst_sel:BYTE_1 dst_unused:UNUSED_PAD src0_sel:BYTE_1 src1_sel:BYTE_1
	v_sub_u16_sdwa v127, v127, v131 dst_sel:DWORD dst_unused:UNUSED_PAD src0_sel:WORD_1 src1_sel:WORD_1
	v_sub_u16_sdwa v130, v130, v131 dst_sel:BYTE_1 dst_unused:UNUSED_PAD src0_sel:DWORD src1_sel:BYTE_3
	v_bitop3_b16 v132, v132, v133, s23 bitop3:0xec
	v_bitop3_b16 v127, v127, v130, s23 bitop3:0xec
	v_lshlrev_b32_e32 v127, 16, v127
	v_or_b32_sdwa v137, v132, v127 dst_sel:DWORD dst_unused:UNUSED_PAD src0_sel:WORD_0 src1_sel:DWORD
	v_add_u32_e32 v127, 0x1088, v125
	ds_read2_b32 v[130:131], v127 offset1:1
	ds_read2_b32 v[132:133], v135 offset0:2 offset1:3
	v_cvt_f32_i32_e32 v128, v128
	s_waitcnt lgkmcnt(1)
	v_ashrrev_i32_e32 v127, s19, v130
	s_waitcnt lgkmcnt(0)
	v_ashrrev_i32_e32 v132, s3, v132
	v_lshlrev_b32_e32 v132, 2, v132
	v_bfe_u32 v130, v127, 24, 2
	v_and_b32_e32 v127, 0x3030303, v127
	v_and_b32_e32 v132, 0x4040404, v132
	v_sub_u16_e32 v138, v127, v132
	v_sub_u16_sdwa v139, v127, v132 dst_sel:BYTE_1 dst_unused:UNUSED_PAD src0_sel:BYTE_1 src1_sel:BYTE_1
	v_sub_u16_sdwa v127, v127, v132 dst_sel:DWORD dst_unused:UNUSED_PAD src0_sel:WORD_1 src1_sel:WORD_1
	v_sub_u16_sdwa v130, v130, v132 dst_sel:BYTE_1 dst_unused:UNUSED_PAD src0_sel:DWORD src1_sel:BYTE_3
	v_bitop3_b16 v138, v138, v139, s23 bitop3:0xec
	v_bitop3_b16 v127, v127, v130, s23 bitop3:0xec
	v_lshlrev_b32_e32 v127, 16, v127
	v_or_b32_sdwa v138, v138, v127 dst_sel:DWORD dst_unused:UNUSED_PAD src0_sel:WORD_0 src1_sel:DWORD
	v_ashrrev_i32_e32 v127, s19, v131
	v_ashrrev_i32_e32 v131, s3, v133
	v_lshlrev_b32_e32 v131, 2, v131
	v_bfe_u32 v130, v127, 24, 2
	v_and_b32_e32 v127, 0x3030303, v127
	v_and_b32_e32 v131, 0x4040404, v131
	v_sub_u16_e32 v132, v127, v131
	v_sub_u16_sdwa v133, v127, v131 dst_sel:BYTE_1 dst_unused:UNUSED_PAD src0_sel:BYTE_1 src1_sel:BYTE_1
	v_sub_u16_sdwa v127, v127, v131 dst_sel:DWORD dst_unused:UNUSED_PAD src0_sel:WORD_1 src1_sel:WORD_1
	v_sub_u16_sdwa v130, v130, v131 dst_sel:BYTE_1 dst_unused:UNUSED_PAD src0_sel:DWORD src1_sel:BYTE_3
	v_bitop3_b16 v132, v132, v133, s23 bitop3:0xec
	v_bitop3_b16 v127, v127, v130, s23 bitop3:0xec
	v_lshlrev_b32_e32 v127, 16, v127
	v_or_b32_sdwa v139, v132, v127 dst_sel:DWORD dst_unused:UNUSED_PAD src0_sel:WORD_0 src1_sel:DWORD
	v_add_u32_e32 v127, 0x1090, v125
	ds_read2_b32 v[130:131], v127 offset1:1
	ds_read2_b32 v[132:133], v135 offset0:4 offset1:5
	s_waitcnt lgkmcnt(1)
	v_ashrrev_i32_e32 v127, s19, v130
	s_waitcnt lgkmcnt(0)
	v_ashrrev_i32_e32 v132, s3, v132
	v_lshlrev_b32_e32 v132, 2, v132
	v_bfe_u32 v130, v127, 24, 2
	v_and_b32_e32 v127, 0x3030303, v127
	v_and_b32_e32 v132, 0x4040404, v132
	v_sub_u16_e32 v140, v127, v132
	v_sub_u16_sdwa v141, v127, v132 dst_sel:BYTE_1 dst_unused:UNUSED_PAD src0_sel:BYTE_1 src1_sel:BYTE_1
	v_sub_u16_sdwa v127, v127, v132 dst_sel:DWORD dst_unused:UNUSED_PAD src0_sel:WORD_1 src1_sel:WORD_1
	v_sub_u16_sdwa v130, v130, v132 dst_sel:BYTE_1 dst_unused:UNUSED_PAD src0_sel:DWORD src1_sel:BYTE_3
	v_bitop3_b16 v140, v140, v141, s23 bitop3:0xec
	v_bitop3_b16 v127, v127, v130, s23 bitop3:0xec
	v_lshlrev_b32_e32 v127, 16, v127
	v_or_b32_sdwa v140, v140, v127 dst_sel:DWORD dst_unused:UNUSED_PAD src0_sel:WORD_0 src1_sel:DWORD
	v_ashrrev_i32_e32 v127, s19, v131
	v_ashrrev_i32_e32 v131, s3, v133
	v_lshlrev_b32_e32 v131, 2, v131
	v_bfe_u32 v130, v127, 24, 2
	v_and_b32_e32 v127, 0x3030303, v127
	v_and_b32_e32 v131, 0x4040404, v131
	v_sub_u16_e32 v132, v127, v131
	v_sub_u16_sdwa v133, v127, v131 dst_sel:BYTE_1 dst_unused:UNUSED_PAD src0_sel:BYTE_1 src1_sel:BYTE_1
	v_sub_u16_sdwa v127, v127, v131 dst_sel:DWORD dst_unused:UNUSED_PAD src0_sel:WORD_1 src1_sel:WORD_1
	v_sub_u16_sdwa v130, v130, v131 dst_sel:BYTE_1 dst_unused:UNUSED_PAD src0_sel:DWORD src1_sel:BYTE_3
	v_bitop3_b16 v132, v132, v133, s23 bitop3:0xec
	v_bitop3_b16 v127, v127, v130, s23 bitop3:0xec
	v_lshlrev_b32_e32 v127, 16, v127
	v_or_b32_sdwa v141, v132, v127 dst_sel:DWORD dst_unused:UNUSED_PAD src0_sel:WORD_0 src1_sel:DWORD
	v_add_u32_e32 v127, 0x1098, v125
	ds_read2_b32 v[130:131], v127 offset1:1
	ds_read2_b32 v[132:133], v135 offset0:6 offset1:7
	s_waitcnt lgkmcnt(1)
	v_ashrrev_i32_e32 v127, s19, v130
	s_waitcnt lgkmcnt(0)
	v_ashrrev_i32_e32 v132, s3, v132
	v_lshlrev_b32_e32 v132, 2, v132
	v_bfe_u32 v130, v127, 24, 2
	v_and_b32_e32 v127, 0x3030303, v127
	v_and_b32_e32 v132, 0x4040404, v132
	v_sub_u16_e32 v135, v127, v132
	v_sub_u16_sdwa v142, v127, v132 dst_sel:BYTE_1 dst_unused:UNUSED_PAD src0_sel:BYTE_1 src1_sel:BYTE_1
	v_sub_u16_sdwa v127, v127, v132 dst_sel:DWORD dst_unused:UNUSED_PAD src0_sel:WORD_1 src1_sel:WORD_1
	v_sub_u16_sdwa v130, v130, v132 dst_sel:BYTE_1 dst_unused:UNUSED_PAD src0_sel:DWORD src1_sel:BYTE_3
	v_bitop3_b16 v135, v135, v142, s23 bitop3:0xec
	v_bitop3_b16 v127, v127, v130, s23 bitop3:0xec
	v_lshlrev_b32_e32 v127, 16, v127
	v_or_b32_sdwa v132, v135, v127 dst_sel:DWORD dst_unused:UNUSED_PAD src0_sel:WORD_0 src1_sel:DWORD
	v_ashrrev_i32_e32 v127, s19, v131
	v_ashrrev_i32_e32 v131, s3, v133
	v_lshlrev_b32_e32 v131, 2, v131
	v_bfe_u32 v130, v127, 24, 2
	v_and_b32_e32 v127, 0x3030303, v127
	v_and_b32_e32 v131, 0x4040404, v131
	v_sub_u16_e32 v133, v127, v131
	v_sub_u16_sdwa v135, v127, v131 dst_sel:BYTE_1 dst_unused:UNUSED_PAD src0_sel:BYTE_1 src1_sel:BYTE_1
	v_sub_u16_sdwa v127, v127, v131 dst_sel:DWORD dst_unused:UNUSED_PAD src0_sel:WORD_1 src1_sel:WORD_1
	v_sub_u16_sdwa v130, v130, v131 dst_sel:BYTE_1 dst_unused:UNUSED_PAD src0_sel:DWORD src1_sel:BYTE_3
	v_bitop3_b16 v133, v133, v135, s23 bitop3:0xec
	v_bitop3_b16 v127, v127, v130, s23 bitop3:0xec
	v_lshlrev_b32_e32 v127, 16, v127
	v_or_b32_sdwa v131, v133, v127 dst_sel:DWORD dst_unused:UNUSED_PAD src0_sel:WORD_0 src1_sel:DWORD
	v_add_u32_e32 v130, s30, v23
	v_add3_u32 v127, s29, v93, v95
	ds_read_b32 v127, v127
	ds_read_u16 v130, v130 offset:26370
	v_mov_b32_e32 v133, 0
	v_dot4c_i32_i8_e32 v133, v136, v6
	v_dot4c_i32_i8_e32 v133, v137, v7
	;; [unrolled: 1-line block ×4, first 2 shown]
	s_waitcnt lgkmcnt(0)
	v_lshrrev_b16_e32 v135, 8, v130
	v_bfe_i32 v130, v130, 0, 8
	v_pk_mul_f32 v[126:127], v[124:125], v[126:127] op_sel_hi:[0,1]
	v_mul_lo_u32 v130, v133, v130
	v_mov_b32_e32 v133, 0
	v_dot4c_i32_i8_e32 v133, v140, v2
	v_dot4c_i32_i8_e32 v133, v141, v3
	;; [unrolled: 1-line block ×4, first 2 shown]
	v_bfe_i32 v131, v135, 0, 8
	s_nop 1
	v_mad_u64_u32 v[130:131], s[34:35], v133, v131, v[130:131]
	v_cvt_f32_i32_e32 v129, v130
	v_add3_u32 v131, s31, v97, v99
	v_pk_fma_f32 v[42:43], v[126:127], v[128:129], v[42:43]
	v_add_u32_e32 v126, 0x2100, v125
	ds_read2_b32 v[126:127], v126 offset1:1
	ds_read2_b32 v[128:129], v131 offset1:1
	s_waitcnt lgkmcnt(1)
	v_ashrrev_i32_e32 v126, s19, v126
	s_waitcnt lgkmcnt(0)
	v_ashrrev_i32_e32 v128, s3, v128
	v_lshlrev_b32_e32 v128, 2, v128
	v_bfe_u32 v130, v126, 24, 2
	v_and_b32_e32 v126, 0x3030303, v126
	v_and_b32_e32 v128, 0x4040404, v128
	v_sub_u16_e32 v132, v126, v128
	v_sub_u16_sdwa v133, v126, v128 dst_sel:BYTE_1 dst_unused:UNUSED_PAD src0_sel:BYTE_1 src1_sel:BYTE_1
	v_sub_u16_sdwa v126, v126, v128 dst_sel:DWORD dst_unused:UNUSED_PAD src0_sel:WORD_1 src1_sel:WORD_1
	v_sub_u16_sdwa v128, v130, v128 dst_sel:BYTE_1 dst_unused:UNUSED_PAD src0_sel:DWORD src1_sel:BYTE_3
	v_bitop3_b16 v132, v132, v133, s23 bitop3:0xec
	v_bitop3_b16 v126, v126, v128, s23 bitop3:0xec
	v_lshlrev_b32_e32 v126, 16, v126
	v_ashrrev_i32_e32 v128, s3, v129
	v_or_b32_sdwa v130, v132, v126 dst_sel:DWORD dst_unused:UNUSED_PAD src0_sel:WORD_0 src1_sel:DWORD
	v_ashrrev_i32_e32 v126, s19, v127
	v_lshlrev_b32_e32 v128, 2, v128
	v_bfe_u32 v127, v126, 24, 2
	v_and_b32_e32 v126, 0x3030303, v126
	v_and_b32_e32 v128, 0x4040404, v128
	v_sub_u16_e32 v129, v126, v128
	v_sub_u16_sdwa v132, v126, v128 dst_sel:BYTE_1 dst_unused:UNUSED_PAD src0_sel:BYTE_1 src1_sel:BYTE_1
	v_sub_u16_sdwa v126, v126, v128 dst_sel:DWORD dst_unused:UNUSED_PAD src0_sel:WORD_1 src1_sel:WORD_1
	v_sub_u16_sdwa v127, v127, v128 dst_sel:BYTE_1 dst_unused:UNUSED_PAD src0_sel:DWORD src1_sel:BYTE_3
	v_bitop3_b16 v129, v129, v132, s23 bitop3:0xec
	v_bitop3_b16 v126, v126, v127, s23 bitop3:0xec
	v_lshlrev_b32_e32 v126, 16, v126
	v_or_b32_sdwa v132, v129, v126 dst_sel:DWORD dst_unused:UNUSED_PAD src0_sel:WORD_0 src1_sel:DWORD
	v_add_u32_e32 v126, 0x2108, v125
	ds_read2_b32 v[126:127], v126 offset1:1
	ds_read2_b32 v[128:129], v131 offset0:2 offset1:3
	s_waitcnt lgkmcnt(1)
	v_ashrrev_i32_e32 v126, s19, v126
	s_waitcnt lgkmcnt(0)
	v_ashrrev_i32_e32 v128, s3, v128
	v_lshlrev_b32_e32 v128, 2, v128
	v_bfe_u32 v133, v126, 24, 2
	v_and_b32_e32 v126, 0x3030303, v126
	v_and_b32_e32 v128, 0x4040404, v128
	v_sub_u16_e32 v134, v126, v128
	v_sub_u16_sdwa v135, v126, v128 dst_sel:BYTE_1 dst_unused:UNUSED_PAD src0_sel:BYTE_1 src1_sel:BYTE_1
	v_sub_u16_sdwa v126, v126, v128 dst_sel:DWORD dst_unused:UNUSED_PAD src0_sel:WORD_1 src1_sel:WORD_1
	v_sub_u16_sdwa v128, v133, v128 dst_sel:BYTE_1 dst_unused:UNUSED_PAD src0_sel:DWORD src1_sel:BYTE_3
	v_bitop3_b16 v134, v134, v135, s23 bitop3:0xec
	v_bitop3_b16 v126, v126, v128, s23 bitop3:0xec
	v_lshlrev_b32_e32 v126, 16, v126
	v_ashrrev_i32_e32 v128, s3, v129
	v_or_b32_sdwa v133, v134, v126 dst_sel:DWORD dst_unused:UNUSED_PAD src0_sel:WORD_0 src1_sel:DWORD
	v_ashrrev_i32_e32 v126, s19, v127
	v_lshlrev_b32_e32 v128, 2, v128
	v_bfe_u32 v127, v126, 24, 2
	v_and_b32_e32 v126, 0x3030303, v126
	v_and_b32_e32 v128, 0x4040404, v128
	v_sub_u16_e32 v129, v126, v128
	v_sub_u16_sdwa v134, v126, v128 dst_sel:BYTE_1 dst_unused:UNUSED_PAD src0_sel:BYTE_1 src1_sel:BYTE_1
	v_sub_u16_sdwa v126, v126, v128 dst_sel:DWORD dst_unused:UNUSED_PAD src0_sel:WORD_1 src1_sel:WORD_1
	v_sub_u16_sdwa v127, v127, v128 dst_sel:BYTE_1 dst_unused:UNUSED_PAD src0_sel:DWORD src1_sel:BYTE_3
	v_bitop3_b16 v129, v129, v134, s23 bitop3:0xec
	v_bitop3_b16 v126, v126, v127, s23 bitop3:0xec
	v_lshlrev_b32_e32 v126, 16, v126
	v_or_b32_sdwa v134, v129, v126 dst_sel:DWORD dst_unused:UNUSED_PAD src0_sel:WORD_0 src1_sel:DWORD
	v_add_u32_e32 v126, 0x2110, v125
	ds_read2_b32 v[126:127], v126 offset1:1
	ds_read2_b32 v[128:129], v131 offset0:4 offset1:5
	;; [unrolled: 33-line block ×3, first 2 shown]
	s_waitcnt lgkmcnt(1)
	v_ashrrev_i32_e32 v126, s19, v126
	s_waitcnt lgkmcnt(0)
	v_ashrrev_i32_e32 v128, s3, v128
	v_lshlrev_b32_e32 v128, 2, v128
	v_bfe_u32 v137, v126, 24, 2
	v_and_b32_e32 v126, 0x3030303, v126
	v_and_b32_e32 v128, 0x4040404, v128
	v_sub_u16_e32 v131, v126, v128
	v_sub_u16_sdwa v138, v126, v128 dst_sel:BYTE_1 dst_unused:UNUSED_PAD src0_sel:BYTE_1 src1_sel:BYTE_1
	v_sub_u16_sdwa v126, v126, v128 dst_sel:DWORD dst_unused:UNUSED_PAD src0_sel:WORD_1 src1_sel:WORD_1
	v_sub_u16_sdwa v128, v137, v128 dst_sel:BYTE_1 dst_unused:UNUSED_PAD src0_sel:DWORD src1_sel:BYTE_3
	v_bitop3_b16 v131, v131, v138, s23 bitop3:0xec
	v_bitop3_b16 v126, v126, v128, s23 bitop3:0xec
	v_lshlrev_b32_e32 v126, 16, v126
	v_ashrrev_i32_e32 v129, s3, v129
	v_or_b32_sdwa v128, v131, v126 dst_sel:DWORD dst_unused:UNUSED_PAD src0_sel:WORD_0 src1_sel:DWORD
	v_ashrrev_i32_e32 v126, s19, v127
	v_lshlrev_b32_e32 v129, 2, v129
	v_bfe_u32 v127, v126, 24, 2
	v_and_b32_e32 v126, 0x3030303, v126
	v_and_b32_e32 v129, 0x4040404, v129
	v_sub_u16_e32 v131, v126, v129
	v_sub_u16_sdwa v137, v126, v129 dst_sel:BYTE_1 dst_unused:UNUSED_PAD src0_sel:BYTE_1 src1_sel:BYTE_1
	v_sub_u16_sdwa v126, v126, v129 dst_sel:DWORD dst_unused:UNUSED_PAD src0_sel:WORD_1 src1_sel:WORD_1
	v_sub_u16_sdwa v127, v127, v129 dst_sel:BYTE_1 dst_unused:UNUSED_PAD src0_sel:DWORD src1_sel:BYTE_3
	v_mov_b32_e32 v129, 0
	v_bitop3_b16 v126, v126, v127, s23 bitop3:0xec
	v_dot4c_i32_i8_e32 v129, v135, v2
	v_bitop3_b16 v131, v131, v137, s23 bitop3:0xec
	v_lshlrev_b32_e32 v126, 16, v126
	v_dot4c_i32_i8_e32 v129, v136, v3
	v_or_b32_sdwa v127, v131, v126 dst_sel:DWORD dst_unused:UNUSED_PAD src0_sel:WORD_0 src1_sel:DWORD
	v_add_u32_e32 v131, s30, v21
	v_dot4c_i32_i8_e32 v129, v128, v4
	v_dot4c_i32_i8_e32 v129, v127, v5
	ds_read_u16 v127, v131 offset:27394
	v_mov_b32_e32 v137, 0
	v_dot4c_i32_i8_e32 v137, v130, v6
	v_dot4c_i32_i8_e32 v137, v132, v7
	;; [unrolled: 1-line block ×4, first 2 shown]
	s_waitcnt lgkmcnt(0)
	v_lshrrev_b16_e32 v128, 8, v127
	v_bfe_i32 v127, v127, 0, 8
	v_add3_u32 v126, s29, v101, v103
	v_bfe_i32 v130, v128, 0, 8
	v_mul_lo_u32 v128, v137, v127
	v_add_u32_e32 v127, 0x3180, v125
	v_add3_u32 v136, s31, v105, v107
	ds_read_b32 v126, v126
	ds_read2_b32 v[132:133], v127 offset1:1
	ds_read2_b32 v[134:135], v136 offset1:1
	s_waitcnt lgkmcnt(1)
	v_ashrrev_i32_e32 v127, s19, v132
	s_waitcnt lgkmcnt(0)
	v_ashrrev_i32_e32 v132, s3, v134
	v_lshlrev_b32_e32 v132, 2, v132
	v_bfe_u32 v131, v127, 24, 2
	v_and_b32_e32 v127, 0x3030303, v127
	v_and_b32_e32 v132, 0x4040404, v132
	v_sub_u16_e32 v134, v127, v132
	v_sub_u16_sdwa v137, v127, v132 dst_sel:BYTE_1 dst_unused:UNUSED_PAD src0_sel:BYTE_1 src1_sel:BYTE_1
	v_sub_u16_sdwa v127, v127, v132 dst_sel:DWORD dst_unused:UNUSED_PAD src0_sel:WORD_1 src1_sel:WORD_1
	v_sub_u16_sdwa v131, v131, v132 dst_sel:BYTE_1 dst_unused:UNUSED_PAD src0_sel:DWORD src1_sel:BYTE_3
	v_bitop3_b16 v134, v134, v137, s23 bitop3:0xec
	v_bitop3_b16 v127, v127, v131, s23 bitop3:0xec
	v_lshlrev_b32_e32 v127, 16, v127
	v_or_b32_sdwa v131, v134, v127 dst_sel:DWORD dst_unused:UNUSED_PAD src0_sel:WORD_0 src1_sel:DWORD
	v_ashrrev_i32_e32 v127, s19, v133
	v_ashrrev_i32_e32 v133, s3, v135
	v_lshlrev_b32_e32 v133, 2, v133
	v_bfe_u32 v132, v127, 24, 2
	v_and_b32_e32 v127, 0x3030303, v127
	v_and_b32_e32 v133, 0x4040404, v133
	v_sub_u16_e32 v134, v127, v133
	v_sub_u16_sdwa v135, v127, v133 dst_sel:BYTE_1 dst_unused:UNUSED_PAD src0_sel:BYTE_1 src1_sel:BYTE_1
	v_sub_u16_sdwa v127, v127, v133 dst_sel:DWORD dst_unused:UNUSED_PAD src0_sel:WORD_1 src1_sel:WORD_1
	v_sub_u16_sdwa v132, v132, v133 dst_sel:BYTE_1 dst_unused:UNUSED_PAD src0_sel:DWORD src1_sel:BYTE_3
	v_bitop3_b16 v134, v134, v135, s23 bitop3:0xec
	v_bitop3_b16 v127, v127, v132, s23 bitop3:0xec
	v_lshlrev_b32_e32 v127, 16, v127
	v_or_b32_sdwa v137, v134, v127 dst_sel:DWORD dst_unused:UNUSED_PAD src0_sel:WORD_0 src1_sel:DWORD
	v_add_u32_e32 v127, 0x3188, v125
	ds_read2_b32 v[132:133], v127 offset1:1
	ds_read2_b32 v[134:135], v136 offset0:2 offset1:3
	s_waitcnt lgkmcnt(1)
	v_ashrrev_i32_e32 v127, s19, v132
	s_waitcnt lgkmcnt(0)
	v_ashrrev_i32_e32 v134, s3, v134
	v_lshlrev_b32_e32 v134, 2, v134
	v_bfe_u32 v132, v127, 24, 2
	v_and_b32_e32 v127, 0x3030303, v127
	v_and_b32_e32 v134, 0x4040404, v134
	v_sub_u16_e32 v138, v127, v134
	v_sub_u16_sdwa v139, v127, v134 dst_sel:BYTE_1 dst_unused:UNUSED_PAD src0_sel:BYTE_1 src1_sel:BYTE_1
	v_sub_u16_sdwa v127, v127, v134 dst_sel:DWORD dst_unused:UNUSED_PAD src0_sel:WORD_1 src1_sel:WORD_1
	v_sub_u16_sdwa v132, v132, v134 dst_sel:BYTE_1 dst_unused:UNUSED_PAD src0_sel:DWORD src1_sel:BYTE_3
	v_bitop3_b16 v138, v138, v139, s23 bitop3:0xec
	v_bitop3_b16 v127, v127, v132, s23 bitop3:0xec
	v_lshlrev_b32_e32 v127, 16, v127
	v_or_b32_sdwa v138, v138, v127 dst_sel:DWORD dst_unused:UNUSED_PAD src0_sel:WORD_0 src1_sel:DWORD
	v_ashrrev_i32_e32 v127, s19, v133
	v_ashrrev_i32_e32 v133, s3, v135
	v_lshlrev_b32_e32 v133, 2, v133
	v_bfe_u32 v132, v127, 24, 2
	v_and_b32_e32 v127, 0x3030303, v127
	v_and_b32_e32 v133, 0x4040404, v133
	v_sub_u16_e32 v134, v127, v133
	v_sub_u16_sdwa v135, v127, v133 dst_sel:BYTE_1 dst_unused:UNUSED_PAD src0_sel:BYTE_1 src1_sel:BYTE_1
	v_sub_u16_sdwa v127, v127, v133 dst_sel:DWORD dst_unused:UNUSED_PAD src0_sel:WORD_1 src1_sel:WORD_1
	v_sub_u16_sdwa v132, v132, v133 dst_sel:BYTE_1 dst_unused:UNUSED_PAD src0_sel:DWORD src1_sel:BYTE_3
	v_bitop3_b16 v134, v134, v135, s23 bitop3:0xec
	v_bitop3_b16 v127, v127, v132, s23 bitop3:0xec
	v_lshlrev_b32_e32 v127, 16, v127
	v_or_b32_sdwa v139, v134, v127 dst_sel:DWORD dst_unused:UNUSED_PAD src0_sel:WORD_0 src1_sel:DWORD
	v_add_u32_e32 v127, 0x3190, v125
	ds_read2_b32 v[132:133], v127 offset1:1
	ds_read2_b32 v[134:135], v136 offset0:4 offset1:5
	v_add_u32_e32 v125, 0x3198, v125
	s_waitcnt lgkmcnt(1)
	v_ashrrev_i32_e32 v127, s19, v132
	s_waitcnt lgkmcnt(0)
	v_ashrrev_i32_e32 v134, s3, v134
	v_lshlrev_b32_e32 v134, 2, v134
	v_bfe_u32 v132, v127, 24, 2
	v_and_b32_e32 v127, 0x3030303, v127
	v_and_b32_e32 v134, 0x4040404, v134
	v_sub_u16_e32 v140, v127, v134
	v_sub_u16_sdwa v141, v127, v134 dst_sel:BYTE_1 dst_unused:UNUSED_PAD src0_sel:BYTE_1 src1_sel:BYTE_1
	v_sub_u16_sdwa v127, v127, v134 dst_sel:DWORD dst_unused:UNUSED_PAD src0_sel:WORD_1 src1_sel:WORD_1
	v_sub_u16_sdwa v132, v132, v134 dst_sel:BYTE_1 dst_unused:UNUSED_PAD src0_sel:DWORD src1_sel:BYTE_3
	v_bitop3_b16 v140, v140, v141, s23 bitop3:0xec
	v_bitop3_b16 v127, v127, v132, s23 bitop3:0xec
	v_lshlrev_b32_e32 v127, 16, v127
	v_or_b32_sdwa v140, v140, v127 dst_sel:DWORD dst_unused:UNUSED_PAD src0_sel:WORD_0 src1_sel:DWORD
	v_ashrrev_i32_e32 v127, s19, v133
	v_ashrrev_i32_e32 v133, s3, v135
	v_lshlrev_b32_e32 v133, 2, v133
	v_bfe_u32 v132, v127, 24, 2
	v_and_b32_e32 v127, 0x3030303, v127
	v_and_b32_e32 v133, 0x4040404, v133
	v_sub_u16_e32 v134, v127, v133
	v_sub_u16_sdwa v135, v127, v133 dst_sel:BYTE_1 dst_unused:UNUSED_PAD src0_sel:BYTE_1 src1_sel:BYTE_1
	v_sub_u16_sdwa v127, v127, v133 dst_sel:DWORD dst_unused:UNUSED_PAD src0_sel:WORD_1 src1_sel:WORD_1
	v_sub_u16_sdwa v132, v132, v133 dst_sel:BYTE_1 dst_unused:UNUSED_PAD src0_sel:DWORD src1_sel:BYTE_3
	v_bitop3_b16 v134, v134, v135, s23 bitop3:0xec
	v_bitop3_b16 v127, v127, v132, s23 bitop3:0xec
	v_lshlrev_b32_e32 v127, 16, v127
	v_or_b32_sdwa v141, v134, v127 dst_sel:DWORD dst_unused:UNUSED_PAD src0_sel:WORD_0 src1_sel:DWORD
	ds_read2_b32 v[132:133], v125 offset1:1
	ds_read2_b32 v[134:135], v136 offset0:6 offset1:7
	s_waitcnt lgkmcnt(1)
	v_ashrrev_i32_e32 v125, s19, v132
	s_waitcnt lgkmcnt(0)
	v_ashrrev_i32_e32 v132, s3, v134
	v_lshlrev_b32_e32 v132, 2, v132
	v_bfe_u32 v127, v125, 24, 2
	v_and_b32_e32 v125, 0x3030303, v125
	v_and_b32_e32 v132, 0x4040404, v132
	v_sub_u16_e32 v134, v125, v132
	v_sub_u16_sdwa v136, v125, v132 dst_sel:BYTE_1 dst_unused:UNUSED_PAD src0_sel:BYTE_1 src1_sel:BYTE_1
	v_sub_u16_sdwa v125, v125, v132 dst_sel:DWORD dst_unused:UNUSED_PAD src0_sel:WORD_1 src1_sel:WORD_1
	v_sub_u16_sdwa v127, v127, v132 dst_sel:BYTE_1 dst_unused:UNUSED_PAD src0_sel:DWORD src1_sel:BYTE_3
	v_bitop3_b16 v134, v134, v136, s23 bitop3:0xec
	v_bitop3_b16 v125, v125, v127, s23 bitop3:0xec
	v_ashrrev_i32_e32 v127, s19, v133
	v_ashrrev_i32_e32 v133, s3, v135
	v_lshlrev_b32_e32 v133, 2, v133
	v_lshlrev_b32_e32 v125, 16, v125
	v_bfe_u32 v132, v127, 24, 2
	v_and_b32_e32 v127, 0x3030303, v127
	v_and_b32_e32 v133, 0x4040404, v133
	v_or_b32_sdwa v125, v134, v125 dst_sel:DWORD dst_unused:UNUSED_PAD src0_sel:WORD_0 src1_sel:DWORD
	v_sub_u16_e32 v134, v127, v133
	v_sub_u16_sdwa v135, v127, v133 dst_sel:BYTE_1 dst_unused:UNUSED_PAD src0_sel:BYTE_1 src1_sel:BYTE_1
	v_sub_u16_sdwa v127, v127, v133 dst_sel:DWORD dst_unused:UNUSED_PAD src0_sel:WORD_1 src1_sel:WORD_1
	v_sub_u16_sdwa v132, v132, v133 dst_sel:BYTE_1 dst_unused:UNUSED_PAD src0_sel:DWORD src1_sel:BYTE_3
	v_bitop3_b16 v134, v134, v135, s23 bitop3:0xec
	v_bitop3_b16 v127, v127, v132, s23 bitop3:0xec
	v_lshlrev_b32_e32 v127, 16, v127
	v_or_b32_sdwa v132, v134, v127 dst_sel:DWORD dst_unused:UNUSED_PAD src0_sel:WORD_0 src1_sel:DWORD
	v_mov_b32_e32 v134, 0
	v_add_u32_e32 v133, s30, v19
	v_add3_u32 v127, s29, v109, v111
	v_dot4c_i32_i8_e32 v134, v131, v6
	v_mov_b32_e32 v6, 0
	ds_read_b32 v127, v127
	v_dot4c_i32_i8_e32 v6, v140, v2
	ds_read_u16 v2, v133 offset:28418
	v_dot4c_i32_i8_e32 v134, v137, v7
	v_dot4c_i32_i8_e32 v134, v138, v8
	;; [unrolled: 1-line block ×5, first 2 shown]
	s_waitcnt lgkmcnt(0)
	v_lshrrev_b16_e32 v3, 8, v2
	v_bfe_i32 v2, v2, 0, 8
	v_dot4c_i32_i8_e32 v6, v132, v5
	v_bfe_i32 v5, v3, 0, 8
	v_mul_lo_u32 v4, v134, v2
	v_mad_u64_u32 v[2:3], s[30:31], v129, v130, v[128:129]
	v_mad_u64_u32 v[4:5], s[30:31], v6, v5, v[4:5]
	v_cvt_f32_i32_e32 v3, v4
	v_cvt_f32_i32_e32 v2, v2
	v_pk_mul_f32 v[6:7], v[124:125], v[126:127] op_sel_hi:[0,1]
	s_add_i32 s3, s3, 1
	s_cmp_lt_u32 s18, 14
	v_pk_fma_f32 v[40:41], v[6:7], v[2:3], v[40:41]
	s_mov_b32 s29, s18
	s_cbranch_scc1 .LBB210_19
; %bb.20:                               ;   in Loop: Header=BB210_5 Depth=1
	s_or_b32 s2, s27, 0x100
	s_cmp_ge_i32 s2, s5
	s_barrier
	s_cbranch_scc1 .LBB210_4
; %bb.21:                               ;   in Loop: Header=BB210_5 Depth=1
	v_add_u32_e32 v2, s28, v51
	v_cmp_gt_i32_e64 s[2:3], s8, v2
	s_and_b64 s[18:19], s[0:1], s[2:3]
	s_and_saveexec_b64 s[2:3], s[18:19]
	s_cbranch_execz .LBB210_23
; %bb.22:                               ;   in Loop: Header=BB210_5 Depth=1
	v_add_u32_e32 v2, v58, v2
	v_mad_i64_i32 v[2:3], s[18:19], v2, 36, v[56:57]
	global_load_dword v2, v[2:3], off offset:4
	s_waitcnt vmcnt(0)
	ds_write_b32 v47, v2
.LBB210_23:                             ;   in Loop: Header=BB210_5 Depth=1
	s_or_b64 exec, exec, s[2:3]
	s_and_saveexec_b64 s[18:19], vcc
	s_cbranch_execz .LBB210_26
; %bb.24:                               ;   in Loop: Header=BB210_5 Depth=1
	v_or_b32_e32 v2, 8, v122
	v_cmp_gt_i32_e64 s[2:3], s8, v2
	s_and_b64 s[2:3], s[0:1], s[2:3]
	s_and_b64 exec, exec, s[2:3]
	s_cbranch_execz .LBB210_26
; %bb.25:                               ;   in Loop: Header=BB210_5 Depth=1
	v_ashrrev_i32_e32 v123, 31, v122
	v_lshl_add_u64 v[2:3], v[58:59], 0, v[122:123]
	v_mad_u64_u32 v[4:5], s[2:3], v2, 36, s[14:15]
	v_mad_i32_i24 v5, v3, 36, v5
	global_load_dword v2, v[4:5], off offset:288
	s_waitcnt vmcnt(0)
	v_cvt_f32_f16_e32 v2, v2
	ds_write_b32 v79, v2
.LBB210_26:                             ;   in Loop: Header=BB210_5 Depth=1
	s_or_b64 exec, exec, s[18:19]
	s_mov_b32 s2, 16
	s_mov_b32 s29, 14
	;; [unrolled: 1-line block ×3, first 2 shown]
	v_mov_b32_e32 v121, v17
	v_mov_b32_e32 v123, v77
	s_waitcnt lgkmcnt(0)
	s_barrier
.LBB210_27:                             ;   Parent Loop BB210_5 Depth=1
                                        ; =>  This Inner Loop Header: Depth=2
	s_add_i32 s18, s29, 2
	s_lshr_b32 s33, s18, 4
	s_and_b32 s31, s18, 0x3ffffff8
	v_lshl_add_u32 v125, s31, 2, v55
	s_lshl_b32 s31, s33, 5
	s_addk_i32 s31, 0x4200
	v_add3_u32 v131, s31, v81, v83
	ds_read_b32 v124, v123
	ds_read_b128 v[6:9], v121
	ds_read_b128 v[2:5], v121 offset:16
	ds_read2_b32 v[126:127], v125 offset1:1
	ds_read2_b32 v[128:129], v131 offset1:1
	s_add_i32 s19, s29, -14
	s_and_b32 s30, s2, -16
	s_add_i32 s30, s29, s30
	s_waitcnt lgkmcnt(1)
	v_ashrrev_i32_e32 v126, s19, v126
	s_waitcnt lgkmcnt(0)
	v_ashrrev_i32_e32 v128, s3, v128
	v_lshlrev_b32_e32 v128, 2, v128
	v_bfe_u32 v130, v126, 24, 2
	v_and_b32_e32 v126, 0x3030303, v126
	v_and_b32_e32 v128, 0x4040404, v128
	v_sub_u16_e32 v132, v126, v128
	v_sub_u16_sdwa v133, v126, v128 dst_sel:BYTE_1 dst_unused:UNUSED_PAD src0_sel:BYTE_1 src1_sel:BYTE_1
	v_sub_u16_sdwa v126, v126, v128 dst_sel:DWORD dst_unused:UNUSED_PAD src0_sel:WORD_1 src1_sel:WORD_1
	v_sub_u16_sdwa v128, v130, v128 dst_sel:BYTE_1 dst_unused:UNUSED_PAD src0_sel:DWORD src1_sel:BYTE_3
	v_bitop3_b16 v132, v132, v133, s23 bitop3:0xec
	v_bitop3_b16 v126, v126, v128, s23 bitop3:0xec
	v_lshlrev_b32_e32 v126, 16, v126
	v_ashrrev_i32_e32 v128, s3, v129
	v_or_b32_sdwa v130, v132, v126 dst_sel:DWORD dst_unused:UNUSED_PAD src0_sel:WORD_0 src1_sel:DWORD
	v_ashrrev_i32_e32 v126, s19, v127
	v_lshlrev_b32_e32 v128, 2, v128
	v_bfe_u32 v127, v126, 24, 2
	v_and_b32_e32 v126, 0x3030303, v126
	v_and_b32_e32 v128, 0x4040404, v128
	v_sub_u16_e32 v129, v126, v128
	v_sub_u16_sdwa v132, v126, v128 dst_sel:BYTE_1 dst_unused:UNUSED_PAD src0_sel:BYTE_1 src1_sel:BYTE_1
	v_sub_u16_sdwa v126, v126, v128 dst_sel:DWORD dst_unused:UNUSED_PAD src0_sel:WORD_1 src1_sel:WORD_1
	v_sub_u16_sdwa v127, v127, v128 dst_sel:BYTE_1 dst_unused:UNUSED_PAD src0_sel:DWORD src1_sel:BYTE_3
	v_bitop3_b16 v129, v129, v132, s23 bitop3:0xec
	v_bitop3_b16 v126, v126, v127, s23 bitop3:0xec
	v_lshlrev_b32_e32 v126, 16, v126
	v_or_b32_sdwa v132, v129, v126 dst_sel:DWORD dst_unused:UNUSED_PAD src0_sel:WORD_0 src1_sel:DWORD
	ds_read2_b32 v[126:127], v125 offset0:2 offset1:3
	ds_read2_b32 v[128:129], v131 offset0:2 offset1:3
	s_lshl_b32 s29, s33, 2
	s_addk_i32 s29, 0x7380
	s_add_i32 s2, s2, 2
	s_waitcnt lgkmcnt(1)
	v_ashrrev_i32_e32 v126, s19, v126
	s_waitcnt lgkmcnt(0)
	v_ashrrev_i32_e32 v128, s3, v128
	v_lshlrev_b32_e32 v128, 2, v128
	v_bfe_u32 v133, v126, 24, 2
	v_and_b32_e32 v126, 0x3030303, v126
	v_and_b32_e32 v128, 0x4040404, v128
	v_sub_u16_e32 v134, v126, v128
	v_sub_u16_sdwa v135, v126, v128 dst_sel:BYTE_1 dst_unused:UNUSED_PAD src0_sel:BYTE_1 src1_sel:BYTE_1
	v_sub_u16_sdwa v126, v126, v128 dst_sel:DWORD dst_unused:UNUSED_PAD src0_sel:WORD_1 src1_sel:WORD_1
	v_sub_u16_sdwa v128, v133, v128 dst_sel:BYTE_1 dst_unused:UNUSED_PAD src0_sel:DWORD src1_sel:BYTE_3
	v_bitop3_b16 v134, v134, v135, s23 bitop3:0xec
	v_bitop3_b16 v126, v126, v128, s23 bitop3:0xec
	v_lshlrev_b32_e32 v126, 16, v126
	v_ashrrev_i32_e32 v128, s3, v129
	v_or_b32_sdwa v133, v134, v126 dst_sel:DWORD dst_unused:UNUSED_PAD src0_sel:WORD_0 src1_sel:DWORD
	v_ashrrev_i32_e32 v126, s19, v127
	v_lshlrev_b32_e32 v128, 2, v128
	v_bfe_u32 v127, v126, 24, 2
	v_and_b32_e32 v126, 0x3030303, v126
	v_and_b32_e32 v128, 0x4040404, v128
	v_sub_u16_e32 v129, v126, v128
	v_sub_u16_sdwa v134, v126, v128 dst_sel:BYTE_1 dst_unused:UNUSED_PAD src0_sel:BYTE_1 src1_sel:BYTE_1
	v_sub_u16_sdwa v126, v126, v128 dst_sel:DWORD dst_unused:UNUSED_PAD src0_sel:WORD_1 src1_sel:WORD_1
	v_sub_u16_sdwa v127, v127, v128 dst_sel:BYTE_1 dst_unused:UNUSED_PAD src0_sel:DWORD src1_sel:BYTE_3
	v_bitop3_b16 v129, v129, v134, s23 bitop3:0xec
	v_bitop3_b16 v126, v126, v127, s23 bitop3:0xec
	v_lshlrev_b32_e32 v126, 16, v126
	v_or_b32_sdwa v134, v129, v126 dst_sel:DWORD dst_unused:UNUSED_PAD src0_sel:WORD_0 src1_sel:DWORD
	ds_read2_b32 v[126:127], v125 offset0:4 offset1:5
	ds_read2_b32 v[128:129], v131 offset0:4 offset1:5
	v_add_u32_e32 v123, 4, v123
	v_add_u32_e32 v121, 32, v121
	s_waitcnt lgkmcnt(1)
	v_ashrrev_i32_e32 v126, s19, v126
	s_waitcnt lgkmcnt(0)
	v_ashrrev_i32_e32 v128, s3, v128
	v_lshlrev_b32_e32 v128, 2, v128
	v_bfe_u32 v135, v126, 24, 2
	v_and_b32_e32 v126, 0x3030303, v126
	v_and_b32_e32 v128, 0x4040404, v128
	v_sub_u16_e32 v136, v126, v128
	v_sub_u16_sdwa v137, v126, v128 dst_sel:BYTE_1 dst_unused:UNUSED_PAD src0_sel:BYTE_1 src1_sel:BYTE_1
	v_sub_u16_sdwa v126, v126, v128 dst_sel:DWORD dst_unused:UNUSED_PAD src0_sel:WORD_1 src1_sel:WORD_1
	v_sub_u16_sdwa v128, v135, v128 dst_sel:BYTE_1 dst_unused:UNUSED_PAD src0_sel:DWORD src1_sel:BYTE_3
	v_bitop3_b16 v136, v136, v137, s23 bitop3:0xec
	v_bitop3_b16 v126, v126, v128, s23 bitop3:0xec
	v_lshlrev_b32_e32 v126, 16, v126
	v_ashrrev_i32_e32 v128, s3, v129
	v_or_b32_sdwa v135, v136, v126 dst_sel:DWORD dst_unused:UNUSED_PAD src0_sel:WORD_0 src1_sel:DWORD
	v_ashrrev_i32_e32 v126, s19, v127
	v_lshlrev_b32_e32 v128, 2, v128
	v_bfe_u32 v127, v126, 24, 2
	v_and_b32_e32 v126, 0x3030303, v126
	v_and_b32_e32 v128, 0x4040404, v128
	v_sub_u16_e32 v129, v126, v128
	v_sub_u16_sdwa v136, v126, v128 dst_sel:BYTE_1 dst_unused:UNUSED_PAD src0_sel:BYTE_1 src1_sel:BYTE_1
	v_sub_u16_sdwa v126, v126, v128 dst_sel:DWORD dst_unused:UNUSED_PAD src0_sel:WORD_1 src1_sel:WORD_1
	v_sub_u16_sdwa v127, v127, v128 dst_sel:BYTE_1 dst_unused:UNUSED_PAD src0_sel:DWORD src1_sel:BYTE_3
	v_bitop3_b16 v129, v129, v136, s23 bitop3:0xec
	v_bitop3_b16 v126, v126, v127, s23 bitop3:0xec
	v_lshlrev_b32_e32 v126, 16, v126
	v_or_b32_sdwa v136, v129, v126 dst_sel:DWORD dst_unused:UNUSED_PAD src0_sel:WORD_0 src1_sel:DWORD
	ds_read2_b32 v[126:127], v125 offset0:6 offset1:7
	ds_read2_b32 v[128:129], v131 offset0:6 offset1:7
	s_waitcnt lgkmcnt(1)
	v_ashrrev_i32_e32 v126, s19, v126
	s_waitcnt lgkmcnt(0)
	v_ashrrev_i32_e32 v128, s3, v128
	v_lshlrev_b32_e32 v128, 2, v128
	v_bfe_u32 v137, v126, 24, 2
	v_and_b32_e32 v126, 0x3030303, v126
	v_and_b32_e32 v128, 0x4040404, v128
	v_sub_u16_e32 v131, v126, v128
	v_sub_u16_sdwa v138, v126, v128 dst_sel:BYTE_1 dst_unused:UNUSED_PAD src0_sel:BYTE_1 src1_sel:BYTE_1
	v_sub_u16_sdwa v126, v126, v128 dst_sel:DWORD dst_unused:UNUSED_PAD src0_sel:WORD_1 src1_sel:WORD_1
	v_sub_u16_sdwa v128, v137, v128 dst_sel:BYTE_1 dst_unused:UNUSED_PAD src0_sel:DWORD src1_sel:BYTE_3
	v_bitop3_b16 v131, v131, v138, s23 bitop3:0xec
	v_bitop3_b16 v126, v126, v128, s23 bitop3:0xec
	v_lshlrev_b32_e32 v126, 16, v126
	v_ashrrev_i32_e32 v129, s3, v129
	v_or_b32_sdwa v128, v131, v126 dst_sel:DWORD dst_unused:UNUSED_PAD src0_sel:WORD_0 src1_sel:DWORD
	v_ashrrev_i32_e32 v126, s19, v127
	v_lshlrev_b32_e32 v129, 2, v129
	v_bfe_u32 v127, v126, 24, 2
	v_and_b32_e32 v126, 0x3030303, v126
	v_and_b32_e32 v129, 0x4040404, v129
	v_sub_u16_e32 v131, v126, v129
	v_sub_u16_sdwa v137, v126, v129 dst_sel:BYTE_1 dst_unused:UNUSED_PAD src0_sel:BYTE_1 src1_sel:BYTE_1
	v_sub_u16_sdwa v126, v126, v129 dst_sel:DWORD dst_unused:UNUSED_PAD src0_sel:WORD_1 src1_sel:WORD_1
	v_sub_u16_sdwa v127, v127, v129 dst_sel:BYTE_1 dst_unused:UNUSED_PAD src0_sel:DWORD src1_sel:BYTE_3
	v_bitop3_b16 v131, v131, v137, s23 bitop3:0xec
	v_bitop3_b16 v126, v126, v127, s23 bitop3:0xec
	v_lshlrev_b32_e32 v126, 16, v126
	v_or_b32_sdwa v127, v131, v126 dst_sel:DWORD dst_unused:UNUSED_PAD src0_sel:WORD_0 src1_sel:DWORD
	v_mov_b32_e32 v131, 0
	v_dot4c_i32_i8_e32 v131, v130, v6
	v_dot4c_i32_i8_e32 v131, v132, v7
	;; [unrolled: 1-line block ×4, first 2 shown]
	v_mov_b32_e32 v134, 0
	v_dot4c_i32_i8_e32 v134, v135, v2
	v_dot4c_i32_i8_e32 v134, v136, v3
	v_add_u32_e32 v129, s30, v25
	v_dot4c_i32_i8_e32 v134, v128, v4
	v_dot4c_i32_i8_e32 v134, v127, v5
	ds_read_u16 v127, v129 offset:25330
	v_add3_u32 v126, s29, v119, v87
	v_add3_u32 v135, s31, v89, v91
	ds_read_b32 v126, v126
	ds_read2_b32 v[132:133], v135 offset1:1
	s_waitcnt lgkmcnt(2)
	v_lshrrev_b16_e32 v128, 8, v127
	v_bfe_i32 v127, v127, 0, 8
	v_bfe_i32 v129, v128, 0, 8
	v_mul_lo_u32 v128, v131, v127
	v_add_u32_e32 v127, 0x1080, v125
	ds_read2_b32 v[130:131], v127 offset1:1
	s_waitcnt lgkmcnt(1)
	v_ashrrev_i32_e32 v132, s3, v132
	v_lshlrev_b32_e32 v132, 2, v132
	v_and_b32_e32 v132, 0x4040404, v132
	v_mad_u64_u32 v[128:129], s[34:35], v134, v129, v[128:129]
	s_waitcnt lgkmcnt(0)
	v_ashrrev_i32_e32 v127, s19, v130
	v_bfe_u32 v130, v127, 24, 2
	v_and_b32_e32 v127, 0x3030303, v127
	v_sub_u16_e32 v136, v127, v132
	v_sub_u16_sdwa v137, v127, v132 dst_sel:BYTE_1 dst_unused:UNUSED_PAD src0_sel:BYTE_1 src1_sel:BYTE_1
	v_sub_u16_sdwa v127, v127, v132 dst_sel:DWORD dst_unused:UNUSED_PAD src0_sel:WORD_1 src1_sel:WORD_1
	v_sub_u16_sdwa v130, v130, v132 dst_sel:BYTE_1 dst_unused:UNUSED_PAD src0_sel:DWORD src1_sel:BYTE_3
	v_bitop3_b16 v136, v136, v137, s23 bitop3:0xec
	v_bitop3_b16 v127, v127, v130, s23 bitop3:0xec
	v_lshlrev_b32_e32 v127, 16, v127
	v_or_b32_sdwa v136, v136, v127 dst_sel:DWORD dst_unused:UNUSED_PAD src0_sel:WORD_0 src1_sel:DWORD
	v_ashrrev_i32_e32 v127, s19, v131
	v_ashrrev_i32_e32 v131, s3, v133
	v_lshlrev_b32_e32 v131, 2, v131
	v_bfe_u32 v130, v127, 24, 2
	v_and_b32_e32 v127, 0x3030303, v127
	v_and_b32_e32 v131, 0x4040404, v131
	v_sub_u16_e32 v132, v127, v131
	v_sub_u16_sdwa v133, v127, v131 dst_sel:BYTE_1 dst_unused:UNUSED_PAD src0_sel:BYTE_1 src1_sel:BYTE_1
	v_sub_u16_sdwa v127, v127, v131 dst_sel:DWORD dst_unused:UNUSED_PAD src0_sel:WORD_1 src1_sel:WORD_1
	v_sub_u16_sdwa v130, v130, v131 dst_sel:BYTE_1 dst_unused:UNUSED_PAD src0_sel:DWORD src1_sel:BYTE_3
	v_bitop3_b16 v132, v132, v133, s23 bitop3:0xec
	v_bitop3_b16 v127, v127, v130, s23 bitop3:0xec
	v_lshlrev_b32_e32 v127, 16, v127
	v_or_b32_sdwa v137, v132, v127 dst_sel:DWORD dst_unused:UNUSED_PAD src0_sel:WORD_0 src1_sel:DWORD
	v_add_u32_e32 v127, 0x1088, v125
	ds_read2_b32 v[130:131], v127 offset1:1
	ds_read2_b32 v[132:133], v135 offset0:2 offset1:3
	v_cvt_f32_i32_e32 v128, v128
	s_waitcnt lgkmcnt(1)
	v_ashrrev_i32_e32 v127, s19, v130
	s_waitcnt lgkmcnt(0)
	v_ashrrev_i32_e32 v132, s3, v132
	v_lshlrev_b32_e32 v132, 2, v132
	v_bfe_u32 v130, v127, 24, 2
	v_and_b32_e32 v127, 0x3030303, v127
	v_and_b32_e32 v132, 0x4040404, v132
	v_sub_u16_e32 v138, v127, v132
	v_sub_u16_sdwa v139, v127, v132 dst_sel:BYTE_1 dst_unused:UNUSED_PAD src0_sel:BYTE_1 src1_sel:BYTE_1
	v_sub_u16_sdwa v127, v127, v132 dst_sel:DWORD dst_unused:UNUSED_PAD src0_sel:WORD_1 src1_sel:WORD_1
	v_sub_u16_sdwa v130, v130, v132 dst_sel:BYTE_1 dst_unused:UNUSED_PAD src0_sel:DWORD src1_sel:BYTE_3
	v_bitop3_b16 v138, v138, v139, s23 bitop3:0xec
	v_bitop3_b16 v127, v127, v130, s23 bitop3:0xec
	v_lshlrev_b32_e32 v127, 16, v127
	v_or_b32_sdwa v138, v138, v127 dst_sel:DWORD dst_unused:UNUSED_PAD src0_sel:WORD_0 src1_sel:DWORD
	v_ashrrev_i32_e32 v127, s19, v131
	v_ashrrev_i32_e32 v131, s3, v133
	v_lshlrev_b32_e32 v131, 2, v131
	v_bfe_u32 v130, v127, 24, 2
	v_and_b32_e32 v127, 0x3030303, v127
	v_and_b32_e32 v131, 0x4040404, v131
	v_sub_u16_e32 v132, v127, v131
	v_sub_u16_sdwa v133, v127, v131 dst_sel:BYTE_1 dst_unused:UNUSED_PAD src0_sel:BYTE_1 src1_sel:BYTE_1
	v_sub_u16_sdwa v127, v127, v131 dst_sel:DWORD dst_unused:UNUSED_PAD src0_sel:WORD_1 src1_sel:WORD_1
	v_sub_u16_sdwa v130, v130, v131 dst_sel:BYTE_1 dst_unused:UNUSED_PAD src0_sel:DWORD src1_sel:BYTE_3
	v_bitop3_b16 v132, v132, v133, s23 bitop3:0xec
	v_bitop3_b16 v127, v127, v130, s23 bitop3:0xec
	v_lshlrev_b32_e32 v127, 16, v127
	v_or_b32_sdwa v139, v132, v127 dst_sel:DWORD dst_unused:UNUSED_PAD src0_sel:WORD_0 src1_sel:DWORD
	v_add_u32_e32 v127, 0x1090, v125
	ds_read2_b32 v[130:131], v127 offset1:1
	ds_read2_b32 v[132:133], v135 offset0:4 offset1:5
	s_waitcnt lgkmcnt(1)
	v_ashrrev_i32_e32 v127, s19, v130
	s_waitcnt lgkmcnt(0)
	v_ashrrev_i32_e32 v132, s3, v132
	v_lshlrev_b32_e32 v132, 2, v132
	v_bfe_u32 v130, v127, 24, 2
	v_and_b32_e32 v127, 0x3030303, v127
	v_and_b32_e32 v132, 0x4040404, v132
	v_sub_u16_e32 v140, v127, v132
	v_sub_u16_sdwa v141, v127, v132 dst_sel:BYTE_1 dst_unused:UNUSED_PAD src0_sel:BYTE_1 src1_sel:BYTE_1
	v_sub_u16_sdwa v127, v127, v132 dst_sel:DWORD dst_unused:UNUSED_PAD src0_sel:WORD_1 src1_sel:WORD_1
	v_sub_u16_sdwa v130, v130, v132 dst_sel:BYTE_1 dst_unused:UNUSED_PAD src0_sel:DWORD src1_sel:BYTE_3
	v_bitop3_b16 v140, v140, v141, s23 bitop3:0xec
	v_bitop3_b16 v127, v127, v130, s23 bitop3:0xec
	v_lshlrev_b32_e32 v127, 16, v127
	v_or_b32_sdwa v140, v140, v127 dst_sel:DWORD dst_unused:UNUSED_PAD src0_sel:WORD_0 src1_sel:DWORD
	v_ashrrev_i32_e32 v127, s19, v131
	v_ashrrev_i32_e32 v131, s3, v133
	v_lshlrev_b32_e32 v131, 2, v131
	v_bfe_u32 v130, v127, 24, 2
	v_and_b32_e32 v127, 0x3030303, v127
	v_and_b32_e32 v131, 0x4040404, v131
	v_sub_u16_e32 v132, v127, v131
	v_sub_u16_sdwa v133, v127, v131 dst_sel:BYTE_1 dst_unused:UNUSED_PAD src0_sel:BYTE_1 src1_sel:BYTE_1
	v_sub_u16_sdwa v127, v127, v131 dst_sel:DWORD dst_unused:UNUSED_PAD src0_sel:WORD_1 src1_sel:WORD_1
	v_sub_u16_sdwa v130, v130, v131 dst_sel:BYTE_1 dst_unused:UNUSED_PAD src0_sel:DWORD src1_sel:BYTE_3
	v_bitop3_b16 v132, v132, v133, s23 bitop3:0xec
	v_bitop3_b16 v127, v127, v130, s23 bitop3:0xec
	v_lshlrev_b32_e32 v127, 16, v127
	v_or_b32_sdwa v141, v132, v127 dst_sel:DWORD dst_unused:UNUSED_PAD src0_sel:WORD_0 src1_sel:DWORD
	v_add_u32_e32 v127, 0x1098, v125
	ds_read2_b32 v[130:131], v127 offset1:1
	ds_read2_b32 v[132:133], v135 offset0:6 offset1:7
	s_waitcnt lgkmcnt(1)
	v_ashrrev_i32_e32 v127, s19, v130
	s_waitcnt lgkmcnt(0)
	v_ashrrev_i32_e32 v132, s3, v132
	v_lshlrev_b32_e32 v132, 2, v132
	v_bfe_u32 v130, v127, 24, 2
	v_and_b32_e32 v127, 0x3030303, v127
	v_and_b32_e32 v132, 0x4040404, v132
	v_sub_u16_e32 v135, v127, v132
	v_sub_u16_sdwa v142, v127, v132 dst_sel:BYTE_1 dst_unused:UNUSED_PAD src0_sel:BYTE_1 src1_sel:BYTE_1
	v_sub_u16_sdwa v127, v127, v132 dst_sel:DWORD dst_unused:UNUSED_PAD src0_sel:WORD_1 src1_sel:WORD_1
	v_sub_u16_sdwa v130, v130, v132 dst_sel:BYTE_1 dst_unused:UNUSED_PAD src0_sel:DWORD src1_sel:BYTE_3
	v_bitop3_b16 v135, v135, v142, s23 bitop3:0xec
	v_bitop3_b16 v127, v127, v130, s23 bitop3:0xec
	v_lshlrev_b32_e32 v127, 16, v127
	v_or_b32_sdwa v132, v135, v127 dst_sel:DWORD dst_unused:UNUSED_PAD src0_sel:WORD_0 src1_sel:DWORD
	v_ashrrev_i32_e32 v127, s19, v131
	v_ashrrev_i32_e32 v131, s3, v133
	v_lshlrev_b32_e32 v131, 2, v131
	v_bfe_u32 v130, v127, 24, 2
	v_and_b32_e32 v127, 0x3030303, v127
	v_and_b32_e32 v131, 0x4040404, v131
	v_sub_u16_e32 v133, v127, v131
	v_sub_u16_sdwa v135, v127, v131 dst_sel:BYTE_1 dst_unused:UNUSED_PAD src0_sel:BYTE_1 src1_sel:BYTE_1
	v_sub_u16_sdwa v127, v127, v131 dst_sel:DWORD dst_unused:UNUSED_PAD src0_sel:WORD_1 src1_sel:WORD_1
	v_sub_u16_sdwa v130, v130, v131 dst_sel:BYTE_1 dst_unused:UNUSED_PAD src0_sel:DWORD src1_sel:BYTE_3
	v_bitop3_b16 v133, v133, v135, s23 bitop3:0xec
	v_bitop3_b16 v127, v127, v130, s23 bitop3:0xec
	v_lshlrev_b32_e32 v127, 16, v127
	v_or_b32_sdwa v131, v133, v127 dst_sel:DWORD dst_unused:UNUSED_PAD src0_sel:WORD_0 src1_sel:DWORD
	v_add_u32_e32 v130, s30, v23
	v_add3_u32 v127, s29, v93, v95
	ds_read_b32 v127, v127
	ds_read_u16 v130, v130 offset:26354
	v_mov_b32_e32 v133, 0
	v_dot4c_i32_i8_e32 v133, v136, v6
	v_dot4c_i32_i8_e32 v133, v137, v7
	;; [unrolled: 1-line block ×4, first 2 shown]
	s_waitcnt lgkmcnt(0)
	v_lshrrev_b16_e32 v135, 8, v130
	v_bfe_i32 v130, v130, 0, 8
	v_pk_mul_f32 v[126:127], v[124:125], v[126:127] op_sel_hi:[0,1]
	v_mul_lo_u32 v130, v133, v130
	v_mov_b32_e32 v133, 0
	v_dot4c_i32_i8_e32 v133, v140, v2
	v_dot4c_i32_i8_e32 v133, v141, v3
	;; [unrolled: 1-line block ×4, first 2 shown]
	v_bfe_i32 v131, v135, 0, 8
	s_nop 1
	v_mad_u64_u32 v[130:131], s[34:35], v133, v131, v[130:131]
	v_cvt_f32_i32_e32 v129, v130
	v_add3_u32 v131, s31, v97, v99
	v_pk_fma_f32 v[42:43], v[126:127], v[128:129], v[42:43]
	v_add_u32_e32 v126, 0x2100, v125
	ds_read2_b32 v[126:127], v126 offset1:1
	ds_read2_b32 v[128:129], v131 offset1:1
	s_waitcnt lgkmcnt(1)
	v_ashrrev_i32_e32 v126, s19, v126
	s_waitcnt lgkmcnt(0)
	v_ashrrev_i32_e32 v128, s3, v128
	v_lshlrev_b32_e32 v128, 2, v128
	v_bfe_u32 v130, v126, 24, 2
	v_and_b32_e32 v126, 0x3030303, v126
	v_and_b32_e32 v128, 0x4040404, v128
	v_sub_u16_e32 v132, v126, v128
	v_sub_u16_sdwa v133, v126, v128 dst_sel:BYTE_1 dst_unused:UNUSED_PAD src0_sel:BYTE_1 src1_sel:BYTE_1
	v_sub_u16_sdwa v126, v126, v128 dst_sel:DWORD dst_unused:UNUSED_PAD src0_sel:WORD_1 src1_sel:WORD_1
	v_sub_u16_sdwa v128, v130, v128 dst_sel:BYTE_1 dst_unused:UNUSED_PAD src0_sel:DWORD src1_sel:BYTE_3
	v_bitop3_b16 v132, v132, v133, s23 bitop3:0xec
	v_bitop3_b16 v126, v126, v128, s23 bitop3:0xec
	v_lshlrev_b32_e32 v126, 16, v126
	v_ashrrev_i32_e32 v128, s3, v129
	v_or_b32_sdwa v130, v132, v126 dst_sel:DWORD dst_unused:UNUSED_PAD src0_sel:WORD_0 src1_sel:DWORD
	v_ashrrev_i32_e32 v126, s19, v127
	v_lshlrev_b32_e32 v128, 2, v128
	v_bfe_u32 v127, v126, 24, 2
	v_and_b32_e32 v126, 0x3030303, v126
	v_and_b32_e32 v128, 0x4040404, v128
	v_sub_u16_e32 v129, v126, v128
	v_sub_u16_sdwa v132, v126, v128 dst_sel:BYTE_1 dst_unused:UNUSED_PAD src0_sel:BYTE_1 src1_sel:BYTE_1
	v_sub_u16_sdwa v126, v126, v128 dst_sel:DWORD dst_unused:UNUSED_PAD src0_sel:WORD_1 src1_sel:WORD_1
	v_sub_u16_sdwa v127, v127, v128 dst_sel:BYTE_1 dst_unused:UNUSED_PAD src0_sel:DWORD src1_sel:BYTE_3
	v_bitop3_b16 v129, v129, v132, s23 bitop3:0xec
	v_bitop3_b16 v126, v126, v127, s23 bitop3:0xec
	v_lshlrev_b32_e32 v126, 16, v126
	v_or_b32_sdwa v132, v129, v126 dst_sel:DWORD dst_unused:UNUSED_PAD src0_sel:WORD_0 src1_sel:DWORD
	v_add_u32_e32 v126, 0x2108, v125
	ds_read2_b32 v[126:127], v126 offset1:1
	ds_read2_b32 v[128:129], v131 offset0:2 offset1:3
	s_waitcnt lgkmcnt(1)
	v_ashrrev_i32_e32 v126, s19, v126
	s_waitcnt lgkmcnt(0)
	v_ashrrev_i32_e32 v128, s3, v128
	v_lshlrev_b32_e32 v128, 2, v128
	v_bfe_u32 v133, v126, 24, 2
	v_and_b32_e32 v126, 0x3030303, v126
	v_and_b32_e32 v128, 0x4040404, v128
	v_sub_u16_e32 v134, v126, v128
	v_sub_u16_sdwa v135, v126, v128 dst_sel:BYTE_1 dst_unused:UNUSED_PAD src0_sel:BYTE_1 src1_sel:BYTE_1
	v_sub_u16_sdwa v126, v126, v128 dst_sel:DWORD dst_unused:UNUSED_PAD src0_sel:WORD_1 src1_sel:WORD_1
	v_sub_u16_sdwa v128, v133, v128 dst_sel:BYTE_1 dst_unused:UNUSED_PAD src0_sel:DWORD src1_sel:BYTE_3
	v_bitop3_b16 v134, v134, v135, s23 bitop3:0xec
	v_bitop3_b16 v126, v126, v128, s23 bitop3:0xec
	v_lshlrev_b32_e32 v126, 16, v126
	v_ashrrev_i32_e32 v128, s3, v129
	v_or_b32_sdwa v133, v134, v126 dst_sel:DWORD dst_unused:UNUSED_PAD src0_sel:WORD_0 src1_sel:DWORD
	v_ashrrev_i32_e32 v126, s19, v127
	v_lshlrev_b32_e32 v128, 2, v128
	v_bfe_u32 v127, v126, 24, 2
	v_and_b32_e32 v126, 0x3030303, v126
	v_and_b32_e32 v128, 0x4040404, v128
	v_sub_u16_e32 v129, v126, v128
	v_sub_u16_sdwa v134, v126, v128 dst_sel:BYTE_1 dst_unused:UNUSED_PAD src0_sel:BYTE_1 src1_sel:BYTE_1
	v_sub_u16_sdwa v126, v126, v128 dst_sel:DWORD dst_unused:UNUSED_PAD src0_sel:WORD_1 src1_sel:WORD_1
	v_sub_u16_sdwa v127, v127, v128 dst_sel:BYTE_1 dst_unused:UNUSED_PAD src0_sel:DWORD src1_sel:BYTE_3
	v_bitop3_b16 v129, v129, v134, s23 bitop3:0xec
	v_bitop3_b16 v126, v126, v127, s23 bitop3:0xec
	v_lshlrev_b32_e32 v126, 16, v126
	v_or_b32_sdwa v134, v129, v126 dst_sel:DWORD dst_unused:UNUSED_PAD src0_sel:WORD_0 src1_sel:DWORD
	v_add_u32_e32 v126, 0x2110, v125
	ds_read2_b32 v[126:127], v126 offset1:1
	ds_read2_b32 v[128:129], v131 offset0:4 offset1:5
	;; [unrolled: 33-line block ×3, first 2 shown]
	s_waitcnt lgkmcnt(1)
	v_ashrrev_i32_e32 v126, s19, v126
	s_waitcnt lgkmcnt(0)
	v_ashrrev_i32_e32 v128, s3, v128
	v_lshlrev_b32_e32 v128, 2, v128
	v_bfe_u32 v137, v126, 24, 2
	v_and_b32_e32 v126, 0x3030303, v126
	v_and_b32_e32 v128, 0x4040404, v128
	v_sub_u16_e32 v131, v126, v128
	v_sub_u16_sdwa v138, v126, v128 dst_sel:BYTE_1 dst_unused:UNUSED_PAD src0_sel:BYTE_1 src1_sel:BYTE_1
	v_sub_u16_sdwa v126, v126, v128 dst_sel:DWORD dst_unused:UNUSED_PAD src0_sel:WORD_1 src1_sel:WORD_1
	v_sub_u16_sdwa v128, v137, v128 dst_sel:BYTE_1 dst_unused:UNUSED_PAD src0_sel:DWORD src1_sel:BYTE_3
	v_bitop3_b16 v131, v131, v138, s23 bitop3:0xec
	v_bitop3_b16 v126, v126, v128, s23 bitop3:0xec
	v_lshlrev_b32_e32 v126, 16, v126
	v_ashrrev_i32_e32 v129, s3, v129
	v_or_b32_sdwa v128, v131, v126 dst_sel:DWORD dst_unused:UNUSED_PAD src0_sel:WORD_0 src1_sel:DWORD
	v_ashrrev_i32_e32 v126, s19, v127
	v_lshlrev_b32_e32 v129, 2, v129
	v_bfe_u32 v127, v126, 24, 2
	v_and_b32_e32 v126, 0x3030303, v126
	v_and_b32_e32 v129, 0x4040404, v129
	v_sub_u16_e32 v131, v126, v129
	v_sub_u16_sdwa v137, v126, v129 dst_sel:BYTE_1 dst_unused:UNUSED_PAD src0_sel:BYTE_1 src1_sel:BYTE_1
	v_sub_u16_sdwa v126, v126, v129 dst_sel:DWORD dst_unused:UNUSED_PAD src0_sel:WORD_1 src1_sel:WORD_1
	v_sub_u16_sdwa v127, v127, v129 dst_sel:BYTE_1 dst_unused:UNUSED_PAD src0_sel:DWORD src1_sel:BYTE_3
	v_mov_b32_e32 v129, 0
	v_bitop3_b16 v126, v126, v127, s23 bitop3:0xec
	v_dot4c_i32_i8_e32 v129, v135, v2
	v_bitop3_b16 v131, v131, v137, s23 bitop3:0xec
	v_lshlrev_b32_e32 v126, 16, v126
	v_dot4c_i32_i8_e32 v129, v136, v3
	v_or_b32_sdwa v127, v131, v126 dst_sel:DWORD dst_unused:UNUSED_PAD src0_sel:WORD_0 src1_sel:DWORD
	v_add_u32_e32 v131, s30, v21
	v_dot4c_i32_i8_e32 v129, v128, v4
	v_dot4c_i32_i8_e32 v129, v127, v5
	ds_read_u16 v127, v131 offset:27378
	v_mov_b32_e32 v137, 0
	v_dot4c_i32_i8_e32 v137, v130, v6
	v_dot4c_i32_i8_e32 v137, v132, v7
	;; [unrolled: 1-line block ×4, first 2 shown]
	s_waitcnt lgkmcnt(0)
	v_lshrrev_b16_e32 v128, 8, v127
	v_bfe_i32 v127, v127, 0, 8
	v_add3_u32 v126, s29, v101, v103
	v_bfe_i32 v130, v128, 0, 8
	v_mul_lo_u32 v128, v137, v127
	v_add_u32_e32 v127, 0x3180, v125
	v_add3_u32 v136, s31, v105, v107
	ds_read_b32 v126, v126
	ds_read2_b32 v[132:133], v127 offset1:1
	ds_read2_b32 v[134:135], v136 offset1:1
	s_waitcnt lgkmcnt(1)
	v_ashrrev_i32_e32 v127, s19, v132
	s_waitcnt lgkmcnt(0)
	v_ashrrev_i32_e32 v132, s3, v134
	v_lshlrev_b32_e32 v132, 2, v132
	v_bfe_u32 v131, v127, 24, 2
	v_and_b32_e32 v127, 0x3030303, v127
	v_and_b32_e32 v132, 0x4040404, v132
	v_sub_u16_e32 v134, v127, v132
	v_sub_u16_sdwa v137, v127, v132 dst_sel:BYTE_1 dst_unused:UNUSED_PAD src0_sel:BYTE_1 src1_sel:BYTE_1
	v_sub_u16_sdwa v127, v127, v132 dst_sel:DWORD dst_unused:UNUSED_PAD src0_sel:WORD_1 src1_sel:WORD_1
	v_sub_u16_sdwa v131, v131, v132 dst_sel:BYTE_1 dst_unused:UNUSED_PAD src0_sel:DWORD src1_sel:BYTE_3
	v_bitop3_b16 v134, v134, v137, s23 bitop3:0xec
	v_bitop3_b16 v127, v127, v131, s23 bitop3:0xec
	v_lshlrev_b32_e32 v127, 16, v127
	v_or_b32_sdwa v131, v134, v127 dst_sel:DWORD dst_unused:UNUSED_PAD src0_sel:WORD_0 src1_sel:DWORD
	v_ashrrev_i32_e32 v127, s19, v133
	v_ashrrev_i32_e32 v133, s3, v135
	v_lshlrev_b32_e32 v133, 2, v133
	v_bfe_u32 v132, v127, 24, 2
	v_and_b32_e32 v127, 0x3030303, v127
	v_and_b32_e32 v133, 0x4040404, v133
	v_sub_u16_e32 v134, v127, v133
	v_sub_u16_sdwa v135, v127, v133 dst_sel:BYTE_1 dst_unused:UNUSED_PAD src0_sel:BYTE_1 src1_sel:BYTE_1
	v_sub_u16_sdwa v127, v127, v133 dst_sel:DWORD dst_unused:UNUSED_PAD src0_sel:WORD_1 src1_sel:WORD_1
	v_sub_u16_sdwa v132, v132, v133 dst_sel:BYTE_1 dst_unused:UNUSED_PAD src0_sel:DWORD src1_sel:BYTE_3
	v_bitop3_b16 v134, v134, v135, s23 bitop3:0xec
	v_bitop3_b16 v127, v127, v132, s23 bitop3:0xec
	v_lshlrev_b32_e32 v127, 16, v127
	v_or_b32_sdwa v137, v134, v127 dst_sel:DWORD dst_unused:UNUSED_PAD src0_sel:WORD_0 src1_sel:DWORD
	v_add_u32_e32 v127, 0x3188, v125
	ds_read2_b32 v[132:133], v127 offset1:1
	ds_read2_b32 v[134:135], v136 offset0:2 offset1:3
	s_waitcnt lgkmcnt(1)
	v_ashrrev_i32_e32 v127, s19, v132
	s_waitcnt lgkmcnt(0)
	v_ashrrev_i32_e32 v134, s3, v134
	v_lshlrev_b32_e32 v134, 2, v134
	v_bfe_u32 v132, v127, 24, 2
	v_and_b32_e32 v127, 0x3030303, v127
	v_and_b32_e32 v134, 0x4040404, v134
	v_sub_u16_e32 v138, v127, v134
	v_sub_u16_sdwa v139, v127, v134 dst_sel:BYTE_1 dst_unused:UNUSED_PAD src0_sel:BYTE_1 src1_sel:BYTE_1
	v_sub_u16_sdwa v127, v127, v134 dst_sel:DWORD dst_unused:UNUSED_PAD src0_sel:WORD_1 src1_sel:WORD_1
	v_sub_u16_sdwa v132, v132, v134 dst_sel:BYTE_1 dst_unused:UNUSED_PAD src0_sel:DWORD src1_sel:BYTE_3
	v_bitop3_b16 v138, v138, v139, s23 bitop3:0xec
	v_bitop3_b16 v127, v127, v132, s23 bitop3:0xec
	v_lshlrev_b32_e32 v127, 16, v127
	v_or_b32_sdwa v138, v138, v127 dst_sel:DWORD dst_unused:UNUSED_PAD src0_sel:WORD_0 src1_sel:DWORD
	v_ashrrev_i32_e32 v127, s19, v133
	v_ashrrev_i32_e32 v133, s3, v135
	v_lshlrev_b32_e32 v133, 2, v133
	v_bfe_u32 v132, v127, 24, 2
	v_and_b32_e32 v127, 0x3030303, v127
	v_and_b32_e32 v133, 0x4040404, v133
	v_sub_u16_e32 v134, v127, v133
	v_sub_u16_sdwa v135, v127, v133 dst_sel:BYTE_1 dst_unused:UNUSED_PAD src0_sel:BYTE_1 src1_sel:BYTE_1
	v_sub_u16_sdwa v127, v127, v133 dst_sel:DWORD dst_unused:UNUSED_PAD src0_sel:WORD_1 src1_sel:WORD_1
	v_sub_u16_sdwa v132, v132, v133 dst_sel:BYTE_1 dst_unused:UNUSED_PAD src0_sel:DWORD src1_sel:BYTE_3
	v_bitop3_b16 v134, v134, v135, s23 bitop3:0xec
	v_bitop3_b16 v127, v127, v132, s23 bitop3:0xec
	v_lshlrev_b32_e32 v127, 16, v127
	v_or_b32_sdwa v139, v134, v127 dst_sel:DWORD dst_unused:UNUSED_PAD src0_sel:WORD_0 src1_sel:DWORD
	v_add_u32_e32 v127, 0x3190, v125
	ds_read2_b32 v[132:133], v127 offset1:1
	ds_read2_b32 v[134:135], v136 offset0:4 offset1:5
	v_add_u32_e32 v125, 0x3198, v125
	s_waitcnt lgkmcnt(1)
	v_ashrrev_i32_e32 v127, s19, v132
	s_waitcnt lgkmcnt(0)
	v_ashrrev_i32_e32 v134, s3, v134
	v_lshlrev_b32_e32 v134, 2, v134
	v_bfe_u32 v132, v127, 24, 2
	v_and_b32_e32 v127, 0x3030303, v127
	v_and_b32_e32 v134, 0x4040404, v134
	v_sub_u16_e32 v140, v127, v134
	v_sub_u16_sdwa v141, v127, v134 dst_sel:BYTE_1 dst_unused:UNUSED_PAD src0_sel:BYTE_1 src1_sel:BYTE_1
	v_sub_u16_sdwa v127, v127, v134 dst_sel:DWORD dst_unused:UNUSED_PAD src0_sel:WORD_1 src1_sel:WORD_1
	v_sub_u16_sdwa v132, v132, v134 dst_sel:BYTE_1 dst_unused:UNUSED_PAD src0_sel:DWORD src1_sel:BYTE_3
	v_bitop3_b16 v140, v140, v141, s23 bitop3:0xec
	v_bitop3_b16 v127, v127, v132, s23 bitop3:0xec
	v_lshlrev_b32_e32 v127, 16, v127
	v_or_b32_sdwa v140, v140, v127 dst_sel:DWORD dst_unused:UNUSED_PAD src0_sel:WORD_0 src1_sel:DWORD
	v_ashrrev_i32_e32 v127, s19, v133
	v_ashrrev_i32_e32 v133, s3, v135
	v_lshlrev_b32_e32 v133, 2, v133
	v_bfe_u32 v132, v127, 24, 2
	v_and_b32_e32 v127, 0x3030303, v127
	v_and_b32_e32 v133, 0x4040404, v133
	v_sub_u16_e32 v134, v127, v133
	v_sub_u16_sdwa v135, v127, v133 dst_sel:BYTE_1 dst_unused:UNUSED_PAD src0_sel:BYTE_1 src1_sel:BYTE_1
	v_sub_u16_sdwa v127, v127, v133 dst_sel:DWORD dst_unused:UNUSED_PAD src0_sel:WORD_1 src1_sel:WORD_1
	v_sub_u16_sdwa v132, v132, v133 dst_sel:BYTE_1 dst_unused:UNUSED_PAD src0_sel:DWORD src1_sel:BYTE_3
	v_bitop3_b16 v134, v134, v135, s23 bitop3:0xec
	v_bitop3_b16 v127, v127, v132, s23 bitop3:0xec
	v_lshlrev_b32_e32 v127, 16, v127
	v_or_b32_sdwa v141, v134, v127 dst_sel:DWORD dst_unused:UNUSED_PAD src0_sel:WORD_0 src1_sel:DWORD
	ds_read2_b32 v[132:133], v125 offset1:1
	ds_read2_b32 v[134:135], v136 offset0:6 offset1:7
	s_waitcnt lgkmcnt(1)
	v_ashrrev_i32_e32 v125, s19, v132
	s_waitcnt lgkmcnt(0)
	v_ashrrev_i32_e32 v132, s3, v134
	v_lshlrev_b32_e32 v132, 2, v132
	v_bfe_u32 v127, v125, 24, 2
	v_and_b32_e32 v125, 0x3030303, v125
	v_and_b32_e32 v132, 0x4040404, v132
	v_sub_u16_e32 v134, v125, v132
	v_sub_u16_sdwa v136, v125, v132 dst_sel:BYTE_1 dst_unused:UNUSED_PAD src0_sel:BYTE_1 src1_sel:BYTE_1
	v_sub_u16_sdwa v125, v125, v132 dst_sel:DWORD dst_unused:UNUSED_PAD src0_sel:WORD_1 src1_sel:WORD_1
	v_sub_u16_sdwa v127, v127, v132 dst_sel:BYTE_1 dst_unused:UNUSED_PAD src0_sel:DWORD src1_sel:BYTE_3
	v_bitop3_b16 v134, v134, v136, s23 bitop3:0xec
	v_bitop3_b16 v125, v125, v127, s23 bitop3:0xec
	v_ashrrev_i32_e32 v127, s19, v133
	v_ashrrev_i32_e32 v133, s3, v135
	v_lshlrev_b32_e32 v133, 2, v133
	v_lshlrev_b32_e32 v125, 16, v125
	v_bfe_u32 v132, v127, 24, 2
	v_and_b32_e32 v127, 0x3030303, v127
	v_and_b32_e32 v133, 0x4040404, v133
	v_or_b32_sdwa v125, v134, v125 dst_sel:DWORD dst_unused:UNUSED_PAD src0_sel:WORD_0 src1_sel:DWORD
	v_sub_u16_e32 v134, v127, v133
	v_sub_u16_sdwa v135, v127, v133 dst_sel:BYTE_1 dst_unused:UNUSED_PAD src0_sel:BYTE_1 src1_sel:BYTE_1
	v_sub_u16_sdwa v127, v127, v133 dst_sel:DWORD dst_unused:UNUSED_PAD src0_sel:WORD_1 src1_sel:WORD_1
	v_sub_u16_sdwa v132, v132, v133 dst_sel:BYTE_1 dst_unused:UNUSED_PAD src0_sel:DWORD src1_sel:BYTE_3
	v_bitop3_b16 v134, v134, v135, s23 bitop3:0xec
	v_bitop3_b16 v127, v127, v132, s23 bitop3:0xec
	v_lshlrev_b32_e32 v127, 16, v127
	v_or_b32_sdwa v132, v134, v127 dst_sel:DWORD dst_unused:UNUSED_PAD src0_sel:WORD_0 src1_sel:DWORD
	v_mov_b32_e32 v134, 0
	v_add_u32_e32 v133, s30, v19
	v_add3_u32 v127, s29, v109, v111
	v_dot4c_i32_i8_e32 v134, v131, v6
	v_mov_b32_e32 v6, 0
	ds_read_b32 v127, v127
	v_dot4c_i32_i8_e32 v6, v140, v2
	ds_read_u16 v2, v133 offset:28402
	v_dot4c_i32_i8_e32 v134, v137, v7
	v_dot4c_i32_i8_e32 v134, v138, v8
	;; [unrolled: 1-line block ×5, first 2 shown]
	s_waitcnt lgkmcnt(0)
	v_lshrrev_b16_e32 v3, 8, v2
	v_bfe_i32 v2, v2, 0, 8
	v_dot4c_i32_i8_e32 v6, v132, v5
	v_bfe_i32 v5, v3, 0, 8
	v_mul_lo_u32 v4, v134, v2
	v_mad_u64_u32 v[2:3], s[30:31], v129, v130, v[128:129]
	v_mad_u64_u32 v[4:5], s[30:31], v6, v5, v[4:5]
	v_cvt_f32_i32_e32 v3, v4
	v_cvt_f32_i32_e32 v2, v2
	v_pk_mul_f32 v[6:7], v[124:125], v[126:127] op_sel_hi:[0,1]
	s_add_i32 s3, s3, 1
	s_cmp_lt_u32 s18, 22
	v_pk_fma_f32 v[40:41], v[6:7], v[2:3], v[40:41]
	s_mov_b32 s29, s18
	s_cbranch_scc1 .LBB210_27
; %bb.28:                               ;   in Loop: Header=BB210_5 Depth=1
	s_or_b32 s2, s27, 0x180
	s_cmp_ge_i32 s2, s5
	s_barrier
	s_cbranch_scc1 .LBB210_4
; %bb.29:                               ;   in Loop: Header=BB210_5 Depth=1
	v_add_u32_e32 v2, s28, v53
	v_cmp_gt_i32_e64 s[2:3], s8, v2
	s_and_b64 s[18:19], s[0:1], s[2:3]
	s_and_saveexec_b64 s[2:3], s[18:19]
	s_cbranch_execz .LBB210_31
; %bb.30:                               ;   in Loop: Header=BB210_5 Depth=1
	v_add_u32_e32 v2, v58, v2
	v_mad_i64_i32 v[2:3], s[18:19], v2, 36, v[56:57]
	global_load_dword v2, v[2:3], off offset:4
	s_waitcnt vmcnt(0)
	ds_write_b32 v47, v2
.LBB210_31:                             ;   in Loop: Header=BB210_5 Depth=1
	s_or_b64 exec, exec, s[2:3]
	s_and_saveexec_b64 s[18:19], vcc
	s_cbranch_execz .LBB210_34
; %bb.32:                               ;   in Loop: Header=BB210_5 Depth=1
	v_or_b32_e32 v2, 12, v122
	v_cmp_gt_i32_e64 s[2:3], s8, v2
	s_and_b64 s[2:3], s[0:1], s[2:3]
	s_and_b64 exec, exec, s[2:3]
	s_cbranch_execz .LBB210_34
; %bb.33:                               ;   in Loop: Header=BB210_5 Depth=1
	v_ashrrev_i32_e32 v123, 31, v122
	v_lshl_add_u64 v[2:3], v[58:59], 0, v[122:123]
	v_mad_u64_u32 v[4:5], s[2:3], v2, 36, s[14:15]
	v_mad_i32_i24 v5, v3, 36, v5
	global_load_dword v2, v[4:5], off offset:432
	s_waitcnt vmcnt(0)
	v_cvt_f32_f16_e32 v2, v2
	ds_write_b32 v79, v2
.LBB210_34:                             ;   in Loop: Header=BB210_5 Depth=1
	s_or_b64 exec, exec, s[18:19]
	s_mov_b32 s2, 24
	s_mov_b32 s27, 22
	;; [unrolled: 1-line block ×3, first 2 shown]
	v_mov_b32_e32 v121, v17
	v_mov_b32_e32 v123, v77
	s_waitcnt lgkmcnt(0)
	s_barrier
.LBB210_35:                             ;   Parent Loop BB210_5 Depth=1
                                        ; =>  This Inner Loop Header: Depth=2
	s_add_i32 s18, s27, 2
	s_lshr_b32 s30, s18, 4
	s_and_b32 s29, s18, 0x3ffffff8
	v_lshl_add_u32 v127, s29, 2, v55
	s_lshl_b32 s29, s30, 5
	s_addk_i32 s29, 0x4200
	v_add3_u32 v130, s29, v81, v83
	ds_read_b32 v122, v123
	ds_read_b128 v[6:9], v121
	ds_read_b128 v[2:5], v121 offset:16
	ds_read2_b32 v[124:125], v127 offset1:1
	ds_read2_b32 v[128:129], v130 offset1:1
	s_sub_i32 s19, s27, 22
	s_and_b32 s28, s2, -16
	s_add_i32 s28, s27, s28
	s_waitcnt lgkmcnt(1)
	v_ashrrev_i32_e32 v124, s19, v124
	s_waitcnt lgkmcnt(0)
	v_ashrrev_i32_e32 v128, s3, v128
	v_lshlrev_b32_e32 v128, 2, v128
	v_bfe_u32 v126, v124, 24, 2
	v_and_b32_e32 v124, 0x3030303, v124
	v_and_b32_e32 v128, 0x4040404, v128
	v_sub_u16_e32 v131, v124, v128
	v_sub_u16_sdwa v132, v124, v128 dst_sel:BYTE_1 dst_unused:UNUSED_PAD src0_sel:BYTE_1 src1_sel:BYTE_1
	v_sub_u16_sdwa v124, v124, v128 dst_sel:DWORD dst_unused:UNUSED_PAD src0_sel:WORD_1 src1_sel:WORD_1
	v_sub_u16_sdwa v126, v126, v128 dst_sel:BYTE_1 dst_unused:UNUSED_PAD src0_sel:DWORD src1_sel:BYTE_3
	v_bitop3_b16 v131, v131, v132, s23 bitop3:0xec
	v_bitop3_b16 v124, v124, v126, s23 bitop3:0xec
	v_lshlrev_b32_e32 v124, 16, v124
	v_ashrrev_i32_e32 v128, s3, v129
	v_or_b32_sdwa v126, v131, v124 dst_sel:DWORD dst_unused:UNUSED_PAD src0_sel:WORD_0 src1_sel:DWORD
	v_ashrrev_i32_e32 v124, s19, v125
	v_lshlrev_b32_e32 v128, 2, v128
	v_bfe_u32 v125, v124, 24, 2
	v_and_b32_e32 v124, 0x3030303, v124
	v_and_b32_e32 v128, 0x4040404, v128
	v_sub_u16_e32 v129, v124, v128
	v_sub_u16_sdwa v131, v124, v128 dst_sel:BYTE_1 dst_unused:UNUSED_PAD src0_sel:BYTE_1 src1_sel:BYTE_1
	v_sub_u16_sdwa v124, v124, v128 dst_sel:DWORD dst_unused:UNUSED_PAD src0_sel:WORD_1 src1_sel:WORD_1
	v_sub_u16_sdwa v125, v125, v128 dst_sel:BYTE_1 dst_unused:UNUSED_PAD src0_sel:DWORD src1_sel:BYTE_3
	v_bitop3_b16 v129, v129, v131, s23 bitop3:0xec
	v_bitop3_b16 v124, v124, v125, s23 bitop3:0xec
	v_lshlrev_b32_e32 v124, 16, v124
	v_or_b32_sdwa v131, v129, v124 dst_sel:DWORD dst_unused:UNUSED_PAD src0_sel:WORD_0 src1_sel:DWORD
	ds_read2_b32 v[124:125], v127 offset0:2 offset1:3
	ds_read2_b32 v[128:129], v130 offset0:2 offset1:3
	s_lshl_b32 s27, s30, 2
	s_addk_i32 s27, 0x7380
	s_add_i32 s2, s2, 2
	s_waitcnt lgkmcnt(1)
	v_ashrrev_i32_e32 v124, s19, v124
	s_waitcnt lgkmcnt(0)
	v_ashrrev_i32_e32 v128, s3, v128
	v_lshlrev_b32_e32 v128, 2, v128
	v_bfe_u32 v132, v124, 24, 2
	v_and_b32_e32 v124, 0x3030303, v124
	v_and_b32_e32 v128, 0x4040404, v128
	v_sub_u16_e32 v133, v124, v128
	v_sub_u16_sdwa v134, v124, v128 dst_sel:BYTE_1 dst_unused:UNUSED_PAD src0_sel:BYTE_1 src1_sel:BYTE_1
	v_sub_u16_sdwa v124, v124, v128 dst_sel:DWORD dst_unused:UNUSED_PAD src0_sel:WORD_1 src1_sel:WORD_1
	v_sub_u16_sdwa v128, v132, v128 dst_sel:BYTE_1 dst_unused:UNUSED_PAD src0_sel:DWORD src1_sel:BYTE_3
	v_bitop3_b16 v133, v133, v134, s23 bitop3:0xec
	v_bitop3_b16 v124, v124, v128, s23 bitop3:0xec
	v_lshlrev_b32_e32 v124, 16, v124
	v_ashrrev_i32_e32 v128, s3, v129
	v_or_b32_sdwa v132, v133, v124 dst_sel:DWORD dst_unused:UNUSED_PAD src0_sel:WORD_0 src1_sel:DWORD
	v_ashrrev_i32_e32 v124, s19, v125
	v_lshlrev_b32_e32 v128, 2, v128
	v_bfe_u32 v125, v124, 24, 2
	v_and_b32_e32 v124, 0x3030303, v124
	v_and_b32_e32 v128, 0x4040404, v128
	v_sub_u16_e32 v129, v124, v128
	v_sub_u16_sdwa v133, v124, v128 dst_sel:BYTE_1 dst_unused:UNUSED_PAD src0_sel:BYTE_1 src1_sel:BYTE_1
	v_sub_u16_sdwa v124, v124, v128 dst_sel:DWORD dst_unused:UNUSED_PAD src0_sel:WORD_1 src1_sel:WORD_1
	v_sub_u16_sdwa v125, v125, v128 dst_sel:BYTE_1 dst_unused:UNUSED_PAD src0_sel:DWORD src1_sel:BYTE_3
	v_bitop3_b16 v129, v129, v133, s23 bitop3:0xec
	v_bitop3_b16 v124, v124, v125, s23 bitop3:0xec
	v_lshlrev_b32_e32 v124, 16, v124
	v_or_b32_sdwa v133, v129, v124 dst_sel:DWORD dst_unused:UNUSED_PAD src0_sel:WORD_0 src1_sel:DWORD
	ds_read2_b32 v[124:125], v127 offset0:4 offset1:5
	ds_read2_b32 v[128:129], v130 offset0:4 offset1:5
	v_add_u32_e32 v121, 32, v121
	s_waitcnt lgkmcnt(1)
	v_ashrrev_i32_e32 v124, s19, v124
	s_waitcnt lgkmcnt(0)
	v_ashrrev_i32_e32 v128, s3, v128
	v_lshlrev_b32_e32 v128, 2, v128
	v_bfe_u32 v134, v124, 24, 2
	v_and_b32_e32 v124, 0x3030303, v124
	v_and_b32_e32 v128, 0x4040404, v128
	v_sub_u16_e32 v135, v124, v128
	v_sub_u16_sdwa v136, v124, v128 dst_sel:BYTE_1 dst_unused:UNUSED_PAD src0_sel:BYTE_1 src1_sel:BYTE_1
	v_sub_u16_sdwa v124, v124, v128 dst_sel:DWORD dst_unused:UNUSED_PAD src0_sel:WORD_1 src1_sel:WORD_1
	v_sub_u16_sdwa v128, v134, v128 dst_sel:BYTE_1 dst_unused:UNUSED_PAD src0_sel:DWORD src1_sel:BYTE_3
	v_bitop3_b16 v135, v135, v136, s23 bitop3:0xec
	v_bitop3_b16 v124, v124, v128, s23 bitop3:0xec
	v_lshlrev_b32_e32 v124, 16, v124
	v_ashrrev_i32_e32 v128, s3, v129
	v_or_b32_sdwa v134, v135, v124 dst_sel:DWORD dst_unused:UNUSED_PAD src0_sel:WORD_0 src1_sel:DWORD
	v_ashrrev_i32_e32 v124, s19, v125
	v_lshlrev_b32_e32 v128, 2, v128
	v_bfe_u32 v125, v124, 24, 2
	v_and_b32_e32 v124, 0x3030303, v124
	v_and_b32_e32 v128, 0x4040404, v128
	v_sub_u16_e32 v129, v124, v128
	v_sub_u16_sdwa v135, v124, v128 dst_sel:BYTE_1 dst_unused:UNUSED_PAD src0_sel:BYTE_1 src1_sel:BYTE_1
	v_sub_u16_sdwa v124, v124, v128 dst_sel:DWORD dst_unused:UNUSED_PAD src0_sel:WORD_1 src1_sel:WORD_1
	v_sub_u16_sdwa v125, v125, v128 dst_sel:BYTE_1 dst_unused:UNUSED_PAD src0_sel:DWORD src1_sel:BYTE_3
	v_bitop3_b16 v129, v129, v135, s23 bitop3:0xec
	v_bitop3_b16 v124, v124, v125, s23 bitop3:0xec
	v_lshlrev_b32_e32 v124, 16, v124
	v_or_b32_sdwa v135, v129, v124 dst_sel:DWORD dst_unused:UNUSED_PAD src0_sel:WORD_0 src1_sel:DWORD
	ds_read2_b32 v[124:125], v127 offset0:6 offset1:7
	ds_read2_b32 v[128:129], v130 offset0:6 offset1:7
	s_waitcnt lgkmcnt(1)
	v_ashrrev_i32_e32 v124, s19, v124
	s_waitcnt lgkmcnt(0)
	v_ashrrev_i32_e32 v128, s3, v128
	v_lshlrev_b32_e32 v128, 2, v128
	v_bfe_u32 v136, v124, 24, 2
	v_and_b32_e32 v124, 0x3030303, v124
	v_and_b32_e32 v128, 0x4040404, v128
	v_sub_u16_e32 v130, v124, v128
	v_sub_u16_sdwa v137, v124, v128 dst_sel:BYTE_1 dst_unused:UNUSED_PAD src0_sel:BYTE_1 src1_sel:BYTE_1
	v_sub_u16_sdwa v124, v124, v128 dst_sel:DWORD dst_unused:UNUSED_PAD src0_sel:WORD_1 src1_sel:WORD_1
	v_sub_u16_sdwa v128, v136, v128 dst_sel:BYTE_1 dst_unused:UNUSED_PAD src0_sel:DWORD src1_sel:BYTE_3
	v_bitop3_b16 v130, v130, v137, s23 bitop3:0xec
	v_bitop3_b16 v124, v124, v128, s23 bitop3:0xec
	v_lshlrev_b32_e32 v124, 16, v124
	v_ashrrev_i32_e32 v129, s3, v129
	v_or_b32_sdwa v128, v130, v124 dst_sel:DWORD dst_unused:UNUSED_PAD src0_sel:WORD_0 src1_sel:DWORD
	v_ashrrev_i32_e32 v124, s19, v125
	v_lshlrev_b32_e32 v129, 2, v129
	v_bfe_u32 v125, v124, 24, 2
	v_and_b32_e32 v124, 0x3030303, v124
	v_and_b32_e32 v129, 0x4040404, v129
	v_sub_u16_e32 v130, v124, v129
	v_sub_u16_sdwa v136, v124, v129 dst_sel:BYTE_1 dst_unused:UNUSED_PAD src0_sel:BYTE_1 src1_sel:BYTE_1
	v_sub_u16_sdwa v124, v124, v129 dst_sel:DWORD dst_unused:UNUSED_PAD src0_sel:WORD_1 src1_sel:WORD_1
	v_sub_u16_sdwa v125, v125, v129 dst_sel:BYTE_1 dst_unused:UNUSED_PAD src0_sel:DWORD src1_sel:BYTE_3
	v_bitop3_b16 v130, v130, v136, s23 bitop3:0xec
	v_bitop3_b16 v124, v124, v125, s23 bitop3:0xec
	v_lshlrev_b32_e32 v124, 16, v124
	v_or_b32_sdwa v125, v130, v124 dst_sel:DWORD dst_unused:UNUSED_PAD src0_sel:WORD_0 src1_sel:DWORD
	v_mov_b32_e32 v130, 0
	v_dot4c_i32_i8_e32 v130, v126, v6
	v_dot4c_i32_i8_e32 v130, v131, v7
	v_dot4c_i32_i8_e32 v130, v132, v8
	v_mov_b32_e32 v132, 0
	v_dot4c_i32_i8_e32 v132, v134, v2
	v_dot4c_i32_i8_e32 v132, v135, v3
	v_add_u32_e32 v129, s28, v25
	v_dot4c_i32_i8_e32 v132, v128, v4
	v_dot4c_i32_i8_e32 v132, v125, v5
	ds_read_u16 v125, v129 offset:25330
	v_dot4c_i32_i8_e32 v130, v133, v9
	v_add3_u32 v124, s27, v119, v87
	v_add3_u32 v134, s29, v89, v91
	ds_read_b32 v124, v124
	s_waitcnt lgkmcnt(1)
	v_lshrrev_b16_e32 v126, 8, v125
	v_bfe_i32 v125, v125, 0, 8
	v_bfe_i32 v133, v126, 0, 8
	v_mul_lo_u32 v126, v130, v125
	v_add_u32_e32 v125, 0x1080, v127
	ds_read2_b32 v[128:129], v125 offset1:1
	ds_read2_b32 v[130:131], v134 offset1:1
	s_waitcnt lgkmcnt(1)
	v_ashrrev_i32_e32 v125, s19, v128
	s_waitcnt lgkmcnt(0)
	v_ashrrev_i32_e32 v130, s3, v130
	v_lshlrev_b32_e32 v130, 2, v130
	v_bfe_u32 v128, v125, 24, 2
	v_and_b32_e32 v125, 0x3030303, v125
	v_and_b32_e32 v130, 0x4040404, v130
	v_sub_u16_e32 v135, v125, v130
	v_sub_u16_sdwa v136, v125, v130 dst_sel:BYTE_1 dst_unused:UNUSED_PAD src0_sel:BYTE_1 src1_sel:BYTE_1
	v_sub_u16_sdwa v125, v125, v130 dst_sel:DWORD dst_unused:UNUSED_PAD src0_sel:WORD_1 src1_sel:WORD_1
	v_sub_u16_sdwa v128, v128, v130 dst_sel:BYTE_1 dst_unused:UNUSED_PAD src0_sel:DWORD src1_sel:BYTE_3
	v_bitop3_b16 v135, v135, v136, s23 bitop3:0xec
	v_bitop3_b16 v125, v125, v128, s23 bitop3:0xec
	v_lshlrev_b32_e32 v125, 16, v125
	v_or_b32_sdwa v135, v135, v125 dst_sel:DWORD dst_unused:UNUSED_PAD src0_sel:WORD_0 src1_sel:DWORD
	v_ashrrev_i32_e32 v125, s19, v129
	v_ashrrev_i32_e32 v129, s3, v131
	v_lshlrev_b32_e32 v129, 2, v129
	v_bfe_u32 v128, v125, 24, 2
	v_and_b32_e32 v125, 0x3030303, v125
	v_and_b32_e32 v129, 0x4040404, v129
	v_sub_u16_e32 v130, v125, v129
	v_sub_u16_sdwa v131, v125, v129 dst_sel:BYTE_1 dst_unused:UNUSED_PAD src0_sel:BYTE_1 src1_sel:BYTE_1
	v_sub_u16_sdwa v125, v125, v129 dst_sel:DWORD dst_unused:UNUSED_PAD src0_sel:WORD_1 src1_sel:WORD_1
	v_sub_u16_sdwa v128, v128, v129 dst_sel:BYTE_1 dst_unused:UNUSED_PAD src0_sel:DWORD src1_sel:BYTE_3
	v_bitop3_b16 v130, v130, v131, s23 bitop3:0xec
	v_bitop3_b16 v125, v125, v128, s23 bitop3:0xec
	v_lshlrev_b32_e32 v125, 16, v125
	v_or_b32_sdwa v136, v130, v125 dst_sel:DWORD dst_unused:UNUSED_PAD src0_sel:WORD_0 src1_sel:DWORD
	v_add_u32_e32 v125, 0x1088, v127
	ds_read2_b32 v[128:129], v125 offset1:1
	ds_read2_b32 v[130:131], v134 offset0:2 offset1:3
	s_waitcnt lgkmcnt(1)
	v_ashrrev_i32_e32 v125, s19, v128
	s_waitcnt lgkmcnt(0)
	v_ashrrev_i32_e32 v130, s3, v130
	v_lshlrev_b32_e32 v130, 2, v130
	v_bfe_u32 v128, v125, 24, 2
	v_and_b32_e32 v125, 0x3030303, v125
	v_and_b32_e32 v130, 0x4040404, v130
	v_sub_u16_e32 v137, v125, v130
	v_sub_u16_sdwa v138, v125, v130 dst_sel:BYTE_1 dst_unused:UNUSED_PAD src0_sel:BYTE_1 src1_sel:BYTE_1
	v_sub_u16_sdwa v125, v125, v130 dst_sel:DWORD dst_unused:UNUSED_PAD src0_sel:WORD_1 src1_sel:WORD_1
	v_sub_u16_sdwa v128, v128, v130 dst_sel:BYTE_1 dst_unused:UNUSED_PAD src0_sel:DWORD src1_sel:BYTE_3
	v_bitop3_b16 v137, v137, v138, s23 bitop3:0xec
	v_bitop3_b16 v125, v125, v128, s23 bitop3:0xec
	v_lshlrev_b32_e32 v125, 16, v125
	v_or_b32_sdwa v137, v137, v125 dst_sel:DWORD dst_unused:UNUSED_PAD src0_sel:WORD_0 src1_sel:DWORD
	v_ashrrev_i32_e32 v125, s19, v129
	v_ashrrev_i32_e32 v129, s3, v131
	v_lshlrev_b32_e32 v129, 2, v129
	v_bfe_u32 v128, v125, 24, 2
	v_and_b32_e32 v125, 0x3030303, v125
	v_and_b32_e32 v129, 0x4040404, v129
	v_sub_u16_e32 v130, v125, v129
	v_sub_u16_sdwa v131, v125, v129 dst_sel:BYTE_1 dst_unused:UNUSED_PAD src0_sel:BYTE_1 src1_sel:BYTE_1
	v_sub_u16_sdwa v125, v125, v129 dst_sel:DWORD dst_unused:UNUSED_PAD src0_sel:WORD_1 src1_sel:WORD_1
	v_sub_u16_sdwa v128, v128, v129 dst_sel:BYTE_1 dst_unused:UNUSED_PAD src0_sel:DWORD src1_sel:BYTE_3
	v_bitop3_b16 v130, v130, v131, s23 bitop3:0xec
	v_bitop3_b16 v125, v125, v128, s23 bitop3:0xec
	v_lshlrev_b32_e32 v125, 16, v125
	v_or_b32_sdwa v138, v130, v125 dst_sel:DWORD dst_unused:UNUSED_PAD src0_sel:WORD_0 src1_sel:DWORD
	v_add_u32_e32 v125, 0x1090, v127
	ds_read2_b32 v[128:129], v125 offset1:1
	ds_read2_b32 v[130:131], v134 offset0:4 offset1:5
	;; [unrolled: 33-line block ×3, first 2 shown]
	s_waitcnt lgkmcnt(1)
	v_ashrrev_i32_e32 v125, s19, v128
	s_waitcnt lgkmcnt(0)
	v_ashrrev_i32_e32 v130, s3, v130
	v_lshlrev_b32_e32 v130, 2, v130
	v_bfe_u32 v128, v125, 24, 2
	v_and_b32_e32 v125, 0x3030303, v125
	v_and_b32_e32 v130, 0x4040404, v130
	v_sub_u16_e32 v134, v125, v130
	v_sub_u16_sdwa v141, v125, v130 dst_sel:BYTE_1 dst_unused:UNUSED_PAD src0_sel:BYTE_1 src1_sel:BYTE_1
	v_sub_u16_sdwa v125, v125, v130 dst_sel:DWORD dst_unused:UNUSED_PAD src0_sel:WORD_1 src1_sel:WORD_1
	v_sub_u16_sdwa v128, v128, v130 dst_sel:BYTE_1 dst_unused:UNUSED_PAD src0_sel:DWORD src1_sel:BYTE_3
	v_bitop3_b16 v134, v134, v141, s23 bitop3:0xec
	v_bitop3_b16 v125, v125, v128, s23 bitop3:0xec
	v_lshlrev_b32_e32 v125, 16, v125
	v_or_b32_sdwa v130, v134, v125 dst_sel:DWORD dst_unused:UNUSED_PAD src0_sel:WORD_0 src1_sel:DWORD
	v_ashrrev_i32_e32 v125, s19, v129
	v_ashrrev_i32_e32 v129, s3, v131
	v_lshlrev_b32_e32 v129, 2, v129
	v_bfe_u32 v128, v125, 24, 2
	v_and_b32_e32 v125, 0x3030303, v125
	v_and_b32_e32 v129, 0x4040404, v129
	v_sub_u16_e32 v131, v125, v129
	v_sub_u16_sdwa v134, v125, v129 dst_sel:BYTE_1 dst_unused:UNUSED_PAD src0_sel:BYTE_1 src1_sel:BYTE_1
	v_sub_u16_sdwa v125, v125, v129 dst_sel:DWORD dst_unused:UNUSED_PAD src0_sel:WORD_1 src1_sel:WORD_1
	v_sub_u16_sdwa v128, v128, v129 dst_sel:BYTE_1 dst_unused:UNUSED_PAD src0_sel:DWORD src1_sel:BYTE_3
	v_bitop3_b16 v131, v131, v134, s23 bitop3:0xec
	v_bitop3_b16 v125, v125, v128, s23 bitop3:0xec
	v_lshlrev_b32_e32 v125, 16, v125
	v_or_b32_sdwa v129, v131, v125 dst_sel:DWORD dst_unused:UNUSED_PAD src0_sel:WORD_0 src1_sel:DWORD
	v_add_u32_e32 v128, s28, v23
	v_add3_u32 v125, s27, v93, v95
	ds_read_b32 v125, v125
	ds_read_u16 v128, v128 offset:26354
	v_mov_b32_e32 v131, 0
	v_dot4c_i32_i8_e32 v131, v135, v6
	v_mov_b32_e32 v135, 0
	v_dot4c_i32_i8_e32 v131, v136, v7
	v_dot4c_i32_i8_e32 v135, v139, v2
	;; [unrolled: 1-line block ×5, first 2 shown]
	s_waitcnt lgkmcnt(0)
	v_lshrrev_b16_e32 v134, 8, v128
	v_bfe_i32 v128, v128, 0, 8
	v_dot4c_i32_i8_e32 v135, v130, v4
	v_mul_lo_u32 v128, v131, v128
	v_dot4c_i32_i8_e32 v135, v129, v5
	v_bfe_i32 v129, v134, 0, 8
	v_mad_u64_u32 v[130:131], s[30:31], v132, v133, v[126:127]
	s_nop 0
	v_mad_u64_u32 v[128:129], s[30:31], v135, v129, v[128:129]
	v_cvt_f32_i32_e32 v129, v128
	v_cvt_f32_i32_e32 v128, v130
	v_pk_mul_f32 v[124:125], v[122:123], v[124:125] op_sel_hi:[0,1]
	v_add3_u32 v130, s29, v97, v99
	v_pk_fma_f32 v[42:43], v[124:125], v[128:129], v[42:43]
	v_add_u32_e32 v124, 0x2100, v127
	ds_read2_b32 v[124:125], v124 offset1:1
	ds_read2_b32 v[128:129], v130 offset1:1
	s_waitcnt lgkmcnt(1)
	v_ashrrev_i32_e32 v124, s19, v124
	s_waitcnt lgkmcnt(0)
	v_ashrrev_i32_e32 v128, s3, v128
	v_lshlrev_b32_e32 v128, 2, v128
	v_bfe_u32 v126, v124, 24, 2
	v_and_b32_e32 v124, 0x3030303, v124
	v_and_b32_e32 v128, 0x4040404, v128
	v_sub_u16_e32 v131, v124, v128
	v_sub_u16_sdwa v132, v124, v128 dst_sel:BYTE_1 dst_unused:UNUSED_PAD src0_sel:BYTE_1 src1_sel:BYTE_1
	v_sub_u16_sdwa v124, v124, v128 dst_sel:DWORD dst_unused:UNUSED_PAD src0_sel:WORD_1 src1_sel:WORD_1
	v_sub_u16_sdwa v126, v126, v128 dst_sel:BYTE_1 dst_unused:UNUSED_PAD src0_sel:DWORD src1_sel:BYTE_3
	v_bitop3_b16 v131, v131, v132, s23 bitop3:0xec
	v_bitop3_b16 v124, v124, v126, s23 bitop3:0xec
	v_lshlrev_b32_e32 v124, 16, v124
	v_ashrrev_i32_e32 v128, s3, v129
	v_or_b32_sdwa v126, v131, v124 dst_sel:DWORD dst_unused:UNUSED_PAD src0_sel:WORD_0 src1_sel:DWORD
	v_ashrrev_i32_e32 v124, s19, v125
	v_lshlrev_b32_e32 v128, 2, v128
	v_bfe_u32 v125, v124, 24, 2
	v_and_b32_e32 v124, 0x3030303, v124
	v_and_b32_e32 v128, 0x4040404, v128
	v_sub_u16_e32 v129, v124, v128
	v_sub_u16_sdwa v131, v124, v128 dst_sel:BYTE_1 dst_unused:UNUSED_PAD src0_sel:BYTE_1 src1_sel:BYTE_1
	v_sub_u16_sdwa v124, v124, v128 dst_sel:DWORD dst_unused:UNUSED_PAD src0_sel:WORD_1 src1_sel:WORD_1
	v_sub_u16_sdwa v125, v125, v128 dst_sel:BYTE_1 dst_unused:UNUSED_PAD src0_sel:DWORD src1_sel:BYTE_3
	v_bitop3_b16 v129, v129, v131, s23 bitop3:0xec
	v_bitop3_b16 v124, v124, v125, s23 bitop3:0xec
	v_lshlrev_b32_e32 v124, 16, v124
	v_or_b32_sdwa v131, v129, v124 dst_sel:DWORD dst_unused:UNUSED_PAD src0_sel:WORD_0 src1_sel:DWORD
	v_add_u32_e32 v124, 0x2108, v127
	ds_read2_b32 v[124:125], v124 offset1:1
	ds_read2_b32 v[128:129], v130 offset0:2 offset1:3
	s_waitcnt lgkmcnt(1)
	v_ashrrev_i32_e32 v124, s19, v124
	s_waitcnt lgkmcnt(0)
	v_ashrrev_i32_e32 v128, s3, v128
	v_lshlrev_b32_e32 v128, 2, v128
	v_bfe_u32 v132, v124, 24, 2
	v_and_b32_e32 v124, 0x3030303, v124
	v_and_b32_e32 v128, 0x4040404, v128
	v_sub_u16_e32 v133, v124, v128
	v_sub_u16_sdwa v134, v124, v128 dst_sel:BYTE_1 dst_unused:UNUSED_PAD src0_sel:BYTE_1 src1_sel:BYTE_1
	v_sub_u16_sdwa v124, v124, v128 dst_sel:DWORD dst_unused:UNUSED_PAD src0_sel:WORD_1 src1_sel:WORD_1
	v_sub_u16_sdwa v128, v132, v128 dst_sel:BYTE_1 dst_unused:UNUSED_PAD src0_sel:DWORD src1_sel:BYTE_3
	v_bitop3_b16 v133, v133, v134, s23 bitop3:0xec
	v_bitop3_b16 v124, v124, v128, s23 bitop3:0xec
	v_lshlrev_b32_e32 v124, 16, v124
	v_ashrrev_i32_e32 v128, s3, v129
	v_or_b32_sdwa v132, v133, v124 dst_sel:DWORD dst_unused:UNUSED_PAD src0_sel:WORD_0 src1_sel:DWORD
	v_ashrrev_i32_e32 v124, s19, v125
	v_lshlrev_b32_e32 v128, 2, v128
	v_bfe_u32 v125, v124, 24, 2
	v_and_b32_e32 v124, 0x3030303, v124
	v_and_b32_e32 v128, 0x4040404, v128
	v_sub_u16_e32 v129, v124, v128
	v_sub_u16_sdwa v133, v124, v128 dst_sel:BYTE_1 dst_unused:UNUSED_PAD src0_sel:BYTE_1 src1_sel:BYTE_1
	v_sub_u16_sdwa v124, v124, v128 dst_sel:DWORD dst_unused:UNUSED_PAD src0_sel:WORD_1 src1_sel:WORD_1
	v_sub_u16_sdwa v125, v125, v128 dst_sel:BYTE_1 dst_unused:UNUSED_PAD src0_sel:DWORD src1_sel:BYTE_3
	v_bitop3_b16 v129, v129, v133, s23 bitop3:0xec
	v_bitop3_b16 v124, v124, v125, s23 bitop3:0xec
	v_lshlrev_b32_e32 v124, 16, v124
	v_or_b32_sdwa v133, v129, v124 dst_sel:DWORD dst_unused:UNUSED_PAD src0_sel:WORD_0 src1_sel:DWORD
	v_add_u32_e32 v124, 0x2110, v127
	ds_read2_b32 v[124:125], v124 offset1:1
	ds_read2_b32 v[128:129], v130 offset0:4 offset1:5
	;; [unrolled: 33-line block ×3, first 2 shown]
	s_waitcnt lgkmcnt(1)
	v_ashrrev_i32_e32 v124, s19, v124
	s_waitcnt lgkmcnt(0)
	v_ashrrev_i32_e32 v128, s3, v128
	v_lshlrev_b32_e32 v128, 2, v128
	v_bfe_u32 v136, v124, 24, 2
	v_and_b32_e32 v124, 0x3030303, v124
	v_and_b32_e32 v128, 0x4040404, v128
	v_sub_u16_e32 v130, v124, v128
	v_sub_u16_sdwa v137, v124, v128 dst_sel:BYTE_1 dst_unused:UNUSED_PAD src0_sel:BYTE_1 src1_sel:BYTE_1
	v_sub_u16_sdwa v124, v124, v128 dst_sel:DWORD dst_unused:UNUSED_PAD src0_sel:WORD_1 src1_sel:WORD_1
	v_sub_u16_sdwa v128, v136, v128 dst_sel:BYTE_1 dst_unused:UNUSED_PAD src0_sel:DWORD src1_sel:BYTE_3
	v_bitop3_b16 v130, v130, v137, s23 bitop3:0xec
	v_bitop3_b16 v124, v124, v128, s23 bitop3:0xec
	v_lshlrev_b32_e32 v124, 16, v124
	v_ashrrev_i32_e32 v128, s3, v129
	v_or_b32_sdwa v130, v130, v124 dst_sel:DWORD dst_unused:UNUSED_PAD src0_sel:WORD_0 src1_sel:DWORD
	v_ashrrev_i32_e32 v124, s19, v125
	v_lshlrev_b32_e32 v128, 2, v128
	v_bfe_u32 v125, v124, 24, 2
	v_and_b32_e32 v124, 0x3030303, v124
	v_and_b32_e32 v128, 0x4040404, v128
	v_sub_u16_e32 v129, v124, v128
	v_sub_u16_sdwa v136, v124, v128 dst_sel:BYTE_1 dst_unused:UNUSED_PAD src0_sel:BYTE_1 src1_sel:BYTE_1
	v_sub_u16_sdwa v124, v124, v128 dst_sel:DWORD dst_unused:UNUSED_PAD src0_sel:WORD_1 src1_sel:WORD_1
	v_sub_u16_sdwa v125, v125, v128 dst_sel:BYTE_1 dst_unused:UNUSED_PAD src0_sel:DWORD src1_sel:BYTE_3
	v_mov_b32_e32 v128, 0
	v_bitop3_b16 v124, v124, v125, s23 bitop3:0xec
	v_dot4c_i32_i8_e32 v128, v134, v2
	v_bitop3_b16 v129, v129, v136, s23 bitop3:0xec
	v_lshlrev_b32_e32 v124, 16, v124
	v_dot4c_i32_i8_e32 v128, v135, v3
	v_or_b32_sdwa v125, v129, v124 dst_sel:DWORD dst_unused:UNUSED_PAD src0_sel:WORD_0 src1_sel:DWORD
	v_add_u32_e32 v129, s28, v21
	v_dot4c_i32_i8_e32 v128, v130, v4
	v_dot4c_i32_i8_e32 v128, v125, v5
	ds_read_u16 v125, v129 offset:27378
	v_mov_b32_e32 v136, 0
	v_dot4c_i32_i8_e32 v136, v126, v6
	v_dot4c_i32_i8_e32 v136, v131, v7
	;; [unrolled: 1-line block ×4, first 2 shown]
	s_waitcnt lgkmcnt(0)
	v_lshrrev_b16_e32 v126, 8, v125
	v_bfe_i32 v125, v125, 0, 8
	v_add3_u32 v124, s27, v101, v103
	v_bfe_i32 v129, v126, 0, 8
	v_mul_lo_u32 v126, v136, v125
	v_add_u32_e32 v125, 0x3180, v127
	v_add3_u32 v136, s29, v105, v107
	ds_read_b32 v124, v124
	ds_read2_b32 v[130:131], v125 offset1:1
	ds_read2_b32 v[132:133], v136 offset1:1
	s_waitcnt lgkmcnt(1)
	v_ashrrev_i32_e32 v125, s19, v130
	s_waitcnt lgkmcnt(0)
	v_ashrrev_i32_e32 v132, s3, v132
	v_lshlrev_b32_e32 v132, 2, v132
	v_bfe_u32 v130, v125, 24, 2
	v_and_b32_e32 v125, 0x3030303, v125
	v_and_b32_e32 v132, 0x4040404, v132
	v_sub_u16_e32 v134, v125, v132
	v_sub_u16_sdwa v135, v125, v132 dst_sel:BYTE_1 dst_unused:UNUSED_PAD src0_sel:BYTE_1 src1_sel:BYTE_1
	v_sub_u16_sdwa v125, v125, v132 dst_sel:DWORD dst_unused:UNUSED_PAD src0_sel:WORD_1 src1_sel:WORD_1
	v_sub_u16_sdwa v130, v130, v132 dst_sel:BYTE_1 dst_unused:UNUSED_PAD src0_sel:DWORD src1_sel:BYTE_3
	v_bitop3_b16 v134, v134, v135, s23 bitop3:0xec
	v_bitop3_b16 v125, v125, v130, s23 bitop3:0xec
	v_lshlrev_b32_e32 v125, 16, v125
	v_ashrrev_i32_e32 v132, s3, v133
	v_or_b32_sdwa v130, v134, v125 dst_sel:DWORD dst_unused:UNUSED_PAD src0_sel:WORD_0 src1_sel:DWORD
	v_ashrrev_i32_e32 v125, s19, v131
	v_lshlrev_b32_e32 v132, 2, v132
	v_bfe_u32 v131, v125, 24, 2
	v_and_b32_e32 v125, 0x3030303, v125
	v_and_b32_e32 v132, 0x4040404, v132
	v_sub_u16_e32 v133, v125, v132
	v_sub_u16_sdwa v134, v125, v132 dst_sel:BYTE_1 dst_unused:UNUSED_PAD src0_sel:BYTE_1 src1_sel:BYTE_1
	v_sub_u16_sdwa v125, v125, v132 dst_sel:DWORD dst_unused:UNUSED_PAD src0_sel:WORD_1 src1_sel:WORD_1
	v_sub_u16_sdwa v131, v131, v132 dst_sel:BYTE_1 dst_unused:UNUSED_PAD src0_sel:DWORD src1_sel:BYTE_3
	v_bitop3_b16 v133, v133, v134, s23 bitop3:0xec
	v_bitop3_b16 v125, v125, v131, s23 bitop3:0xec
	v_lshlrev_b32_e32 v125, 16, v125
	v_or_b32_sdwa v131, v133, v125 dst_sel:DWORD dst_unused:UNUSED_PAD src0_sel:WORD_0 src1_sel:DWORD
	v_add_u32_e32 v125, 0x3188, v127
	ds_read2_b32 v[132:133], v125 offset1:1
	ds_read2_b32 v[134:135], v136 offset0:2 offset1:3
	s_waitcnt lgkmcnt(1)
	v_ashrrev_i32_e32 v125, s19, v132
	s_waitcnt lgkmcnt(0)
	v_ashrrev_i32_e32 v134, s3, v134
	v_lshlrev_b32_e32 v134, 2, v134
	v_bfe_u32 v132, v125, 24, 2
	v_and_b32_e32 v125, 0x3030303, v125
	v_and_b32_e32 v134, 0x4040404, v134
	v_sub_u16_e32 v137, v125, v134
	v_sub_u16_sdwa v138, v125, v134 dst_sel:BYTE_1 dst_unused:UNUSED_PAD src0_sel:BYTE_1 src1_sel:BYTE_1
	v_sub_u16_sdwa v125, v125, v134 dst_sel:DWORD dst_unused:UNUSED_PAD src0_sel:WORD_1 src1_sel:WORD_1
	v_sub_u16_sdwa v132, v132, v134 dst_sel:BYTE_1 dst_unused:UNUSED_PAD src0_sel:DWORD src1_sel:BYTE_3
	v_bitop3_b16 v137, v137, v138, s23 bitop3:0xec
	v_bitop3_b16 v125, v125, v132, s23 bitop3:0xec
	v_lshlrev_b32_e32 v125, 16, v125
	v_or_b32_sdwa v137, v137, v125 dst_sel:DWORD dst_unused:UNUSED_PAD src0_sel:WORD_0 src1_sel:DWORD
	v_ashrrev_i32_e32 v125, s19, v133
	v_ashrrev_i32_e32 v133, s3, v135
	v_lshlrev_b32_e32 v133, 2, v133
	v_bfe_u32 v132, v125, 24, 2
	v_and_b32_e32 v125, 0x3030303, v125
	v_and_b32_e32 v133, 0x4040404, v133
	v_sub_u16_e32 v134, v125, v133
	v_sub_u16_sdwa v135, v125, v133 dst_sel:BYTE_1 dst_unused:UNUSED_PAD src0_sel:BYTE_1 src1_sel:BYTE_1
	v_sub_u16_sdwa v125, v125, v133 dst_sel:DWORD dst_unused:UNUSED_PAD src0_sel:WORD_1 src1_sel:WORD_1
	v_sub_u16_sdwa v132, v132, v133 dst_sel:BYTE_1 dst_unused:UNUSED_PAD src0_sel:DWORD src1_sel:BYTE_3
	v_bitop3_b16 v134, v134, v135, s23 bitop3:0xec
	v_bitop3_b16 v125, v125, v132, s23 bitop3:0xec
	v_lshlrev_b32_e32 v125, 16, v125
	v_or_b32_sdwa v138, v134, v125 dst_sel:DWORD dst_unused:UNUSED_PAD src0_sel:WORD_0 src1_sel:DWORD
	v_add_u32_e32 v125, 0x3190, v127
	ds_read2_b32 v[132:133], v125 offset1:1
	ds_read2_b32 v[134:135], v136 offset0:4 offset1:5
	s_waitcnt lgkmcnt(1)
	v_ashrrev_i32_e32 v125, s19, v132
	s_waitcnt lgkmcnt(0)
	v_ashrrev_i32_e32 v134, s3, v134
	v_lshlrev_b32_e32 v134, 2, v134
	v_bfe_u32 v132, v125, 24, 2
	v_and_b32_e32 v125, 0x3030303, v125
	v_and_b32_e32 v134, 0x4040404, v134
	v_sub_u16_e32 v139, v125, v134
	v_sub_u16_sdwa v140, v125, v134 dst_sel:BYTE_1 dst_unused:UNUSED_PAD src0_sel:BYTE_1 src1_sel:BYTE_1
	v_sub_u16_sdwa v125, v125, v134 dst_sel:DWORD dst_unused:UNUSED_PAD src0_sel:WORD_1 src1_sel:WORD_1
	v_sub_u16_sdwa v132, v132, v134 dst_sel:BYTE_1 dst_unused:UNUSED_PAD src0_sel:DWORD src1_sel:BYTE_3
	v_bitop3_b16 v139, v139, v140, s23 bitop3:0xec
	v_bitop3_b16 v125, v125, v132, s23 bitop3:0xec
	v_lshlrev_b32_e32 v125, 16, v125
	v_or_b32_sdwa v139, v139, v125 dst_sel:DWORD dst_unused:UNUSED_PAD src0_sel:WORD_0 src1_sel:DWORD
	v_ashrrev_i32_e32 v125, s19, v133
	;; [unrolled: 33-line block ×3, first 2 shown]
	v_ashrrev_i32_e32 v133, s3, v135
	v_lshlrev_b32_e32 v133, 2, v133
	v_bfe_u32 v132, v125, 24, 2
	v_and_b32_e32 v125, 0x3030303, v125
	v_and_b32_e32 v133, 0x4040404, v133
	v_sub_u16_e32 v134, v125, v133
	v_sub_u16_sdwa v135, v125, v133 dst_sel:BYTE_1 dst_unused:UNUSED_PAD src0_sel:BYTE_1 src1_sel:BYTE_1
	v_sub_u16_sdwa v125, v125, v133 dst_sel:DWORD dst_unused:UNUSED_PAD src0_sel:WORD_1 src1_sel:WORD_1
	v_sub_u16_sdwa v132, v132, v133 dst_sel:BYTE_1 dst_unused:UNUSED_PAD src0_sel:DWORD src1_sel:BYTE_3
	v_bitop3_b16 v134, v134, v135, s23 bitop3:0xec
	v_bitop3_b16 v125, v125, v132, s23 bitop3:0xec
	v_lshlrev_b32_e32 v125, 16, v125
	v_or_b32_sdwa v132, v134, v125 dst_sel:DWORD dst_unused:UNUSED_PAD src0_sel:WORD_0 src1_sel:DWORD
	v_mov_b32_e32 v134, 0
	v_add_u32_e32 v133, s28, v19
	v_add3_u32 v125, s27, v109, v111
	v_dot4c_i32_i8_e32 v134, v130, v6
	v_mov_b32_e32 v6, 0
	ds_read_b32 v125, v125
	v_dot4c_i32_i8_e32 v6, v139, v2
	ds_read_u16 v2, v133 offset:28402
	v_dot4c_i32_i8_e32 v134, v131, v7
	v_dot4c_i32_i8_e32 v134, v137, v8
	;; [unrolled: 1-line block ×5, first 2 shown]
	s_waitcnt lgkmcnt(0)
	v_lshrrev_b16_e32 v3, 8, v2
	v_bfe_i32 v2, v2, 0, 8
	v_dot4c_i32_i8_e32 v6, v132, v5
	v_bfe_i32 v5, v3, 0, 8
	v_mul_lo_u32 v4, v134, v2
	v_mad_u64_u32 v[2:3], s[28:29], v128, v129, v[126:127]
	v_mad_u64_u32 v[4:5], s[28:29], v6, v5, v[4:5]
	v_cvt_f32_i32_e32 v3, v4
	v_cvt_f32_i32_e32 v2, v2
	v_pk_mul_f32 v[6:7], v[122:123], v[124:125] op_sel_hi:[0,1]
	s_add_i32 s3, s3, 1
	v_add_u32_e32 v123, 4, v123
	v_pk_fma_f32 v[40:41], v[6:7], v[2:3], v[40:41]
	s_cmp_lt_u32 s18, 30
	s_mov_b32 s27, s18
	s_cbranch_scc1 .LBB210_35
; %bb.36:                               ;   in Loop: Header=BB210_5 Depth=1
	s_barrier
	s_branch .LBB210_4
.LBB210_37:
	s_mul_i32 s0, s10, s7
	s_waitcnt vmcnt(0)
	v_cmp_gt_i32_e32 vcc, s0, v1
	s_and_saveexec_b64 s[0:1], vcc
	s_cbranch_execz .LBB210_46
; %bb.38:
	v_and_b32_e32 v0, 0x3ff, v0
	v_add_u32_e32 v2, s11, v0
	v_mul_lo_u32 v0, v1, s9
	v_cmp_gt_u32_e32 vcc, s9, v2
	s_and_saveexec_b64 s[0:1], vcc
	s_cbranch_execz .LBB210_40
; %bb.39:
	v_cvt_f16_f32_e32 v1, v42
	v_add_u32_e32 v4, v0, v2
	v_mov_b32_e32 v5, 0
	v_lshl_add_u64 v[4:5], v[4:5], 1, s[16:17]
	global_store_short v[4:5], v1, off
.LBB210_40:
	s_or_b64 exec, exec, s[0:1]
	v_add_u32_e32 v1, 32, v2
	v_cmp_gt_u32_e32 vcc, s9, v1
	s_and_saveexec_b64 s[0:1], vcc
	s_cbranch_execz .LBB210_42
; %bb.41:
	v_cvt_f16_f32_e32 v3, v43
	v_add_u32_e32 v4, v0, v1
	v_mov_b32_e32 v5, 0
	v_lshl_add_u64 v[4:5], v[4:5], 1, s[16:17]
	global_store_short v[4:5], v3, off
.LBB210_42:
	s_or_b64 exec, exec, s[0:1]
	v_add_u32_e32 v1, 64, v2
	;; [unrolled: 12-line block ×3, first 2 shown]
	v_cmp_gt_u32_e32 vcc, s9, v1
	s_and_b64 exec, exec, vcc
	s_cbranch_execz .LBB210_46
; %bb.45:
	v_cvt_f16_f32_e32 v2, v41
	v_add_u32_e32 v0, v0, v1
	v_mov_b32_e32 v1, 0
	v_lshl_add_u64 v[0:1], v[0:1], 1, s[16:17]
	global_store_short v[0:1], v2, off
.LBB210_46:
	s_endpgm
	.section	.rodata,"a",@progbits
	.p2align	6, 0x0
	.amdhsa_kernel _ZL8moe_q3_KIN3c104HalfELb1EEvPKvS3_PT_PKiS7_S7_iiiiiii
		.amdhsa_group_segment_fixed_size 31776
		.amdhsa_private_segment_fixed_size 0
		.amdhsa_kernarg_size 76
		.amdhsa_user_sgpr_count 2
		.amdhsa_user_sgpr_dispatch_ptr 0
		.amdhsa_user_sgpr_queue_ptr 0
		.amdhsa_user_sgpr_kernarg_segment_ptr 1
		.amdhsa_user_sgpr_dispatch_id 0
		.amdhsa_user_sgpr_kernarg_preload_length 0
		.amdhsa_user_sgpr_kernarg_preload_offset 0
		.amdhsa_user_sgpr_private_segment_size 0
		.amdhsa_uses_dynamic_stack 0
		.amdhsa_enable_private_segment 0
		.amdhsa_system_sgpr_workgroup_id_x 1
		.amdhsa_system_sgpr_workgroup_id_y 1
		.amdhsa_system_sgpr_workgroup_id_z 0
		.amdhsa_system_sgpr_workgroup_info 0
		.amdhsa_system_vgpr_workitem_id 1
		.amdhsa_next_free_vgpr 152
		.amdhsa_next_free_sgpr 96
		.amdhsa_accum_offset 152
		.amdhsa_reserve_vcc 1
		.amdhsa_float_round_mode_32 0
		.amdhsa_float_round_mode_16_64 0
		.amdhsa_float_denorm_mode_32 3
		.amdhsa_float_denorm_mode_16_64 3
		.amdhsa_dx10_clamp 1
		.amdhsa_ieee_mode 1
		.amdhsa_fp16_overflow 0
		.amdhsa_tg_split 0
		.amdhsa_exception_fp_ieee_invalid_op 0
		.amdhsa_exception_fp_denorm_src 0
		.amdhsa_exception_fp_ieee_div_zero 0
		.amdhsa_exception_fp_ieee_overflow 0
		.amdhsa_exception_fp_ieee_underflow 0
		.amdhsa_exception_fp_ieee_inexact 0
		.amdhsa_exception_int_div_zero 0
	.end_amdhsa_kernel
	.section	.text._ZL8moe_q3_KIN3c104HalfELb1EEvPKvS3_PT_PKiS7_S7_iiiiiii,"axG",@progbits,_ZL8moe_q3_KIN3c104HalfELb1EEvPKvS3_PT_PKiS7_S7_iiiiiii,comdat
.Lfunc_end210:
	.size	_ZL8moe_q3_KIN3c104HalfELb1EEvPKvS3_PT_PKiS7_S7_iiiiiii, .Lfunc_end210-_ZL8moe_q3_KIN3c104HalfELb1EEvPKvS3_PT_PKiS7_S7_iiiiiii
                                        ; -- End function
	.set _ZL8moe_q3_KIN3c104HalfELb1EEvPKvS3_PT_PKiS7_S7_iiiiiii.num_vgpr, 152
	.set _ZL8moe_q3_KIN3c104HalfELb1EEvPKvS3_PT_PKiS7_S7_iiiiiii.num_agpr, 0
	.set _ZL8moe_q3_KIN3c104HalfELb1EEvPKvS3_PT_PKiS7_S7_iiiiiii.numbered_sgpr, 36
	.set _ZL8moe_q3_KIN3c104HalfELb1EEvPKvS3_PT_PKiS7_S7_iiiiiii.num_named_barrier, 0
	.set _ZL8moe_q3_KIN3c104HalfELb1EEvPKvS3_PT_PKiS7_S7_iiiiiii.private_seg_size, 0
	.set _ZL8moe_q3_KIN3c104HalfELb1EEvPKvS3_PT_PKiS7_S7_iiiiiii.uses_vcc, 1
	.set _ZL8moe_q3_KIN3c104HalfELb1EEvPKvS3_PT_PKiS7_S7_iiiiiii.uses_flat_scratch, 0
	.set _ZL8moe_q3_KIN3c104HalfELb1EEvPKvS3_PT_PKiS7_S7_iiiiiii.has_dyn_sized_stack, 0
	.set _ZL8moe_q3_KIN3c104HalfELb1EEvPKvS3_PT_PKiS7_S7_iiiiiii.has_recursion, 0
	.set _ZL8moe_q3_KIN3c104HalfELb1EEvPKvS3_PT_PKiS7_S7_iiiiiii.has_indirect_call, 0
	.section	.AMDGPU.csdata,"",@progbits
; Kernel info:
; codeLenInByte = 20676
; TotalNumSgprs: 42
; NumVgprs: 152
; NumAgprs: 0
; TotalNumVgprs: 152
; ScratchSize: 0
; MemoryBound: 0
; FloatMode: 240
; IeeeMode: 1
; LDSByteSize: 31776 bytes/workgroup (compile time only)
; SGPRBlocks: 12
; VGPRBlocks: 18
; NumSGPRsForWavesPerEU: 102
; NumVGPRsForWavesPerEU: 152
; AccumOffset: 152
; Occupancy: 3
; WaveLimiterHint : 1
; COMPUTE_PGM_RSRC2:SCRATCH_EN: 0
; COMPUTE_PGM_RSRC2:USER_SGPR: 2
; COMPUTE_PGM_RSRC2:TRAP_HANDLER: 0
; COMPUTE_PGM_RSRC2:TGID_X_EN: 1
; COMPUTE_PGM_RSRC2:TGID_Y_EN: 1
; COMPUTE_PGM_RSRC2:TGID_Z_EN: 0
; COMPUTE_PGM_RSRC2:TIDIG_COMP_CNT: 1
; COMPUTE_PGM_RSRC3_GFX90A:ACCUM_OFFSET: 37
; COMPUTE_PGM_RSRC3_GFX90A:TG_SPLIT: 0
	.section	.text._ZL8moe_q4_KIN3c104HalfELb0EEvPKvS3_PT_PKiS7_S7_iiiiiii,"axG",@progbits,_ZL8moe_q4_KIN3c104HalfELb0EEvPKvS3_PT_PKiS7_S7_iiiiiii,comdat
	.globl	_ZL8moe_q4_KIN3c104HalfELb0EEvPKvS3_PT_PKiS7_S7_iiiiiii ; -- Begin function _ZL8moe_q4_KIN3c104HalfELb0EEvPKvS3_PT_PKiS7_S7_iiiiiii
	.p2align	8
	.type	_ZL8moe_q4_KIN3c104HalfELb0EEvPKvS3_PT_PKiS7_S7_iiiiiii,@function
_ZL8moe_q4_KIN3c104HalfELb0EEvPKvS3_PT_PKiS7_S7_iiiiiii: ; @_ZL8moe_q4_KIN3c104HalfELb0EEvPKvS3_PT_PKiS7_S7_iiiiiii
; %bb.0:
	s_load_dwordx4 s[4:7], s[0:1], 0x18
	s_mov_b32 s8, s3
	s_mov_b32 s9, 0
	s_lshl_b64 s[10:11], s[8:9], 2
	s_waitcnt lgkmcnt(0)
	s_add_u32 s6, s6, s10
	s_addc_u32 s7, s7, s11
	s_load_dword s3, s[6:7], 0x0
	s_waitcnt lgkmcnt(0)
	s_cmpk_gt_u32 s3, 0xff
	s_cbranch_scc1 .LBB211_26
; %bb.1:
	s_load_dwordx2 s[6:7], s[0:1], 0x28
	s_waitcnt lgkmcnt(0)
	s_load_dword s7, s[6:7], 0x0
	s_lshl_b32 s6, s8, 3
	s_waitcnt lgkmcnt(0)
	s_cmp_gt_u32 s6, s7
	s_cbranch_scc1 .LBB211_26
; %bb.2:
	v_bfe_u32 v2, v0, 10, 10
	v_mov_b32_e32 v4, s4
	v_mov_b32_e32 v5, s5
	v_add_u32_e32 v30, s6, v2
	v_mov_b32_e32 v31, 0
	v_lshl_add_u64 v[4:5], v[30:31], 2, v[4:5]
	global_load_dword v1, v[4:5], off
	s_load_dwordx2 s[14:15], s[0:1], 0x30
	s_load_dwordx2 s[12:13], s[0:1], 0x10
	s_load_dwordx4 s[4:7], s[0:1], 0x3c
	s_lshl_b32 s22, s2, 7
	v_mov_b32_e32 v30, v31
	s_waitcnt lgkmcnt(0)
	s_cmpk_lt_i32 s15, 0x100
	v_mov_b32_e32 v23, v31
	v_mov_b32_e32 v22, v31
	s_cbranch_scc1 .LBB211_17
; %bb.3:
	s_load_dwordx4 s[8:11], s[0:1], 0x0
	s_ashr_i32 s0, s15, 31
	s_lshr_b32 s0, s0, 24
	s_add_i32 s0, s15, s0
	s_ashr_i32 s23, s0, 8
	s_ashr_i32 s0, s5, 31
	s_lshr_b32 s0, s0, 27
	s_add_i32 s0, s5, s0
	v_and_b32_e32 v24, 0x3ff, v0
	s_ashr_i32 s5, s0, 5
	v_lshlrev_b32_e32 v6, 2, v24
	s_movk_i32 s0, 0x84
	v_mad_u32_u24 v84, v2, s0, v6
	s_lshl_b32 s0, s23, 3
	v_mov_b32_e32 v4, s0
	v_mad_i32_i24 v8, s23, v2, v4
	v_add_u32_e32 v10, s0, v8
	v_add_u32_e32 v12, s0, v10
	;; [unrolled: 1-line block ×11, first 2 shown]
	v_lshl_add_u32 v4, v2, 5, v24
	v_add_u32_e32 v36, s0, v35
	v_and_b32_e32 v5, 0x7f, v4
	v_lshrrev_b32_e32 v4, 3, v4
	v_and_b32_e32 v11, 3, v0
	v_add_u32_e32 v37, s0, v36
	v_mul_i32_i24_e32 v38, s23, v5
	v_and_b32_e32 v4, 12, v4
	v_lshlrev_b32_e32 v5, 2, v5
	s_movk_i32 s0, 0x4e40
	v_add_u32_e32 v13, 0xfe, v11
	v_add3_u32 v85, v5, v4, s0
	v_lshlrev_b32_e32 v4, 3, v2
	v_bfe_u32 v5, v0, 2, 8
	v_and_b32_e32 v13, 0xff, v13
	v_cmp_gt_u32_e32 vcc, 2, v11
	v_add_u32_e32 v9, v5, v4
	v_add_u16_e32 v4, v5, v4
	v_cndmask_b32_e32 v13, v13, v11, vcc
	v_cmp_ne_u32_e32 vcc, 0, v11
	s_mul_i32 s16, s3, s14
	v_cmp_lt_u32_e64 s[2:3], 1, v11
	v_addc_co_u32_e32 v39, vcc, 0, v13, vcc
	v_lshlrev_b32_e32 v87, 1, v13
	v_and_b32_e32 v13, 0x7f, v9
	v_lshlrev_b32_e32 v11, 2, v11
	v_lshrrev_b16_e32 v4, 1, v4
	v_mul_i32_i24_e32 v40, s23, v13
	v_lshl_or_b32 v13, v13, 4, v11
	v_and_b32_e32 v4, 60, v4
	s_movk_i32 s1, 0x4200
	v_add3_u32 v88, v13, v4, s1
	v_mov_b32_e32 v4, 0x7f
	v_bitop3_b32 v4, v9, 64, v4 bitop3:0x6c
	v_lshl_or_b32 v5, v4, 4, v11
	v_mov_b32_e32 v11, 0x4a40
	v_and_b32_e32 v9, 31, v0
	v_lshl_add_u32 v90, v2, 7, v11
	v_bfe_u32 v93, v0, 3, 7
	v_bfe_u32 v3, v0, 5, 5
	v_lshl_add_u32 v91, v9, 2, v90
	v_add_u32_e32 v9, v93, v6
	v_mov_b32_e32 v11, 0x4200
	v_lshl_add_u32 v94, v9, 2, v11
	v_lshlrev_b32_e32 v9, 2, v3
	v_add3_u32 v95, v9, v6, s0
	v_add_u32_e32 v9, 32, v24
	v_lshrrev_b32_e32 v96, 3, v9
	v_lshl_add_u32 v9, v9, 2, v96
	v_lshl_add_u32 v97, v9, 2, v11
	v_and_b32_e32 v9, 60, v96
	v_add3_u32 v98, v6, v9, s0
	v_add_u32_e32 v9, 64, v24
	v_lshrrev_b32_e32 v13, 3, v9
	v_and_b32_e32 v15, 4, v6
	v_lshl_add_u32 v9, v9, 2, v13
	s_abs_i32 s18, s7
	v_cndmask_b32_e64 v86, 0, v15, s[2:3]
	v_lshl_add_u32 v99, v9, 2, v11
	v_and_b32_e32 v9, 60, v13
	v_cvt_f32_u32_e32 v15, s18
	v_add3_u32 v100, v6, v9, s0
	v_add_u32_e32 v9, 0x60, v24
	v_lshrrev_b32_e32 v13, 3, v9
	v_lshl_add_u32 v9, v9, 2, v13
	v_lshl_add_u32 v101, v9, 2, v11
	v_rcp_iflag_f32_e32 v11, v15
	v_and_b32_e32 v9, 60, v13
	v_add3_u32 v102, v6, v9, s0
	s_sub_i32 s0, 0, s18
	v_mul_f32_e32 v9, 0x4f7ffffe, v11
	v_cvt_u32_f32_e32 v9, v9
	s_waitcnt vmcnt(0)
	v_sub_u32_e32 v11, 0, v1
	v_mul_i32_i24_e32 v41, s23, v4
	v_lshrrev_b32_e32 v4, 1, v4
	v_mul_lo_u32 v13, s0, v9
	v_mul_hi_u32 v13, v9, v13
	v_max_i32_e32 v11, v1, v11
	v_add_u32_e32 v9, v9, v13
	s_mul_i32 s14, s23, s22
	v_mov_b32_e32 v23, 0
	v_and_b32_e32 v4, 60, v4
	v_mul_hi_u32 v9, v11, v9
	v_add3_u32 v89, v5, v4, s1
	v_and_b32_e32 v4, 28, v6
	v_mov_b32_e32 v5, v23
	v_mul_lo_u32 v13, v9, s18
	s_mul_hi_i32 s21, s14, 0x90
	s_mul_i32 s20, s14, 0x90
	v_sub_u32_e32 v11, v11, v13
	s_waitcnt lgkmcnt(0)
	v_lshl_add_u64 v[26:27], s[10:11], 0, v[4:5]
	s_movk_i32 s26, 0x90
	v_mov_b64_e32 v[4:5], s[20:21]
	v_add_u32_e32 v13, 1, v9
	v_cmp_le_u32_e64 s[0:1], s18, v11
	v_mad_u64_u32 v[4:5], s[24:25], v3, s26, v[4:5]
	v_and_b32_e32 v22, 0x7c, v6
	v_cndmask_b32_e64 v9, v9, v13, s[0:1]
	v_subrev_u32_e32 v13, s18, v11
	v_mad_u64_u32 v[28:29], s[24:25], v25, s26, v[4:5]
	v_cndmask_b32_e64 v11, v11, v13, s[0:1]
	v_lshl_add_u64 v[30:31], v[28:29], 0, v[22:23]
	v_mad_u64_u32 v[28:29], s[24:25], v32, s26, v[4:5]
	v_add_u32_e32 v74, 0x5050, v6
	v_xor_b32_e32 v6, s7, v1
	v_add_u32_e32 v13, 1, v9
	v_cmp_le_u32_e64 s[0:1], s18, v11
	v_lshl_add_u64 v[52:53], v[28:29], 0, v[22:23]
	v_mad_u64_u32 v[28:29], s[24:25], v33, s26, v[4:5]
	v_ashrrev_i32_e32 v6, 31, v6
	v_cndmask_b32_e64 v9, v9, v13, s[0:1]
	v_lshl_add_u64 v[54:55], v[28:29], 0, v[22:23]
	v_mad_u64_u32 v[28:29], s[24:25], v34, s26, v[4:5]
	v_xor_b32_e32 v9, v9, v6
	v_lshl_add_u64 v[56:57], v[28:29], 0, v[22:23]
	v_mad_u64_u32 v[28:29], s[24:25], v35, s26, v[4:5]
	v_mul_i32_i24_e32 v7, s23, v2
	v_sub_u32_e32 v42, v9, v6
	v_lshl_add_u64 v[58:59], v[28:29], 0, v[22:23]
	v_mad_u64_u32 v[28:29], s[24:25], v36, s26, v[4:5]
	v_cmp_gt_u32_e32 vcc, 4, v24
	v_cmp_gt_i32_e64 s[0:1], s4, v42
	v_mad_u64_u32 v[6:7], s[24:25], v7, s26, v[4:5]
	v_mad_u64_u32 v[8:9], s[24:25], v8, s26, v[4:5]
	;; [unrolled: 1-line block ×8, first 2 shown]
	v_lshl_add_u64 v[60:61], v[28:29], 0, v[22:23]
	v_mad_u64_u32 v[28:29], s[24:25], v37, s26, v[4:5]
	s_ashr_i32 s17, s16, 31
	s_and_b64 s[18:19], vcc, s[0:1]
	v_lshl_add_u64 v[6:7], v[6:7], 0, v[22:23]
	s_mul_i32 s24, s23, 0x78
	v_lshl_add_u64 v[8:9], v[8:9], 0, v[22:23]
	v_mov_b32_e32 v3, s24
	s_add_u32 s20, s8, s20
	v_lshl_add_u64 v[6:7], s[8:9], 0, v[6:7]
	v_lshlrev_b32_e32 v92, 4, v2
	v_lshl_add_u64 v[10:11], v[10:11], 0, v[22:23]
	v_mad_i32_i24 v2, s23, v2, v3
	s_addc_u32 s21, s9, s21
	v_lshl_add_u64 v[34:35], v[6:7], 0, 16
	v_lshl_add_u64 v[6:7], s[8:9], 0, v[8:9]
	;; [unrolled: 1-line block ×3, first 2 shown]
	v_mad_u64_u32 v[2:3], s[24:25], v2, s26, v[4:5]
	v_mov_b64_e32 v[4:5], s[20:21]
	v_lshl_add_u64 v[36:37], v[6:7], 0, 16
	v_lshl_add_u64 v[6:7], s[8:9], 0, v[10:11]
	;; [unrolled: 1-line block ×8, first 2 shown]
	v_mad_u64_u32 v[28:29], s[20:21], v38, s26, v[4:5]
	v_lshlrev_b32_e32 v22, 2, v39
	v_lshl_add_u64 v[38:39], v[6:7], 0, 16
	v_lshl_add_u64 v[6:7], s[8:9], 0, v[12:13]
	v_mad_u64_u32 v[4:5], s[20:21], v40, s26, 0
	v_mov_b32_e32 v25, 0x90
	v_mad_u64_u32 v[32:33], s[20:21], v41, s26, 0
	v_lshl_add_u64 v[40:41], v[6:7], 0, 16
	v_lshl_add_u64 v[6:7], s[8:9], 0, v[14:15]
	v_mad_i64_i32 v[72:73], s[20:21], s14, v25, v[32:33]
	v_mul_lo_u32 v32, v42, s5
	v_lshl_add_u64 v[42:43], v[6:7], 0, 16
	v_lshl_add_u64 v[6:7], s[8:9], 0, v[16:17]
	;; [unrolled: 1-line block ×22, first 2 shown]
	v_cndmask_b32_e64 v2, 0, 1, s[2:3]
	v_mad_i64_i32 v[4:5], s[20:21], s14, v25, v[4:5]
	v_lshl_add_u64 v[62:63], v[6:7], 0, 16
	v_lshlrev_b32_e32 v6, 2, v2
	v_or_b32_e32 v2, v4, v6
	v_mov_b32_e32 v3, v5
	v_lshl_add_u64 v[2:3], s[8:9], 0, v[2:3]
	v_lshl_add_u64 v[66:67], v[2:3], 0, 4
	;; [unrolled: 1-line block ×5, first 2 shown]
	v_or_b32_e32 v2, v72, v6
	v_mov_b32_e32 v3, v73
	v_lshl_add_u64 v[2:3], s[8:9], 0, v[2:3]
	v_lshl_add_u64 v[70:71], v[2:3], 0, 4
	;; [unrolled: 1-line block ×4, first 2 shown]
	v_mul_u32_u24_e32 v112, 0x84, v24
	v_ashrrev_i32_e32 v33, 31, v32
	v_lshl_add_u64 v[72:73], v[2:3], 0, 4
	s_movk_i32 s14, 0x80
	s_mov_b32 s24, 0x30303030
	v_add_u32_e32 v103, v74, v92
	s_mov_b64 s[8:9], 0x90
	v_mov_b32_e32 v22, v23
	v_mov_b32_e32 v30, v23
	;; [unrolled: 1-line block ×3, first 2 shown]
	v_add_u32_e32 v104, 0x2100, v84
	v_add_u32_e32 v105, 0x2520, v84
	;; [unrolled: 1-line block ×32, first 2 shown]
	s_branch .LBB211_6
.LBB211_4:                              ;   in Loop: Header=BB211_6 Depth=1
	s_or_b64 exec, exec, s[20:21]
	s_waitcnt lgkmcnt(0)
	s_barrier
	ds_read2_b32 v[74:75], v112 offset0:16 offset1:17
	ds_read_b128 v[14:17], v90
	ds_read_b128 v[10:13], v90 offset:16
	ds_read_b128 v[6:9], v90 offset:32
	;; [unrolled: 1-line block ×4, first 2 shown]
	ds_read2_b32 v[76:77], v112 offset0:18 offset1:19
	s_waitcnt lgkmcnt(6)
	v_and_b32_e32 v25, 0xf0f0f0f, v74
	v_mov_b32_e32 v137, 0
	s_waitcnt lgkmcnt(5)
	v_dot4c_i32_i8_e32 v137, v25, v14
	v_and_b32_e32 v25, 0xf0f0f0f, v75
	ds_read2_b32 v[78:79], v112 offset0:20 offset1:21
	ds_read2_b32 v[80:81], v112 offset0:22 offset1:23
	;; [unrolled: 1-line block ×3, first 2 shown]
	v_dot4c_i32_i8_e32 v137, v25, v15
	s_waitcnt lgkmcnt(3)
	v_and_b32_e32 v25, 0xf0f0f0f, v76
	v_dot4c_i32_i8_e32 v137, v25, v16
	v_and_b32_e32 v25, 0xf0f0f0f, v77
	v_dot4c_i32_i8_e32 v137, v25, v17
	s_waitcnt lgkmcnt(2)
	v_and_b32_e32 v25, 0xf0f0f0f, v78
	v_dot4c_i32_i8_e32 v137, v25, v10
	v_and_b32_e32 v25, 0xf0f0f0f, v79
	;; [unrolled: 5-line block ×3, first 2 shown]
	v_dot4c_i32_i8_e32 v137, v25, v13
	v_lshrrev_b32_e32 v25, 4, v74
	v_and_b32_e32 v25, 0xf0f0f0f, v25
	v_mov_b32_e32 v149, 0
	v_dot4c_i32_i8_e32 v149, v25, v6
	v_lshrrev_b32_e32 v25, 4, v75
	v_and_b32_e32 v25, 0xf0f0f0f, v25
	v_dot4c_i32_i8_e32 v149, v25, v7
	v_lshrrev_b32_e32 v25, 4, v76
	v_and_b32_e32 v25, 0xf0f0f0f, v25
	;; [unrolled: 3-line block ×3, first 2 shown]
	v_add_u32_e32 v74, 0x10c0, v112
	v_dot4c_i32_i8_e32 v149, v25, v9
	v_lshrrev_b32_e32 v25, 4, v78
	ds_read2_b32 v[74:75], v74 offset1:1
	v_and_b32_e32 v25, 0xf0f0f0f, v25
	v_dot4c_i32_i8_e32 v149, v25, v2
	v_lshrrev_b32_e32 v25, 4, v79
	v_and_b32_e32 v25, 0xf0f0f0f, v25
	v_dot4c_i32_i8_e32 v149, v25, v3
	v_lshrrev_b32_e32 v25, 4, v80
	v_and_b32_e32 v25, 0xf0f0f0f, v25
	s_waitcnt lgkmcnt(0)
	v_and_b32_e32 v76, 0xf0f0f0f, v74
	v_mov_b32_e32 v153, 0
	v_dot4c_i32_i8_e32 v149, v25, v4
	v_lshrrev_b32_e32 v25, 4, v81
	v_dot4c_i32_i8_e32 v153, v76, v14
	v_and_b32_e32 v76, 0xf0f0f0f, v75
	v_and_b32_e32 v25, 0xf0f0f0f, v25
	v_dot4c_i32_i8_e32 v153, v76, v15
	v_add_u32_e32 v76, 0x10c8, v112
	v_dot4c_i32_i8_e32 v149, v25, v5
	ds_read_b32 v152, v98 offset:128
	ds_read_b32 v25, v100 offset:256
	;; [unrolled: 1-line block ×3, first 2 shown]
	ds_read2_b32 v[76:77], v76 offset1:1
	v_lshrrev_b32_e32 v74, 4, v74
	v_and_b32_e32 v74, 0xf0f0f0f, v74
	v_mov_b32_e32 v154, 0
	v_dot4c_i32_i8_e32 v154, v74, v6
	v_lshrrev_b32_e32 v74, 4, v75
	v_and_b32_e32 v74, 0xf0f0f0f, v74
	v_add_u32_e32 v78, 0x10d0, v112
	v_add_u32_e32 v80, 0x10d8, v112
	;; [unrolled: 1-line block ×3, first 2 shown]
	v_dot4c_i32_i8_e32 v154, v74, v7
	s_waitcnt lgkmcnt(0)
	v_lshrrev_b32_e32 v74, 4, v76
	ds_read2_b32 v[78:79], v78 offset1:1
	ds_read2_b32 v[80:81], v80 offset1:1
	;; [unrolled: 1-line block ×3, first 2 shown]
	v_and_b32_e32 v74, 0xf0f0f0f, v74
	v_dot4c_i32_i8_e32 v154, v74, v8
	v_lshrrev_b32_e32 v74, 4, v77
	v_and_b32_e32 v74, 0xf0f0f0f, v74
	v_dot4c_i32_i8_e32 v154, v74, v9
	s_waitcnt lgkmcnt(2)
	v_lshrrev_b32_e32 v74, 4, v78
	v_and_b32_e32 v74, 0xf0f0f0f, v74
	v_dot4c_i32_i8_e32 v154, v74, v2
	v_lshrrev_b32_e32 v74, 4, v79
	v_and_b32_e32 v74, 0xf0f0f0f, v74
	v_dot4c_i32_i8_e32 v154, v74, v3
	s_waitcnt lgkmcnt(1)
	v_lshrrev_b32_e32 v74, 4, v80
	v_and_b32_e32 v74, 0xf0f0f0f, v74
	v_dot4c_i32_i8_e32 v154, v74, v4
	v_lshrrev_b32_e32 v74, 4, v81
	v_and_b32_e32 v74, 0xf0f0f0f, v74
	v_and_b32_e32 v140, 0xf0f0f0f, v76
	v_dot4c_i32_i8_e32 v154, v74, v5
	s_waitcnt lgkmcnt(0)
	v_and_b32_e32 v74, 0xf0f0f0f, v82
	v_mov_b32_e32 v75, 0
	v_dot4c_i32_i8_e32 v153, v140, v16
	v_and_b32_e32 v140, 0xf0f0f0f, v77
	v_dot4c_i32_i8_e32 v75, v74, v14
	v_and_b32_e32 v74, 0xf0f0f0f, v83
	;; [unrolled: 2-line block ×3, first 2 shown]
	v_dot4c_i32_i8_e32 v75, v74, v15
	v_add_u32_e32 v74, 0x2148, v112
	v_dot4c_i32_i8_e32 v153, v140, v10
	v_and_b32_e32 v140, 0xf0f0f0f, v79
	ds_read2_b32 v[78:79], v74 offset1:1
	v_lshrrev_b32_e32 v82, 4, v82
	v_dot4c_i32_i8_e32 v153, v140, v11
	v_and_b32_e32 v140, 0xf0f0f0f, v80
	v_and_b32_e32 v82, 0xf0f0f0f, v82
	v_mov_b32_e32 v145, 0
	v_dot4c_i32_i8_e32 v153, v140, v12
	v_and_b32_e32 v140, 0xf0f0f0f, v81
	v_add_u32_e32 v74, 0x2150, v112
	v_dot4c_i32_i8_e32 v145, v82, v6
	v_lshrrev_b32_e32 v82, 4, v83
	v_dot4c_i32_i8_e32 v153, v140, v13
	v_add_u32_e32 v76, 0x2158, v112
	v_add_u32_e32 v77, 0x31c0, v112
	ds_read2_b32 v[80:81], v74 offset1:1
	ds_read2_b32 v[140:141], v76 offset1:1
	ds_read2_b32 v[142:143], v77 offset1:1
	s_waitcnt lgkmcnt(3)
	v_and_b32_e32 v74, 0xf0f0f0f, v78
	v_and_b32_e32 v82, 0xf0f0f0f, v82
	v_lshrrev_b32_e32 v78, 4, v78
	v_dot4c_i32_i8_e32 v145, v82, v7
	v_and_b32_e32 v78, 0xf0f0f0f, v78
	v_dot4c_i32_i8_e32 v145, v78, v8
	v_lshrrev_b32_e32 v78, 4, v79
	v_and_b32_e32 v78, 0xf0f0f0f, v78
	v_dot4c_i32_i8_e32 v75, v74, v16
	v_and_b32_e32 v74, 0xf0f0f0f, v79
	v_dot4c_i32_i8_e32 v145, v78, v9
	s_waitcnt lgkmcnt(2)
	v_lshrrev_b32_e32 v78, 4, v80
	v_dot4c_i32_i8_e32 v75, v74, v17
	v_and_b32_e32 v74, 0xf0f0f0f, v80
	v_and_b32_e32 v78, 0xf0f0f0f, v78
	s_waitcnt lgkmcnt(0)
	v_and_b32_e32 v80, 0xf0f0f0f, v142
	v_mov_b32_e32 v156, 0
	v_dot4c_i32_i8_e32 v145, v78, v2
	v_lshrrev_b32_e32 v78, 4, v81
	v_dot4c_i32_i8_e32 v156, v80, v14
	v_and_b32_e32 v14, 0xf0f0f0f, v143
	ds_read2_b32 v[76:77], v99 offset0:1 offset1:3
	v_and_b32_e32 v78, 0xf0f0f0f, v78
	v_dot4c_i32_i8_e32 v156, v14, v15
	v_add_u32_e32 v14, 0x31c8, v112
	v_dot4c_i32_i8_e32 v145, v78, v3
	v_lshrrev_b32_e32 v78, 4, v140
	ds_read2_b32 v[14:15], v14 offset1:1
	v_and_b32_e32 v78, 0xf0f0f0f, v78
	v_dot4c_i32_i8_e32 v75, v74, v10
	v_and_b32_e32 v74, 0xf0f0f0f, v81
	v_dot4c_i32_i8_e32 v145, v78, v4
	v_lshrrev_b32_e32 v78, 4, v141
	v_dot4c_i32_i8_e32 v75, v74, v11
	v_and_b32_e32 v74, 0xf0f0f0f, v140
	v_and_b32_e32 v78, 0xf0f0f0f, v78
	v_add_u32_e32 v80, 0x31d0, v112
	v_add_u32_e32 v82, 0x31d8, v112
	v_add_u32_e32 v140, 0x10e0, v112
	v_dot4c_i32_i8_e32 v75, v74, v12
	v_and_b32_e32 v74, 0xf0f0f0f, v141
	v_dot4c_i32_i8_e32 v145, v78, v5
	s_waitcnt lgkmcnt(1)
	v_bfe_u32 v78, v76, 8, 8
	ds_read2_b32 v[80:81], v80 offset1:1
	ds_read2_b32 v[82:83], v82 offset1:1
	;; [unrolled: 1-line block ×3, first 2 shown]
	v_mul_lo_u32 v78, v145, v78
	s_waitcnt lgkmcnt(3)
	v_and_b32_e32 v145, 0xf0f0f0f, v14
	v_dot4c_i32_i8_e32 v156, v145, v16
	v_and_b32_e32 v16, 0xf0f0f0f, v15
	v_dot4c_i32_i8_e32 v156, v16, v17
	s_waitcnt lgkmcnt(2)
	v_and_b32_e32 v16, 0xf0f0f0f, v80
	v_dot4c_i32_i8_e32 v156, v16, v10
	v_and_b32_e32 v10, 0xf0f0f0f, v81
	v_dot4c_i32_i8_e32 v156, v10, v11
	;; [unrolled: 5-line block ×3, first 2 shown]
	v_lshrrev_b32_e32 v10, 4, v142
	v_and_b32_e32 v10, 0xf0f0f0f, v10
	v_mov_b32_e32 v157, 0
	v_dot4c_i32_i8_e32 v157, v10, v6
	v_lshrrev_b32_e32 v6, 4, v143
	v_and_b32_e32 v6, 0xf0f0f0f, v6
	v_dot4c_i32_i8_e32 v157, v6, v7
	v_lshrrev_b32_e32 v6, 4, v14
	v_and_b32_e32 v6, 0xf0f0f0f, v6
	;; [unrolled: 3-line block ×7, first 2 shown]
	v_dot4c_i32_i8_e32 v75, v74, v13
	v_dot4c_i32_i8_e32 v157, v2, v5
	ds_read_b128 v[10:13], v90 offset:64
	ds_read_b128 v[14:17], v90 offset:80
	ds_read_b128 v[80:83], v90 offset:96
	ds_read_b128 v[2:5], v90 offset:112
	ds_read2_b32 v[142:143], v112 offset0:26 offset1:27
	v_cvt_f32_f16_e32 v6, v144
	v_cvt_f32_f16_sdwa v8, v144 dst_sel:DWORD dst_unused:UNUSED_PAD src0_sel:WORD_1
	v_and_b32_e32 v7, 0xf0f0f0f, v138
	v_mov_b32_e32 v158, 0
	ds_read_b32 v159, v95
	ds_read2_b32 v[144:145], v112 offset0:28 offset1:29
	ds_read2_b32 v[146:147], v112 offset0:30 offset1:31
	s_waitcnt lgkmcnt(7)
	v_dot4c_i32_i8_e32 v158, v7, v10
	v_and_b32_e32 v7, 0xf0f0f0f, v139
	v_dot4c_i32_i8_e32 v158, v7, v11
	s_waitcnt lgkmcnt(3)
	v_and_b32_e32 v7, 0xf0f0f0f, v142
	v_dot4c_i32_i8_e32 v158, v7, v12
	v_and_b32_e32 v7, 0xf0f0f0f, v143
	v_dot4c_i32_i8_e32 v158, v7, v13
	s_waitcnt lgkmcnt(1)
	v_and_b32_e32 v7, 0xf0f0f0f, v144
	v_dot4c_i32_i8_e32 v158, v7, v14
	v_and_b32_e32 v7, 0xf0f0f0f, v145
	v_dot4c_i32_i8_e32 v158, v7, v15
	s_waitcnt lgkmcnt(0)
	v_and_b32_e32 v7, 0xf0f0f0f, v146
	v_dot4c_i32_i8_e32 v158, v7, v16
	v_and_b32_e32 v7, 0xf0f0f0f, v147
	v_dot4c_i32_i8_e32 v158, v7, v17
	v_lshrrev_b32_e32 v7, 4, v138
	v_and_b32_e32 v7, 0xf0f0f0f, v7
	v_mov_b32_e32 v160, 0
	v_dot4c_i32_i8_e32 v160, v7, v80
	v_lshrrev_b32_e32 v7, 4, v139
	v_and_b32_e32 v7, 0xf0f0f0f, v7
	v_dot4c_i32_i8_e32 v160, v7, v81
	v_lshrrev_b32_e32 v7, 4, v142
	v_and_b32_e32 v7, 0xf0f0f0f, v7
	;; [unrolled: 3-line block ×7, first 2 shown]
	v_dot4c_i32_i8_e32 v160, v7, v5
	v_and_b32_e32 v7, 0xf0f0f0f, v140
	v_mov_b32_e32 v161, 0
	v_dot4c_i32_i8_e32 v161, v7, v10
	v_and_b32_e32 v7, 0xf0f0f0f, v141
	v_dot4c_i32_i8_e32 v161, v7, v11
	v_add_u32_e32 v7, 0x10e8, v112
	ds_read2_b32 v[138:139], v7 offset1:1
	v_add_u32_e32 v7, 0x10f0, v112
	v_add_u32_e32 v146, 0x2160, v112
	;; [unrolled: 1-line block ×3, first 2 shown]
	ds_read2_b32 v[142:143], v7 offset1:1
	ds_read2_b32 v[144:145], v9 offset1:1
	;; [unrolled: 1-line block ×3, first 2 shown]
	s_waitcnt lgkmcnt(3)
	v_and_b32_e32 v7, 0xf0f0f0f, v138
	v_dot4c_i32_i8_e32 v161, v7, v12
	v_and_b32_e32 v7, 0xf0f0f0f, v139
	v_dot4c_i32_i8_e32 v161, v7, v13
	s_waitcnt lgkmcnt(2)
	v_and_b32_e32 v7, 0xf0f0f0f, v142
	v_dot4c_i32_i8_e32 v161, v7, v14
	v_and_b32_e32 v7, 0xf0f0f0f, v143
	v_dot4c_i32_i8_e32 v161, v7, v15
	;; [unrolled: 5-line block ×3, first 2 shown]
	v_lshrrev_b32_e32 v7, 4, v140
	v_and_b32_e32 v7, 0xf0f0f0f, v7
	v_mov_b32_e32 v162, 0
	v_dot4c_i32_i8_e32 v162, v7, v80
	v_lshrrev_b32_e32 v7, 4, v141
	v_and_b32_e32 v7, 0xf0f0f0f, v7
	v_dot4c_i32_i8_e32 v162, v7, v81
	v_lshrrev_b32_e32 v7, 4, v138
	v_and_b32_e32 v7, 0xf0f0f0f, v7
	;; [unrolled: 3-line block ×7, first 2 shown]
	v_dot4c_i32_i8_e32 v162, v7, v5
	s_waitcnt lgkmcnt(0)
	v_and_b32_e32 v7, 0xf0f0f0f, v146
	v_mov_b32_e32 v9, 0
	v_dot4c_i32_i8_e32 v9, v7, v10
	v_and_b32_e32 v7, 0xf0f0f0f, v147
	v_dot4c_i32_i8_e32 v9, v7, v11
	v_add_u32_e32 v7, 0x2168, v112
	ds_read2_b32 v[138:139], v7 offset1:1
	v_add_u32_e32 v7, 0x2170, v112
	v_add_u32_e32 v142, 0x2178, v112
	;; [unrolled: 1-line block ×3, first 2 shown]
	ds_read2_b32 v[140:141], v7 offset1:1
	ds_read2_b32 v[142:143], v142 offset1:1
	;; [unrolled: 1-line block ×3, first 2 shown]
	s_waitcnt lgkmcnt(3)
	v_and_b32_e32 v7, 0xf0f0f0f, v138
	v_dot4c_i32_i8_e32 v9, v7, v12
	v_and_b32_e32 v7, 0xf0f0f0f, v139
	v_dot4c_i32_i8_e32 v9, v7, v13
	s_waitcnt lgkmcnt(2)
	v_and_b32_e32 v7, 0xf0f0f0f, v140
	v_dot4c_i32_i8_e32 v9, v7, v14
	v_and_b32_e32 v7, 0xf0f0f0f, v141
	v_dot4c_i32_i8_e32 v9, v7, v15
	;; [unrolled: 5-line block ×3, first 2 shown]
	v_bfe_u32 v7, v76, 16, 8
	v_lshrrev_b32_e32 v155, 24, v76
	v_and_b32_e32 v74, 0xff, v76
	v_mul_lo_u32 v7, v9, v7
	v_cvt_f32_i32_e32 v148, v7
	v_lshrrev_b32_e32 v7, 4, v146
	v_and_b32_e32 v7, 0xf0f0f0f, v7
	v_mov_b32_e32 v76, 0
	v_dot4c_i32_i8_e32 v76, v7, v80
	v_lshrrev_b32_e32 v7, 4, v147
	v_and_b32_e32 v7, 0xf0f0f0f, v7
	v_dot4c_i32_i8_e32 v76, v7, v81
	v_lshrrev_b32_e32 v7, 4, v138
	v_and_b32_e32 v7, 0xf0f0f0f, v7
	;; [unrolled: 3-line block ×7, first 2 shown]
	v_dot4c_i32_i8_e32 v76, v7, v5
	s_waitcnt lgkmcnt(0)
	v_and_b32_e32 v7, 0xf0f0f0f, v144
	v_mov_b32_e32 v9, 0
	v_dot4c_i32_i8_e32 v9, v7, v10
	v_and_b32_e32 v7, 0xf0f0f0f, v145
	v_dot4c_i32_i8_e32 v9, v7, v11
	v_add_u32_e32 v7, 0x31e8, v112
	ds_read2_b32 v[10:11], v7 offset1:1
	v_add_u32_e32 v7, 0x31f0, v112
	v_cvt_f32_f16_e32 v138, v18
	v_cvt_f32_f16_sdwa v140, v18 dst_sel:DWORD dst_unused:UNUSED_PAD src0_sel:WORD_1
	v_add_u32_e32 v18, 0x31f8, v112
	ds_read2_b32 v[146:147], v7 offset1:1
	ds_read2_b32 v[150:151], v18 offset1:1
	s_waitcnt lgkmcnt(2)
	v_and_b32_e32 v7, 0xf0f0f0f, v10
	v_dot4c_i32_i8_e32 v9, v7, v12
	v_and_b32_e32 v7, 0xf0f0f0f, v11
	v_dot4c_i32_i8_e32 v9, v7, v13
	ds_read2_b32 v[12:13], v101 offset0:1 offset1:3
	s_waitcnt lgkmcnt(2)
	v_and_b32_e32 v7, 0xf0f0f0f, v146
	v_dot4c_i32_i8_e32 v9, v7, v14
	v_and_b32_e32 v7, 0xf0f0f0f, v147
	v_dot4c_i32_i8_e32 v9, v7, v15
	s_waitcnt lgkmcnt(1)
	v_and_b32_e32 v7, 0xf0f0f0f, v150
	v_dot4c_i32_i8_e32 v9, v7, v16
	v_and_b32_e32 v7, 0xf0f0f0f, v151
	v_dot4c_i32_i8_e32 v9, v7, v17
	s_waitcnt lgkmcnt(0)
	v_and_b32_e32 v7, 0xff, v12
	v_bfe_u32 v14, v12, 16, 8
	v_mul_lo_u32 v7, v156, v7
	v_mul_lo_u32 v9, v9, v14
	v_cvt_f32_i32_e32 v14, v7
	v_lshrrev_b32_e32 v7, 4, v144
	v_cvt_f32_i32_e32 v15, v9
	v_and_b32_e32 v7, 0xf0f0f0f, v7
	v_mov_b32_e32 v9, 0
	v_dot4c_i32_i8_e32 v9, v7, v80
	v_lshrrev_b32_e32 v7, 4, v145
	v_and_b32_e32 v7, 0xf0f0f0f, v7
	v_dot4c_i32_i8_e32 v9, v7, v81
	v_lshrrev_b32_e32 v7, 4, v10
	v_and_b32_e32 v7, 0xf0f0f0f, v7
	;; [unrolled: 3-line block ×7, first 2 shown]
	v_dot4c_i32_i8_e32 v9, v2, v5
	v_lshrrev_b32_e32 v2, 24, v12
	v_bfe_u32 v3, v12, 8, 8
	v_cvt_f32_f16_e32 v139, v20
	v_mul_lo_u32 v4, v157, v3
	v_mul_lo_u32 v2, v9, v2
	v_cvt_f32_f16_e32 v143, v21
	v_cvt_f32_f16_e32 v142, v19
	v_cvt_f32_i32_e32 v3, v2
	v_cvt_f32_i32_e32 v2, v4
	v_cvt_f32_f16_sdwa v141, v20 dst_sel:DWORD dst_unused:UNUSED_PAD src0_sel:WORD_1
	v_cvt_f32_f16_sdwa v17, v21 dst_sel:DWORD dst_unused:UNUSED_PAD src0_sel:WORD_1
	v_cvt_f32_f16_sdwa v16, v19 dst_sel:DWORD dst_unused:UNUSED_PAD src0_sel:WORD_1
	v_pk_fma_f32 v[14:15], v[138:139], v[14:15], 0 op_sel_hi:[1,1,0]
	v_cvt_f32_ubyte2_e32 v5, v13
	v_cvt_f32_ubyte0_e32 v4, v13
	v_pk_fma_f32 v[2:3], v[142:143], v[2:3], v[14:15]
	v_cvt_f32_ubyte3_e32 v11, v13
	v_cvt_f32_ubyte1_e32 v10, v13
	ds_read2_b32 v[12:13], v94 offset0:1 offset1:3
	ds_read2_b32 v[14:15], v97 offset0:1 offset1:3
	v_pk_fma_f32 v[4:5], v[140:141], v[4:5], 0 op_sel_hi:[1,1,0]
	v_cvt_f32_f16_sdwa v21, v152 dst_sel:DWORD dst_unused:UNUSED_PAD src0_sel:WORD_1
	v_pk_fma_f32 v[4:5], v[16:17], v[10:11], v[4:5]
	s_waitcnt lgkmcnt(1)
	v_lshrrev_b32_e32 v144, 24, v12
	v_pk_mul_f32 v[4:5], v[4:5], v[8:9] op_sel_hi:[1,0]
	s_waitcnt lgkmcnt(0)
	v_bfe_u32 v8, v14, 8, 8
	v_pk_fma_f32 v[2:3], v[2:3], v[6:7], v[4:5] op_sel_hi:[1,0,1] neg_lo:[0,0,1] neg_hi:[0,0,1]
	v_and_b32_e32 v4, 0xff, v14
	v_and_b32_e32 v5, 0xff, v12
	v_mul_lo_u32 v6, v137, v5
	v_mul_lo_u32 v4, v153, v4
	v_bfe_u32 v9, v12, 8, 8
	v_cvt_f32_i32_e32 v5, v4
	v_cvt_f32_i32_e32 v4, v6
	v_mul_lo_u32 v10, v149, v9
	v_mul_lo_u32 v8, v154, v8
	v_lshrrev_b32_e32 v145, 24, v14
	v_cvt_f32_i32_e32 v9, v8
	v_cvt_f32_i32_e32 v8, v10
	v_cvt_f32_f16_sdwa v20, v159 dst_sel:DWORD dst_unused:UNUSED_PAD src0_sel:WORD_1
	v_bfe_u32 v14, v14, 16, 8
	v_bfe_u32 v12, v12, 16, 8
	v_cvt_f32_ubyte0_e32 v7, v15
	v_cvt_f32_ubyte0_e32 v6, v13
	v_cvt_f32_f16_e32 v19, v152
	v_cvt_f32_f16_e32 v18, v159
	v_mul_lo_u32 v12, v158, v12
	v_mul_lo_u32 v14, v161, v14
	v_cvt_f32_ubyte1_e32 v11, v15
	v_cvt_f32_ubyte1_e32 v10, v13
	v_cvt_f32_i32_e32 v81, v14
	v_cvt_f32_i32_e32 v80, v12
	v_mul_lo_u32 v12, v160, v144
	v_mul_lo_u32 v14, v162, v145
	v_pk_fma_f32 v[6:7], v[140:141], v[6:7], 0 op_sel_hi:[0,1,0]
	v_cvt_f32_i32_e32 v145, v14
	v_cvt_f32_i32_e32 v144, v12
	v_pk_fma_f32 v[4:5], v[138:139], v[4:5], 0 op_sel_hi:[0,1,0]
	v_pk_fma_f32 v[6:7], v[16:17], v[10:11], v[6:7] op_sel_hi:[0,1,1]
	;; [unrolled: 1-line block ×3, first 2 shown]
	v_pk_mul_f32 v[6:7], v[6:7], v[20:21]
	v_cvt_f32_ubyte2_e32 v83, v15
	v_pk_fma_f32 v[4:5], v[4:5], v[18:19], v[6:7] neg_lo:[0,0,1] neg_hi:[0,0,1]
	v_mov_b32_e32 v6, v139
	v_cvt_f32_ubyte2_e32 v82, v13
	v_pk_fma_f32 v[6:7], v[6:7], v[80:81], 0 op_sel_hi:[0,1,0]
	v_mov_b32_e32 v8, v141
	v_mov_b32_e32 v10, v143
	v_cvt_f32_ubyte3_e32 v15, v15
	v_cvt_f32_ubyte3_e32 v14, v13
	v_pk_fma_f32 v[8:9], v[8:9], v[82:83], 0 op_sel_hi:[0,1,0]
	v_pk_fma_f32 v[6:7], v[10:11], v[144:145], v[6:7] op_sel_hi:[0,1,1]
	v_mov_b32_e32 v10, v17
	v_mul_lo_u32 v74, v75, v74
	v_pk_fma_f32 v[8:9], v[10:11], v[14:15], v[8:9] op_sel_hi:[0,1,1]
	v_cvt_f32_i32_e32 v74, v74
	v_pk_mul_f32 v[8:9], v[8:9], v[20:21]
	v_cvt_f32_i32_e32 v78, v78
	v_pk_add_f32 v[4:5], v[22:23], v[4:5]
	v_pk_fma_f32 v[6:7], v[6:7], v[18:19], v[8:9] neg_lo:[0,0,1] neg_hi:[0,0,1]
	v_cvt_f32_ubyte0_e32 v75, v77
	v_pk_add_f32 v[22:23], v[4:5], v[6:7]
	v_cvt_f32_f16_sdwa v7, v25 dst_sel:DWORD dst_unused:UNUSED_PAD src0_sel:WORD_1
	v_mul_lo_u32 v4, v76, v155
	v_cvt_f32_f16_e32 v6, v25
	v_mov_b32_e32 v8, v138
	v_mov_b32_e32 v9, v140
	v_cvt_f32_ubyte1_e32 v79, v77
	v_cvt_f32_i32_e32 v4, v4
	v_pk_fma_f32 v[8:9], v[8:9], v[74:75], 0 op_sel_hi:[1,1,0]
	v_mov_b32_e32 v10, v142
	v_mov_b32_e32 v11, v16
	v_pk_fma_f32 v[8:9], v[10:11], v[78:79], v[8:9]
	v_cvt_f32_ubyte2_e32 v149, v77
	v_mul_f32_e32 v10, v9, v7
	v_mov_b32_e32 v140, v139
	v_cvt_f32_ubyte3_e32 v5, v77
	v_pk_fma_f32 v[8:9], v[8:9], v[6:7], v[10:11] op_sel_hi:[1,1,0] neg_lo:[0,0,1] neg_hi:[0,0,1]
	v_pk_fma_f32 v[10:11], v[140:141], v[148:149], 0 op_sel_hi:[1,1,0]
	v_mov_b32_e32 v16, v143
	v_pk_fma_f32 v[4:5], v[16:17], v[4:5], v[10:11]
	v_mov_b32_e32 v9, v2
	v_mul_f32_e32 v10, v5, v7
	v_pk_fma_f32 v[4:5], v[4:5], v[6:7], v[10:11] op_sel_hi:[1,1,0] neg_lo:[0,0,1] neg_hi:[0,0,1]
	v_pk_add_f32 v[6:7], v[30:31], v[8:9]
	v_mov_b32_e32 v5, v3
	v_pk_add_f32 v[30:31], v[6:7], v[4:5]
	s_barrier
.LBB211_5:                              ;   in Loop: Header=BB211_6 Depth=1
	s_add_i32 s23, s23, -1
	s_addk_i32 s14, 0x100
	v_add_u32_e32 v96, 8, v96
	v_add_u32_e32 v93, 8, v93
	v_add_u32_e32 v24, 8, v24
	v_lshl_add_u64 v[34:35], v[34:35], 0, s[8:9]
	v_lshl_add_u64 v[36:37], v[36:37], 0, s[8:9]
	;; [unrolled: 1-line block ×20, first 2 shown]
	s_cmp_eq_u32 s23, 0
	v_lshl_add_u64 v[72:73], v[72:73], 0, s[8:9]
	s_cbranch_scc1 .LBB211_17
.LBB211_6:                              ; =>This Inner Loop Header: Depth=1
	v_lshl_add_u64 v[2:3], v[34:35], 0, s[16:17]
	global_load_dword v2, v[2:3], off
	s_add_i32 s2, s14, 0xffffff80
	s_cmp_lt_i32 s2, s15
	s_waitcnt vmcnt(0)
	ds_write_b32 v84, v2
	v_lshl_add_u64 v[2:3], v[36:37], 0, s[16:17]
	global_load_dword v2, v[2:3], off
	v_add_u32_e32 v3, 0x420, v84
	s_waitcnt vmcnt(0)
	ds_write_b32 v3, v2
	v_lshl_add_u64 v[2:3], v[38:39], 0, s[16:17]
	global_load_dword v2, v[2:3], off
	v_add_u32_e32 v3, 0x840, v84
	;; [unrolled: 5-line block ×7, first 2 shown]
	s_waitcnt vmcnt(0)
	ds_write_b32 v3, v2
	v_lshl_add_u64 v[2:3], v[50:51], 0, s[16:17]
	global_load_dword v2, v[2:3], off
	s_waitcnt vmcnt(0)
	ds_write_b32 v104, v2
	v_lshl_add_u64 v[2:3], v[52:53], 0, s[16:17]
	global_load_dword v2, v[2:3], off
	;; [unrolled: 4-line block ×10, first 2 shown]
	s_waitcnt vmcnt(0)
	v_ashrrev_i32_e32 v2, v86, v2
	v_and_b32_e32 v4, 0xf0f0f0f, v2
	v_lshl_add_u64 v[2:3], v[66:67], 0, s[16:17]
	global_load_dword v2, v[2:3], off
	s_waitcnt vmcnt(0)
	v_ashrrev_i32_e32 v2, v87, v2
	v_and_or_b32 v2, v2, s24, v4
	ds_write_b32 v88, v2
	v_lshl_add_u64 v[2:3], v[72:73], 0, s[16:17]
	global_load_dword v2, v[2:3], off
	s_waitcnt vmcnt(0)
	v_ashrrev_i32_e32 v2, v86, v2
	v_and_b32_e32 v4, 0xf0f0f0f, v2
	v_lshl_add_u64 v[2:3], v[70:71], 0, s[16:17]
	global_load_dword v2, v[2:3], off
	s_waitcnt vmcnt(0)
	v_ashrrev_i32_e32 v2, v87, v2
	v_and_or_b32 v2, v2, s24, v4
	ds_write_b32 v89, v2
	s_cbranch_scc0 .LBB211_5
; %bb.7:                                ;   in Loop: Header=BB211_6 Depth=1
	v_cmp_gt_i32_e64 s[2:3], s5, v93
	s_and_b64 s[20:21], s[0:1], s[2:3]
	s_and_saveexec_b64 s[2:3], s[20:21]
	s_cbranch_execz .LBB211_9
; %bb.8:                                ;   in Loop: Header=BB211_6 Depth=1
	v_add_u32_e32 v2, v32, v93
	v_mad_i64_i32 v[2:3], s[20:21], v2, 36, v[26:27]
	global_load_dword v2, v[2:3], off offset:4
	s_waitcnt vmcnt(0)
	ds_write_b32 v91, v2
.LBB211_9:                              ;   in Loop: Header=BB211_6 Depth=1
	s_or_b64 exec, exec, s[2:3]
	v_cmp_gt_i32_e64 s[2:3], s5, v24
	s_and_b64 s[20:21], s[18:19], s[2:3]
	s_and_saveexec_b64 s[2:3], s[20:21]
	s_cbranch_execz .LBB211_11
; %bb.10:                               ;   in Loop: Header=BB211_6 Depth=1
	v_add_u32_e32 v2, v32, v24
	v_mad_i64_i32 v[2:3], s[20:21], v2, 36, s[10:11]
	global_load_dword v2, v[2:3], off
	s_waitcnt vmcnt(0)
	ds_write_b32 v103, v2
.LBB211_11:                             ;   in Loop: Header=BB211_6 Depth=1
	s_or_b64 exec, exec, s[2:3]
	s_waitcnt lgkmcnt(0)
	s_barrier
	ds_read2_b32 v[76:77], v112 offset1:1
	ds_read_b128 v[14:17], v90
	ds_read_b128 v[10:13], v90 offset:16
	ds_read_b128 v[6:9], v90 offset:32
	;; [unrolled: 1-line block ×4, first 2 shown]
	ds_read2_b32 v[78:79], v112 offset0:2 offset1:3
	s_waitcnt lgkmcnt(6)
	v_and_b32_e32 v25, 0xf0f0f0f, v76
	v_mov_b32_e32 v137, 0
	s_waitcnt lgkmcnt(5)
	v_dot4c_i32_i8_e32 v137, v25, v14
	v_and_b32_e32 v25, 0xf0f0f0f, v77
	ds_read2_b32 v[80:81], v112 offset0:4 offset1:5
	ds_read2_b32 v[82:83], v112 offset0:6 offset1:7
	;; [unrolled: 1-line block ×3, first 2 shown]
	v_dot4c_i32_i8_e32 v137, v25, v15
	s_waitcnt lgkmcnt(3)
	v_and_b32_e32 v25, 0xf0f0f0f, v78
	v_dot4c_i32_i8_e32 v137, v25, v16
	v_and_b32_e32 v25, 0xf0f0f0f, v79
	v_dot4c_i32_i8_e32 v137, v25, v17
	s_waitcnt lgkmcnt(2)
	v_and_b32_e32 v25, 0xf0f0f0f, v80
	v_dot4c_i32_i8_e32 v137, v25, v10
	v_and_b32_e32 v25, 0xf0f0f0f, v81
	;; [unrolled: 5-line block ×3, first 2 shown]
	v_dot4c_i32_i8_e32 v137, v25, v13
	v_lshrrev_b32_e32 v25, 4, v76
	v_and_b32_e32 v25, 0xf0f0f0f, v25
	v_mov_b32_e32 v157, 0
	v_dot4c_i32_i8_e32 v157, v25, v6
	v_lshrrev_b32_e32 v25, 4, v77
	v_and_b32_e32 v25, 0xf0f0f0f, v25
	v_dot4c_i32_i8_e32 v157, v25, v7
	v_lshrrev_b32_e32 v25, 4, v78
	v_and_b32_e32 v25, 0xf0f0f0f, v25
	;; [unrolled: 3-line block ×5, first 2 shown]
	v_dot4c_i32_i8_e32 v157, v25, v3
	v_lshrrev_b32_e32 v25, 4, v82
	ds_read2_b32 v[78:79], v113 offset1:1
	v_and_b32_e32 v25, 0xf0f0f0f, v25
	v_dot4c_i32_i8_e32 v157, v25, v4
	v_lshrrev_b32_e32 v25, 4, v83
	v_and_b32_e32 v25, 0xf0f0f0f, v25
	ds_read2_b32 v[74:75], v94 offset1:2
	v_dot4c_i32_i8_e32 v157, v25, v5
	ds_read_b32 v158, v98 offset:128
	ds_read_b32 v25, v100 offset:256
	;; [unrolled: 1-line block ×3, first 2 shown]
	ds_read2_b32 v[80:81], v114 offset1:1
	s_waitcnt lgkmcnt(5)
	v_and_b32_e32 v76, 0xf0f0f0f, v78
	v_lshrrev_b32_e32 v78, 4, v78
	v_and_b32_e32 v78, 0xf0f0f0f, v78
	v_mov_b32_e32 v162, 0
	v_dot4c_i32_i8_e32 v162, v78, v6
	v_lshrrev_b32_e32 v78, 4, v79
	v_and_b32_e32 v78, 0xf0f0f0f, v78
	v_dot4c_i32_i8_e32 v162, v78, v7
	s_waitcnt lgkmcnt(0)
	v_lshrrev_b32_e32 v78, 4, v80
	ds_read2_b32 v[82:83], v115 offset1:1
	ds_read2_b32 v[138:139], v116 offset1:1
	;; [unrolled: 1-line block ×3, first 2 shown]
	v_and_b32_e32 v78, 0xf0f0f0f, v78
	v_dot4c_i32_i8_e32 v162, v78, v8
	v_lshrrev_b32_e32 v78, 4, v81
	v_and_b32_e32 v78, 0xf0f0f0f, v78
	v_dot4c_i32_i8_e32 v162, v78, v9
	s_waitcnt lgkmcnt(2)
	v_lshrrev_b32_e32 v78, 4, v82
	v_mov_b32_e32 v159, 0
	v_and_b32_e32 v78, 0xf0f0f0f, v78
	v_dot4c_i32_i8_e32 v159, v76, v14
	v_and_b32_e32 v76, 0xf0f0f0f, v79
	v_dot4c_i32_i8_e32 v162, v78, v2
	v_lshrrev_b32_e32 v78, 4, v83
	v_dot4c_i32_i8_e32 v159, v76, v15
	v_and_b32_e32 v76, 0xf0f0f0f, v80
	v_and_b32_e32 v78, 0xf0f0f0f, v78
	v_dot4c_i32_i8_e32 v159, v76, v16
	v_and_b32_e32 v76, 0xf0f0f0f, v81
	v_dot4c_i32_i8_e32 v162, v78, v3
	s_waitcnt lgkmcnt(1)
	v_lshrrev_b32_e32 v78, 4, v138
	v_dot4c_i32_i8_e32 v159, v76, v17
	v_and_b32_e32 v76, 0xf0f0f0f, v82
	v_and_b32_e32 v78, 0xf0f0f0f, v78
	v_dot4c_i32_i8_e32 v159, v76, v10
	v_and_b32_e32 v76, 0xf0f0f0f, v83
	v_dot4c_i32_i8_e32 v162, v78, v4
	v_lshrrev_b32_e32 v78, 4, v139
	ds_read2_b32 v[82:83], v118 offset1:1
	v_and_b32_e32 v78, 0xf0f0f0f, v78
	v_dot4c_i32_i8_e32 v162, v78, v5
	s_waitcnt lgkmcnt(1)
	v_and_b32_e32 v78, 0xf0f0f0f, v140
	v_lshrrev_b32_e32 v140, 4, v140
	v_mov_b32_e32 v79, 0
	v_and_b32_e32 v140, 0xf0f0f0f, v140
	v_mov_b32_e32 v149, 0
	v_dot4c_i32_i8_e32 v159, v76, v11
	v_and_b32_e32 v144, 0xf0f0f0f, v138
	v_dot4c_i32_i8_e32 v79, v78, v14
	v_and_b32_e32 v78, 0xf0f0f0f, v141
	v_dot4c_i32_i8_e32 v149, v140, v6
	v_lshrrev_b32_e32 v140, 4, v141
	v_dot4c_i32_i8_e32 v159, v144, v12
	v_and_b32_e32 v144, 0xf0f0f0f, v139
	v_dot4c_i32_i8_e32 v79, v78, v15
	s_waitcnt lgkmcnt(0)
	v_and_b32_e32 v78, 0xf0f0f0f, v82
	v_and_b32_e32 v140, 0xf0f0f0f, v140
	v_lshrrev_b32_e32 v82, 4, v82
	ds_read2_b32 v[76:77], v97 offset1:2
	v_dot4c_i32_i8_e32 v159, v144, v13
	ds_read2_b32 v[138:139], v119 offset1:1
	ds_read2_b32 v[144:145], v120 offset1:1
	;; [unrolled: 1-line block ×3, first 2 shown]
	v_dot4c_i32_i8_e32 v149, v140, v7
	v_and_b32_e32 v82, 0xf0f0f0f, v82
	v_dot4c_i32_i8_e32 v149, v82, v8
	v_lshrrev_b32_e32 v82, 4, v83
	v_and_b32_e32 v82, 0xf0f0f0f, v82
	v_dot4c_i32_i8_e32 v149, v82, v9
	s_waitcnt lgkmcnt(2)
	v_lshrrev_b32_e32 v82, 4, v138
	v_and_b32_e32 v82, 0xf0f0f0f, v82
	v_dot4c_i32_i8_e32 v79, v78, v16
	v_and_b32_e32 v78, 0xf0f0f0f, v83
	v_dot4c_i32_i8_e32 v149, v82, v2
	v_lshrrev_b32_e32 v82, 4, v139
	v_dot4c_i32_i8_e32 v79, v78, v17
	v_and_b32_e32 v78, 0xf0f0f0f, v138
	ds_read2_b32 v[80:81], v99 offset1:2
	v_and_b32_e32 v82, 0xf0f0f0f, v82
	s_waitcnt lgkmcnt(1)
	v_and_b32_e32 v138, 0xf0f0f0f, v146
	v_mov_b32_e32 v164, 0
	v_dot4c_i32_i8_e32 v79, v78, v10
	v_and_b32_e32 v78, 0xf0f0f0f, v139
	v_dot4c_i32_i8_e32 v149, v82, v3
	v_lshrrev_b32_e32 v82, 4, v144
	v_dot4c_i32_i8_e32 v164, v138, v14
	ds_read2_b32 v[138:139], v122 offset1:1
	v_and_b32_e32 v82, 0xf0f0f0f, v82
	v_dot4c_i32_i8_e32 v149, v82, v4
	v_lshrrev_b32_e32 v82, 4, v145
	v_dot4c_i32_i8_e32 v79, v78, v11
	v_and_b32_e32 v78, 0xf0f0f0f, v144
	v_and_b32_e32 v82, 0xf0f0f0f, v82
	;; [unrolled: 1-line block ×3, first 2 shown]
	v_dot4c_i32_i8_e32 v79, v78, v12
	v_and_b32_e32 v78, 0xf0f0f0f, v145
	v_dot4c_i32_i8_e32 v149, v82, v5
	s_waitcnt lgkmcnt(1)
	v_bfe_u32 v82, v80, 8, 8
	v_dot4c_i32_i8_e32 v164, v14, v15
	ds_read2_b32 v[14:15], v123 offset1:1
	ds_read2_b32 v[140:141], v124 offset1:1
	;; [unrolled: 1-line block ×3, first 2 shown]
	v_mul_lo_u32 v82, v149, v82
	s_waitcnt lgkmcnt(3)
	v_and_b32_e32 v149, 0xf0f0f0f, v138
	v_dot4c_i32_i8_e32 v164, v149, v16
	v_and_b32_e32 v16, 0xf0f0f0f, v139
	v_dot4c_i32_i8_e32 v164, v16, v17
	s_waitcnt lgkmcnt(2)
	v_and_b32_e32 v16, 0xf0f0f0f, v14
	v_dot4c_i32_i8_e32 v164, v16, v10
	v_and_b32_e32 v10, 0xf0f0f0f, v15
	v_dot4c_i32_i8_e32 v164, v10, v11
	;; [unrolled: 5-line block ×3, first 2 shown]
	v_lshrrev_b32_e32 v10, 4, v146
	v_and_b32_e32 v10, 0xf0f0f0f, v10
	v_mov_b32_e32 v165, 0
	v_dot4c_i32_i8_e32 v165, v10, v6
	v_lshrrev_b32_e32 v6, 4, v147
	v_and_b32_e32 v6, 0xf0f0f0f, v6
	v_dot4c_i32_i8_e32 v165, v6, v7
	v_lshrrev_b32_e32 v6, 4, v138
	v_and_b32_e32 v6, 0xf0f0f0f, v6
	;; [unrolled: 3-line block ×6, first 2 shown]
	v_dot4c_i32_i8_e32 v79, v78, v13
	v_dot4c_i32_i8_e32 v165, v2, v4
	v_lshrrev_b32_e32 v2, 4, v141
	ds_read_b128 v[6:9], v90 offset:64
	ds_read_b128 v[10:13], v90 offset:80
	;; [unrolled: 1-line block ×4, first 2 shown]
	ds_read2_b32 v[146:147], v112 offset0:10 offset1:11
	v_and_b32_e32 v2, 0xf0f0f0f, v2
	v_dot4c_i32_i8_e32 v165, v2, v5
	v_cvt_f32_f16_e32 v2, v148
	v_cvt_f32_f16_sdwa v4, v148 dst_sel:DWORD dst_unused:UNUSED_PAD src0_sel:WORD_1
	v_and_b32_e32 v3, 0xf0f0f0f, v142
	v_mov_b32_e32 v166, 0
	ds_read_b32 v167, v95
	ds_read2_b32 v[148:149], v112 offset0:12 offset1:13
	ds_read2_b32 v[150:151], v112 offset0:14 offset1:15
	s_waitcnt lgkmcnt(7)
	v_dot4c_i32_i8_e32 v166, v3, v6
	v_and_b32_e32 v3, 0xf0f0f0f, v143
	v_dot4c_i32_i8_e32 v166, v3, v7
	s_waitcnt lgkmcnt(3)
	v_and_b32_e32 v3, 0xf0f0f0f, v146
	v_dot4c_i32_i8_e32 v166, v3, v8
	v_and_b32_e32 v3, 0xf0f0f0f, v147
	v_dot4c_i32_i8_e32 v166, v3, v9
	s_waitcnt lgkmcnt(1)
	v_and_b32_e32 v3, 0xf0f0f0f, v148
	;; [unrolled: 5-line block ×3, first 2 shown]
	v_dot4c_i32_i8_e32 v166, v3, v12
	v_and_b32_e32 v3, 0xf0f0f0f, v151
	v_dot4c_i32_i8_e32 v166, v3, v13
	v_lshrrev_b32_e32 v3, 4, v142
	v_and_b32_e32 v3, 0xf0f0f0f, v3
	v_mov_b32_e32 v168, 0
	v_dot4c_i32_i8_e32 v168, v3, v14
	v_lshrrev_b32_e32 v3, 4, v143
	v_and_b32_e32 v3, 0xf0f0f0f, v3
	v_dot4c_i32_i8_e32 v168, v3, v15
	v_lshrrev_b32_e32 v3, 4, v146
	v_and_b32_e32 v3, 0xf0f0f0f, v3
	;; [unrolled: 3-line block ×6, first 2 shown]
	ds_read2_b32 v[142:143], v126 offset1:1
	v_dot4c_i32_i8_e32 v168, v3, v140
	v_lshrrev_b32_e32 v3, 4, v151
	v_and_b32_e32 v3, 0xf0f0f0f, v3
	v_dot4c_i32_i8_e32 v168, v3, v141
	v_and_b32_e32 v3, 0xf0f0f0f, v144
	v_mov_b32_e32 v169, 0
	v_dot4c_i32_i8_e32 v169, v3, v6
	v_and_b32_e32 v3, 0xf0f0f0f, v145
	ds_read2_b32 v[146:147], v127 offset1:1
	ds_read2_b32 v[148:149], v128 offset1:1
	;; [unrolled: 1-line block ×3, first 2 shown]
	v_dot4c_i32_i8_e32 v169, v3, v7
	s_waitcnt lgkmcnt(3)
	v_and_b32_e32 v3, 0xf0f0f0f, v142
	v_dot4c_i32_i8_e32 v169, v3, v8
	v_and_b32_e32 v3, 0xf0f0f0f, v143
	v_dot4c_i32_i8_e32 v169, v3, v9
	s_waitcnt lgkmcnt(2)
	v_and_b32_e32 v3, 0xf0f0f0f, v146
	v_dot4c_i32_i8_e32 v169, v3, v10
	v_and_b32_e32 v3, 0xf0f0f0f, v147
	;; [unrolled: 5-line block ×3, first 2 shown]
	v_dot4c_i32_i8_e32 v169, v3, v13
	v_lshrrev_b32_e32 v3, 4, v144
	v_and_b32_e32 v3, 0xf0f0f0f, v3
	v_mov_b32_e32 v170, 0
	v_dot4c_i32_i8_e32 v170, v3, v14
	v_lshrrev_b32_e32 v3, 4, v145
	v_and_b32_e32 v3, 0xf0f0f0f, v3
	v_dot4c_i32_i8_e32 v170, v3, v15
	v_lshrrev_b32_e32 v3, 4, v142
	v_and_b32_e32 v3, 0xf0f0f0f, v3
	;; [unrolled: 3-line block ×6, first 2 shown]
	ds_read2_b32 v[142:143], v130 offset1:1
	v_dot4c_i32_i8_e32 v170, v3, v140
	v_lshrrev_b32_e32 v3, 4, v149
	v_and_b32_e32 v3, 0xf0f0f0f, v3
	v_dot4c_i32_i8_e32 v170, v3, v141
	s_waitcnt lgkmcnt(1)
	v_and_b32_e32 v3, 0xf0f0f0f, v150
	v_mov_b32_e32 v5, 0
	v_dot4c_i32_i8_e32 v5, v3, v6
	v_and_b32_e32 v3, 0xf0f0f0f, v151
	ds_read2_b32 v[144:145], v131 offset1:1
	ds_read2_b32 v[146:147], v132 offset1:1
	ds_read2_b32 v[148:149], v133 offset1:1
	v_dot4c_i32_i8_e32 v5, v3, v7
	s_waitcnt lgkmcnt(3)
	v_and_b32_e32 v3, 0xf0f0f0f, v142
	v_dot4c_i32_i8_e32 v5, v3, v8
	v_and_b32_e32 v3, 0xf0f0f0f, v143
	v_dot4c_i32_i8_e32 v5, v3, v9
	s_waitcnt lgkmcnt(2)
	v_and_b32_e32 v3, 0xf0f0f0f, v144
	v_dot4c_i32_i8_e32 v5, v3, v10
	v_and_b32_e32 v3, 0xf0f0f0f, v145
	;; [unrolled: 5-line block ×3, first 2 shown]
	v_dot4c_i32_i8_e32 v5, v3, v13
	v_bfe_u32 v3, v80, 16, 8
	v_lshrrev_b32_e32 v163, 24, v80
	v_and_b32_e32 v78, 0xff, v80
	v_mul_lo_u32 v3, v5, v3
	v_cvt_f32_i32_e32 v152, v3
	v_lshrrev_b32_e32 v3, 4, v150
	v_and_b32_e32 v3, 0xf0f0f0f, v3
	v_mov_b32_e32 v80, 0
	v_dot4c_i32_i8_e32 v80, v3, v14
	v_lshrrev_b32_e32 v3, 4, v151
	v_and_b32_e32 v3, 0xf0f0f0f, v3
	v_dot4c_i32_i8_e32 v80, v3, v15
	v_lshrrev_b32_e32 v3, 4, v142
	v_and_b32_e32 v3, 0xf0f0f0f, v3
	;; [unrolled: 3-line block ×6, first 2 shown]
	v_dot4c_i32_i8_e32 v80, v3, v140
	v_lshrrev_b32_e32 v3, 4, v147
	ds_read2_b32 v[150:151], v134 offset1:1
	v_and_b32_e32 v3, 0xf0f0f0f, v3
	v_dot4c_i32_i8_e32 v80, v3, v141
	s_waitcnt lgkmcnt(1)
	v_and_b32_e32 v3, 0xf0f0f0f, v148
	v_mov_b32_e32 v5, 0
	v_dot4c_i32_i8_e32 v5, v3, v6
	v_and_b32_e32 v3, 0xf0f0f0f, v149
	v_dot4c_i32_i8_e32 v5, v3, v7
	ds_read2_b32 v[6:7], v135 offset1:1
	ds_read2_b32 v[154:155], v136 offset1:1
	s_waitcnt lgkmcnt(2)
	v_and_b32_e32 v3, 0xf0f0f0f, v150
	v_dot4c_i32_i8_e32 v5, v3, v8
	v_and_b32_e32 v3, 0xf0f0f0f, v151
	v_dot4c_i32_i8_e32 v5, v3, v9
	ds_read2_b32 v[8:9], v101 offset1:2
	s_waitcnt lgkmcnt(2)
	v_and_b32_e32 v3, 0xf0f0f0f, v6
	v_dot4c_i32_i8_e32 v5, v3, v10
	v_and_b32_e32 v3, 0xf0f0f0f, v7
	v_dot4c_i32_i8_e32 v5, v3, v11
	s_waitcnt lgkmcnt(1)
	v_and_b32_e32 v3, 0xf0f0f0f, v154
	v_dot4c_i32_i8_e32 v5, v3, v12
	v_and_b32_e32 v3, 0xf0f0f0f, v155
	v_dot4c_i32_i8_e32 v5, v3, v13
	s_waitcnt lgkmcnt(0)
	v_and_b32_e32 v3, 0xff, v8
	v_bfe_u32 v10, v8, 16, 8
	v_mul_lo_u32 v3, v164, v3
	v_mul_lo_u32 v5, v5, v10
	v_cvt_f32_i32_e32 v10, v3
	v_lshrrev_b32_e32 v3, 4, v148
	v_cvt_f32_i32_e32 v11, v5
	v_and_b32_e32 v3, 0xf0f0f0f, v3
	v_mov_b32_e32 v5, 0
	v_dot4c_i32_i8_e32 v5, v3, v14
	v_lshrrev_b32_e32 v3, 4, v149
	v_and_b32_e32 v3, 0xf0f0f0f, v3
	v_dot4c_i32_i8_e32 v5, v3, v15
	v_lshrrev_b32_e32 v3, 4, v150
	v_and_b32_e32 v3, 0xf0f0f0f, v3
	;; [unrolled: 3-line block ×7, first 2 shown]
	v_dot4c_i32_i8_e32 v5, v3, v141
	v_lshrrev_b32_e32 v3, 24, v8
	v_bfe_u32 v6, v8, 8, 8
	v_cvt_f32_f16_e32 v143, v20
	v_cvt_f32_f16_e32 v142, v18
	v_mul_lo_u32 v6, v165, v6
	v_mul_lo_u32 v3, v5, v3
	v_cvt_f32_f16_sdwa v145, v20 dst_sel:DWORD dst_unused:UNUSED_PAD src0_sel:WORD_1
	v_cvt_f32_f16_sdwa v144, v18 dst_sel:DWORD dst_unused:UNUSED_PAD src0_sel:WORD_1
	v_cvt_f32_f16_e32 v147, v21
	v_cvt_f32_f16_e32 v146, v19
	v_cvt_f32_i32_e32 v7, v3
	v_cvt_f32_i32_e32 v6, v6
	v_cvt_f32_f16_sdwa v13, v21 dst_sel:DWORD dst_unused:UNUSED_PAD src0_sel:WORD_1
	v_cvt_f32_f16_sdwa v12, v19 dst_sel:DWORD dst_unused:UNUSED_PAD src0_sel:WORD_1
	v_pk_fma_f32 v[10:11], v[142:143], v[10:11], 0 op_sel_hi:[1,1,0]
	v_cvt_f32_ubyte2_e32 v15, v9
	v_cvt_f32_ubyte0_e32 v14, v9
	v_pk_fma_f32 v[14:15], v[144:145], v[14:15], 0 op_sel_hi:[1,1,0]
	v_pk_fma_f32 v[6:7], v[146:147], v[6:7], v[10:11]
	v_cvt_f32_ubyte3_e32 v11, v9
	v_cvt_f32_ubyte1_e32 v10, v9
	v_pk_fma_f32 v[8:9], v[12:13], v[10:11], v[14:15]
	v_and_b32_e32 v156, 0xff, v74
	v_and_b32_e32 v161, 0xff, v76
	v_pk_mul_f32 v[4:5], v[8:9], v[4:5] op_sel_hi:[1,0]
	v_bfe_u32 v8, v76, 8, 8
	v_pk_fma_f32 v[2:3], v[6:7], v[2:3], v[4:5] op_sel_hi:[1,0,1] neg_lo:[0,0,1] neg_hi:[0,0,1]
	v_mul_lo_u32 v4, v137, v156
	v_mul_lo_u32 v5, v159, v161
	v_bfe_u32 v9, v74, 8, 8
	v_cvt_f32_i32_e32 v5, v5
	v_cvt_f32_i32_e32 v4, v4
	v_mul_lo_u32 v10, v157, v9
	v_mul_lo_u32 v8, v162, v8
	v_cvt_f32_i32_e32 v9, v8
	v_cvt_f32_i32_e32 v8, v10
	v_cvt_f32_f16_sdwa v17, v158 dst_sel:DWORD dst_unused:UNUSED_PAD src0_sel:WORD_1
	v_cvt_f32_f16_sdwa v16, v167 dst_sel:DWORD dst_unused:UNUSED_PAD src0_sel:WORD_1
	v_bfe_u32 v18, v76, 16, 8
	v_bfe_u32 v19, v74, 16, 8
	v_lshrrev_b32_e32 v153, 24, v74
	v_lshrrev_b32_e32 v160, 24, v76
	v_cvt_f32_ubyte0_e32 v7, v77
	v_cvt_f32_ubyte0_e32 v6, v75
	v_cvt_f32_f16_e32 v15, v158
	v_cvt_f32_f16_e32 v14, v167
	v_mul_lo_u32 v20, v166, v19
	v_mul_lo_u32 v18, v169, v18
	v_cvt_f32_ubyte1_e32 v11, v77
	v_cvt_f32_ubyte1_e32 v10, v75
	v_cvt_f32_i32_e32 v19, v18
	v_cvt_f32_i32_e32 v18, v20
	v_mul_lo_u32 v74, v168, v153
	v_mul_lo_u32 v76, v170, v160
	v_pk_fma_f32 v[6:7], v[144:145], v[6:7], 0 op_sel_hi:[0,1,0]
	v_cvt_f32_i32_e32 v139, v76
	v_cvt_f32_i32_e32 v138, v74
	v_pk_fma_f32 v[4:5], v[142:143], v[4:5], 0 op_sel_hi:[0,1,0]
	v_pk_fma_f32 v[6:7], v[12:13], v[10:11], v[6:7] op_sel_hi:[0,1,1]
	;; [unrolled: 1-line block ×3, first 2 shown]
	v_pk_mul_f32 v[6:7], v[6:7], v[16:17]
	v_cvt_f32_ubyte2_e32 v21, v77
	v_pk_fma_f32 v[4:5], v[4:5], v[14:15], v[6:7] neg_lo:[0,0,1] neg_hi:[0,0,1]
	v_mov_b32_e32 v6, v143
	v_cvt_f32_ubyte2_e32 v20, v75
	v_pk_fma_f32 v[6:7], v[6:7], v[18:19], 0 op_sel_hi:[0,1,0]
	v_mov_b32_e32 v8, v145
	v_mov_b32_e32 v10, v147
	v_cvt_f32_ubyte3_e32 v77, v77
	v_cvt_f32_ubyte3_e32 v76, v75
	v_pk_fma_f32 v[8:9], v[8:9], v[20:21], 0 op_sel_hi:[0,1,0]
	v_pk_fma_f32 v[6:7], v[10:11], v[138:139], v[6:7] op_sel_hi:[0,1,1]
	v_mov_b32_e32 v10, v13
	v_mul_lo_u32 v78, v79, v78
	v_pk_fma_f32 v[8:9], v[10:11], v[76:77], v[8:9] op_sel_hi:[0,1,1]
	v_cvt_f32_i32_e32 v78, v78
	v_pk_mul_f32 v[8:9], v[8:9], v[16:17]
	v_cvt_f32_i32_e32 v82, v82
	v_pk_add_f32 v[4:5], v[22:23], v[4:5]
	v_pk_fma_f32 v[6:7], v[6:7], v[14:15], v[8:9] neg_lo:[0,0,1] neg_hi:[0,0,1]
	v_cvt_f32_ubyte0_e32 v79, v81
	v_pk_add_f32 v[22:23], v[4:5], v[6:7]
	v_cvt_f32_f16_sdwa v7, v25 dst_sel:DWORD dst_unused:UNUSED_PAD src0_sel:WORD_1
	v_mul_lo_u32 v4, v80, v163
	v_cvt_f32_f16_e32 v6, v25
	v_mov_b32_e32 v8, v142
	v_mov_b32_e32 v9, v144
	v_cvt_f32_ubyte1_e32 v83, v81
	v_cvt_f32_i32_e32 v4, v4
	v_pk_fma_f32 v[8:9], v[8:9], v[78:79], 0 op_sel_hi:[1,1,0]
	v_mov_b32_e32 v10, v146
	v_mov_b32_e32 v11, v12
	v_pk_fma_f32 v[8:9], v[10:11], v[82:83], v[8:9]
	v_cvt_f32_ubyte2_e32 v153, v81
	v_mul_f32_e32 v10, v9, v7
	v_mov_b32_e32 v144, v143
	v_cvt_f32_ubyte3_e32 v5, v81
	v_pk_fma_f32 v[8:9], v[8:9], v[6:7], v[10:11] op_sel_hi:[1,1,0] neg_lo:[0,0,1] neg_hi:[0,0,1]
	v_pk_fma_f32 v[10:11], v[144:145], v[152:153], 0 op_sel_hi:[1,1,0]
	v_mov_b32_e32 v12, v147
	v_pk_fma_f32 v[4:5], v[12:13], v[4:5], v[10:11]
	v_mov_b32_e32 v9, v2
	v_mul_f32_e32 v10, v5, v7
	v_pk_fma_f32 v[4:5], v[4:5], v[6:7], v[10:11] op_sel_hi:[1,1,0] neg_lo:[0,0,1] neg_hi:[0,0,1]
	v_pk_add_f32 v[6:7], v[30:31], v[8:9]
	v_mov_b32_e32 v5, v3
	v_pk_add_f32 v[30:31], v[6:7], v[4:5]
	s_cmp_ge_i32 s14, s15
	s_barrier
	s_cbranch_scc1 .LBB211_5
; %bb.12:                               ;   in Loop: Header=BB211_6 Depth=1
	v_cmp_gt_i32_e64 s[2:3], s5, v96
	s_and_b64 s[20:21], s[0:1], s[2:3]
	s_and_saveexec_b64 s[2:3], s[20:21]
	s_cbranch_execz .LBB211_14
; %bb.13:                               ;   in Loop: Header=BB211_6 Depth=1
	v_add_u32_e32 v2, v32, v96
	v_mad_i64_i32 v[2:3], s[20:21], v2, 36, v[26:27]
	global_load_dword v2, v[2:3], off offset:4
	s_waitcnt vmcnt(0)
	ds_write_b32 v91, v2
.LBB211_14:                             ;   in Loop: Header=BB211_6 Depth=1
	s_or_b64 exec, exec, s[2:3]
	s_and_saveexec_b64 s[20:21], vcc
	s_cbranch_execz .LBB211_4
; %bb.15:                               ;   in Loop: Header=BB211_6 Depth=1
	v_add_u32_e32 v2, 4, v24
	v_cmp_gt_i32_e64 s[2:3], s5, v2
	s_and_b64 s[2:3], s[0:1], s[2:3]
	s_and_b64 exec, exec, s[2:3]
	s_cbranch_execz .LBB211_4
; %bb.16:                               ;   in Loop: Header=BB211_6 Depth=1
	v_ashrrev_i32_e32 v25, 31, v24
	v_lshl_add_u64 v[2:3], v[32:33], 0, v[24:25]
	v_mad_u64_u32 v[4:5], s[2:3], v2, 36, s[10:11]
	v_mad_i32_i24 v5, v3, 36, v5
	global_load_dword v2, v[4:5], off offset:144
	s_waitcnt vmcnt(0)
	ds_write_b32 v103, v2
	s_branch .LBB211_4
.LBB211_17:
	s_mul_i32 s0, s7, s4
	s_waitcnt vmcnt(0)
	v_cmp_gt_i32_e32 vcc, s0, v1
	s_and_saveexec_b64 s[0:1], vcc
	s_cbranch_execz .LBB211_26
; %bb.18:
	v_and_b32_e32 v0, 0x3ff, v0
	v_add_u32_e32 v2, s22, v0
	v_mul_lo_u32 v0, v1, s6
	v_cmp_gt_u32_e32 vcc, s6, v2
	s_and_saveexec_b64 s[0:1], vcc
	s_cbranch_execz .LBB211_20
; %bb.19:
	v_cvt_f16_f32_e32 v1, v22
	v_add_u32_e32 v4, v0, v2
	v_mov_b32_e32 v5, 0
	v_lshl_add_u64 v[4:5], v[4:5], 1, s[12:13]
	global_store_short v[4:5], v1, off
.LBB211_20:
	s_or_b64 exec, exec, s[0:1]
	v_add_u32_e32 v1, 32, v2
	v_cmp_gt_u32_e32 vcc, s6, v1
	s_and_saveexec_b64 s[0:1], vcc
	s_cbranch_execz .LBB211_22
; %bb.21:
	v_cvt_f16_f32_e32 v3, v23
	v_add_u32_e32 v4, v0, v1
	v_mov_b32_e32 v5, 0
	v_lshl_add_u64 v[4:5], v[4:5], 1, s[12:13]
	global_store_short v[4:5], v3, off
.LBB211_22:
	s_or_b64 exec, exec, s[0:1]
	v_add_u32_e32 v1, 64, v2
	;; [unrolled: 12-line block ×3, first 2 shown]
	v_cmp_gt_u32_e32 vcc, s6, v1
	s_and_b64 exec, exec, vcc
	s_cbranch_execz .LBB211_26
; %bb.25:
	v_cvt_f16_f32_e32 v2, v31
	v_add_u32_e32 v0, v0, v1
	v_mov_b32_e32 v1, 0
	v_lshl_add_u64 v[0:1], v[0:1], 1, s[12:13]
	global_store_short v[0:1], v2, off
.LBB211_26:
	s_endpgm
	.section	.rodata,"a",@progbits
	.p2align	6, 0x0
	.amdhsa_kernel _ZL8moe_q4_KIN3c104HalfELb0EEvPKvS3_PT_PKiS7_S7_iiiiiii
		.amdhsa_group_segment_fixed_size 20688
		.amdhsa_private_segment_fixed_size 0
		.amdhsa_kernarg_size 76
		.amdhsa_user_sgpr_count 2
		.amdhsa_user_sgpr_dispatch_ptr 0
		.amdhsa_user_sgpr_queue_ptr 0
		.amdhsa_user_sgpr_kernarg_segment_ptr 1
		.amdhsa_user_sgpr_dispatch_id 0
		.amdhsa_user_sgpr_kernarg_preload_length 0
		.amdhsa_user_sgpr_kernarg_preload_offset 0
		.amdhsa_user_sgpr_private_segment_size 0
		.amdhsa_uses_dynamic_stack 0
		.amdhsa_enable_private_segment 0
		.amdhsa_system_sgpr_workgroup_id_x 1
		.amdhsa_system_sgpr_workgroup_id_y 1
		.amdhsa_system_sgpr_workgroup_id_z 0
		.amdhsa_system_sgpr_workgroup_info 0
		.amdhsa_system_vgpr_workitem_id 1
		.amdhsa_next_free_vgpr 171
		.amdhsa_next_free_sgpr 75
		.amdhsa_accum_offset 172
		.amdhsa_reserve_vcc 1
		.amdhsa_float_round_mode_32 0
		.amdhsa_float_round_mode_16_64 0
		.amdhsa_float_denorm_mode_32 3
		.amdhsa_float_denorm_mode_16_64 3
		.amdhsa_dx10_clamp 1
		.amdhsa_ieee_mode 1
		.amdhsa_fp16_overflow 0
		.amdhsa_tg_split 0
		.amdhsa_exception_fp_ieee_invalid_op 0
		.amdhsa_exception_fp_denorm_src 0
		.amdhsa_exception_fp_ieee_div_zero 0
		.amdhsa_exception_fp_ieee_overflow 0
		.amdhsa_exception_fp_ieee_underflow 0
		.amdhsa_exception_fp_ieee_inexact 0
		.amdhsa_exception_int_div_zero 0
	.end_amdhsa_kernel
	.section	.text._ZL8moe_q4_KIN3c104HalfELb0EEvPKvS3_PT_PKiS7_S7_iiiiiii,"axG",@progbits,_ZL8moe_q4_KIN3c104HalfELb0EEvPKvS3_PT_PKiS7_S7_iiiiiii,comdat
.Lfunc_end211:
	.size	_ZL8moe_q4_KIN3c104HalfELb0EEvPKvS3_PT_PKiS7_S7_iiiiiii, .Lfunc_end211-_ZL8moe_q4_KIN3c104HalfELb0EEvPKvS3_PT_PKiS7_S7_iiiiiii
                                        ; -- End function
	.set _ZL8moe_q4_KIN3c104HalfELb0EEvPKvS3_PT_PKiS7_S7_iiiiiii.num_vgpr, 171
	.set _ZL8moe_q4_KIN3c104HalfELb0EEvPKvS3_PT_PKiS7_S7_iiiiiii.num_agpr, 0
	.set _ZL8moe_q4_KIN3c104HalfELb0EEvPKvS3_PT_PKiS7_S7_iiiiiii.numbered_sgpr, 27
	.set _ZL8moe_q4_KIN3c104HalfELb0EEvPKvS3_PT_PKiS7_S7_iiiiiii.num_named_barrier, 0
	.set _ZL8moe_q4_KIN3c104HalfELb0EEvPKvS3_PT_PKiS7_S7_iiiiiii.private_seg_size, 0
	.set _ZL8moe_q4_KIN3c104HalfELb0EEvPKvS3_PT_PKiS7_S7_iiiiiii.uses_vcc, 1
	.set _ZL8moe_q4_KIN3c104HalfELb0EEvPKvS3_PT_PKiS7_S7_iiiiiii.uses_flat_scratch, 0
	.set _ZL8moe_q4_KIN3c104HalfELb0EEvPKvS3_PT_PKiS7_S7_iiiiiii.has_dyn_sized_stack, 0
	.set _ZL8moe_q4_KIN3c104HalfELb0EEvPKvS3_PT_PKiS7_S7_iiiiiii.has_recursion, 0
	.set _ZL8moe_q4_KIN3c104HalfELb0EEvPKvS3_PT_PKiS7_S7_iiiiiii.has_indirect_call, 0
	.section	.AMDGPU.csdata,"",@progbits
; Kernel info:
; codeLenInByte = 9844
; TotalNumSgprs: 33
; NumVgprs: 171
; NumAgprs: 0
; TotalNumVgprs: 171
; ScratchSize: 0
; MemoryBound: 0
; FloatMode: 240
; IeeeMode: 1
; LDSByteSize: 20688 bytes/workgroup (compile time only)
; SGPRBlocks: 10
; VGPRBlocks: 21
; NumSGPRsForWavesPerEU: 81
; NumVGPRsForWavesPerEU: 171
; AccumOffset: 172
; Occupancy: 2
; WaveLimiterHint : 1
; COMPUTE_PGM_RSRC2:SCRATCH_EN: 0
; COMPUTE_PGM_RSRC2:USER_SGPR: 2
; COMPUTE_PGM_RSRC2:TRAP_HANDLER: 0
; COMPUTE_PGM_RSRC2:TGID_X_EN: 1
; COMPUTE_PGM_RSRC2:TGID_Y_EN: 1
; COMPUTE_PGM_RSRC2:TGID_Z_EN: 0
; COMPUTE_PGM_RSRC2:TIDIG_COMP_CNT: 1
; COMPUTE_PGM_RSRC3_GFX90A:ACCUM_OFFSET: 42
; COMPUTE_PGM_RSRC3_GFX90A:TG_SPLIT: 0
	.section	.text._ZL8moe_q4_KIN3c104HalfELb1EEvPKvS3_PT_PKiS7_S7_iiiiiii,"axG",@progbits,_ZL8moe_q4_KIN3c104HalfELb1EEvPKvS3_PT_PKiS7_S7_iiiiiii,comdat
	.globl	_ZL8moe_q4_KIN3c104HalfELb1EEvPKvS3_PT_PKiS7_S7_iiiiiii ; -- Begin function _ZL8moe_q4_KIN3c104HalfELb1EEvPKvS3_PT_PKiS7_S7_iiiiiii
	.p2align	8
	.type	_ZL8moe_q4_KIN3c104HalfELb1EEvPKvS3_PT_PKiS7_S7_iiiiiii,@function
_ZL8moe_q4_KIN3c104HalfELb1EEvPKvS3_PT_PKiS7_S7_iiiiiii: ; @_ZL8moe_q4_KIN3c104HalfELb1EEvPKvS3_PT_PKiS7_S7_iiiiiii
; %bb.0:
	s_load_dwordx4 s[4:7], s[0:1], 0x18
	s_mov_b32 s8, s3
	s_mov_b32 s9, 0
	s_lshl_b64 s[10:11], s[8:9], 2
	s_waitcnt lgkmcnt(0)
	s_add_u32 s6, s6, s10
	s_addc_u32 s7, s7, s11
	s_load_dword s3, s[6:7], 0x0
	s_waitcnt lgkmcnt(0)
	s_cmpk_gt_u32 s3, 0xff
	s_cbranch_scc1 .LBB212_26
; %bb.1:
	s_load_dwordx2 s[6:7], s[0:1], 0x28
	s_waitcnt lgkmcnt(0)
	s_load_dword s7, s[6:7], 0x0
	s_lshl_b32 s6, s8, 3
	s_waitcnt lgkmcnt(0)
	s_cmp_gt_u32 s6, s7
	s_cbranch_scc1 .LBB212_26
; %bb.2:
	v_bfe_u32 v3, v0, 10, 10
	v_mov_b32_e32 v4, s4
	v_mov_b32_e32 v5, s5
	v_add_u32_e32 v60, s6, v3
	v_mov_b32_e32 v61, 0
	v_lshl_add_u64 v[4:5], v[60:61], 2, v[4:5]
	global_load_dword v1, v[4:5], off
	s_load_dwordx8 s[4:11], s[0:1], 0x30
	s_load_dwordx2 s[16:17], s[0:1], 0x10
	s_waitcnt lgkmcnt(0)
	s_lshl_b32 s11, s2, 7
	v_mov_b32_e32 v60, v61
	v_mov_b32_e32 v25, v61
	s_cmpk_lt_i32 s5, 0x100
	v_mov_b32_e32 v24, v61
	s_cbranch_scc1 .LBB212_17
; %bb.3:
	s_ashr_i32 s2, s5, 31
	s_lshr_b32 s2, s2, 24
	s_add_i32 s2, s5, s2
	s_ashr_i32 s24, s2, 8
	s_not_b32 s2, s11
	s_add_i32 s2, s6, s2
	v_add_u32_e32 v4, 8, v3
	v_min_i32_e32 v43, s2, v4
	v_add_u32_e32 v4, 16, v3
	v_min_i32_e32 v44, s2, v4
	;; [unrolled: 2-line block ×13, first 2 shown]
	v_add_u32_e32 v4, 0x70, v3
	v_and_b32_e32 v22, 0x3ff, v0
	v_min_i32_e32 v56, s2, v4
	v_add_u32_e32 v4, 0x78, v3
	v_min_i32_e32 v58, s2, v4
	v_lshl_add_u32 v4, v3, 5, v22
	v_and_b32_e32 v4, 0x7f, v4
	v_min_i32_e32 v59, s2, v4
	v_ashrrev_i32_e32 v4, 31, v59
	v_lshrrev_b32_e32 v4, 27, v4
	v_add_u32_e32 v4, v59, v4
	v_ashrrev_i32_e32 v4, 5, v4
	v_lshlrev_b32_e32 v4, 2, v4
	v_lshlrev_b32_e32 v5, 2, v59
	s_movk_i32 s23, 0x4e40
	v_and_b32_e32 v62, 3, v0
	v_add3_u32 v116, v4, v5, s23
	v_bfe_u32 v4, v0, 2, 8
	v_add_u32_e32 v5, 0xfe, v62
	v_lshl_add_u32 v4, v3, 3, v4
	v_and_b32_e32 v5, 0xff, v5
	v_cmp_gt_u32_e32 vcc, 2, v62
	v_lshlrev_b32_e32 v7, 2, v62
	s_movk_i32 s6, 0x4200
	v_cndmask_b32_e32 v63, v5, v62, vcc
	v_and_b32_e32 v5, 0x7f, v4
	v_min_i32_e32 v65, s2, v5
	v_ashrrev_i32_e32 v5, 31, v65
	v_lshrrev_b32_e32 v5, 29, v5
	v_add_u32_e32 v5, v65, v5
	v_ashrrev_i32_e32 v5, 3, v5
	v_lshlrev_b32_e32 v5, 2, v5
	v_add3_u32 v66, v5, v7, s6
	v_mov_b32_e32 v5, 0x7f
	v_bitop3_b32 v4, v4, 64, v5 bitop3:0x6c
	v_min_i32_e32 v67, s2, v4
	v_ashrrev_i32_e32 v4, 31, v67
	v_lshrrev_b32_e32 v4, 29, v4
	v_add_u32_e32 v4, v67, v4
	v_ashrrev_i32_e32 v4, 3, v4
	v_lshlrev_b32_e32 v2, 2, v22
	v_lshlrev_b32_e32 v4, 2, v4
	v_bfe_u32 v117, v0, 3, 7
	v_add3_u32 v68, v4, v7, s6
	v_add_u32_e32 v4, v117, v2
	v_mov_b32_e32 v5, 0x4200
	v_lshl_add_u32 v118, v4, 2, v5
	v_add_u32_e32 v4, 32, v22
	v_lshrrev_b32_e32 v119, 3, v4
	v_lshl_add_u32 v4, v4, 2, v119
	v_lshl_add_u32 v120, v4, 2, v5
	v_add_u32_e32 v4, 64, v22
	v_lshrrev_b32_e32 v69, 3, v4
	v_min_i32_e32 v42, s2, v3
	v_lshl_add_u32 v4, v4, 2, v69
	s_abs_i32 s2, s10
	v_lshl_add_u32 v121, v4, 2, v5
	v_cvt_f32_u32_e32 v4, s2
	v_add_u32_e32 v7, 0x60, v22
	v_lshrrev_b32_e32 v70, 3, v7
	s_sub_i32 s6, 0, s2
	v_rcp_iflag_f32_e32 v4, v4
	v_lshl_add_u32 v7, v7, 2, v70
	v_lshl_add_u32 v122, v7, 2, v5
	s_waitcnt vmcnt(0)
	v_sub_u32_e32 v7, 0, v1
	v_mul_f32_e32 v4, 0x4f7ffffe, v4
	v_cvt_u32_f32_e32 v4, v4
	v_max_i32_e32 v7, v1, v7
	v_xor_b32_e32 v5, s10, v1
	s_mul_i32 s22, s24, s11
	v_mul_lo_u32 v9, s6, v4
	v_mul_hi_u32 v9, v4, v9
	v_add_u32_e32 v4, v4, v9
	v_mul_hi_u32 v4, v7, v4
	v_mul_lo_u32 v9, v4, s2
	v_sub_u32_e32 v7, v7, v9
	v_add_u32_e32 v9, 1, v4
	v_cmp_le_u32_e32 vcc, s2, v7
	v_ashrrev_i32_e32 v5, 31, v5
	s_mul_hi_i32 s27, s22, 0x90
	v_cndmask_b32_e32 v4, v4, v9, vcc
	v_subrev_u32_e32 v9, s2, v7
	v_cndmask_b32_e32 v7, v7, v9, vcc
	v_add_u32_e32 v9, 1, v4
	v_cmp_le_u32_e32 vcc, s2, v7
	s_mul_i32 s26, s22, 0x90
	v_bfe_u32 v23, v0, 5, 5
	v_cndmask_b32_e32 v4, v4, v9, vcc
	v_xor_b32_e32 v4, v4, v5
	v_sub_u32_e32 v71, v4, v5
	s_movk_i32 s25, 0x90
	v_mov_b64_e32 v[4:5], s[26:27]
	v_mul_lo_u32 v6, v42, s24
	v_mul_lo_u32 v8, v43, s24
	;; [unrolled: 1-line block ×16, first 2 shown]
	v_mad_u64_u32 v[4:5], s[12:13], v23, s25, v[4:5]
	v_mad_i64_i32 v[6:7], s[12:13], v6, s25, v[4:5]
	v_mad_i64_i32 v[8:9], s[12:13], v8, s25, v[4:5]
	;; [unrolled: 1-line block ×16, first 2 shown]
	s_load_dwordx4 s[12:15], s[0:1], 0x0
	s_ashr_i32 s0, s8, 31
	s_lshr_b32 s0, s0, 27
	s_add_i32 s0, s8, s0
	s_ashr_i32 s6, s0, 5
	s_mul_i32 s18, s3, s4
	v_cmp_gt_u32_e32 vcc, 4, v22
	v_cmp_gt_i32_e64 s[0:1], s7, v71
	s_ashr_i32 s19, s18, 31
	s_and_b64 s[20:21], vcc, s[0:1]
	s_waitcnt lgkmcnt(0)
	s_add_u32 s2, s12, s26
	s_addc_u32 s3, s13, s27
	v_mul_lo_u32 v26, v59, s24
	v_mov_b64_e32 v[24:25], s[2:3]
	v_mad_i64_i32 v[26:27], s[2:3], v26, s25, v[24:25]
	v_and_b32_e32 v24, 0x7c, v2
	v_mov_b32_e32 v25, 0
	v_lshl_add_u64 v[60:61], v[28:29], 0, v[24:25]
	v_cmp_ne_u32_e64 s[2:3], 0, v62
	v_mul_lo_u32 v28, v65, s24
	v_lshl_add_u64 v[6:7], v[6:7], 0, v[24:25]
	v_lshl_add_u64 v[8:9], v[8:9], 0, v[24:25]
	;; [unrolled: 1-line block ×15, first 2 shown]
	v_addc_co_u32_e64 v24, s[2:3], 0, v63, s[2:3]
	v_mad_i64_i32 v[28:29], s[2:3], v28, s25, 0
	v_mov_b32_e32 v30, 0x90
	v_mad_i64_i32 v[100:101], s[2:3], s22, v30, v[28:29]
	v_mul_lo_u32 v28, v67, s24
	v_lshlrev_b32_e32 v23, 2, v23
	v_mad_i64_i32 v[28:29], s[2:3], v28, s25, 0
	v_add3_u32 v127, v23, v2, s23
	v_and_b32_e32 v23, 60, v119
	v_mad_i64_i32 v[104:105], s[2:3], s22, v30, v[28:29]
	v_lshlrev_b32_e32 v28, 4, v65
	v_add3_u32 v128, v2, v23, s23
	v_and_b32_e32 v23, 60, v69
	v_add_u32_e32 v123, v66, v28
	v_lshlrev_b32_e32 v28, 4, v67
	s_movk_i32 s4, 0x84
	v_add3_u32 v129, v2, v23, s23
	v_and_b32_e32 v23, 60, v70
	v_and_b32_e32 v64, 4, v2
	v_add_u32_e32 v124, v68, v28
	v_cmp_lt_u32_e64 s[2:3], 1, v62
	v_add3_u32 v130, v2, v23, s23
	v_mad_u64_u32 v[28:29], s[22:23], v42, s4, v[2:3]
	v_mad_u64_u32 v[30:31], s[22:23], v43, s4, v[2:3]
	v_mad_u64_u32 v[32:33], s[22:23], v44, s4, v[2:3]
	v_mad_u64_u32 v[34:35], s[22:23], v45, s4, v[2:3]
	v_mad_u64_u32 v[36:37], s[22:23], v46, s4, v[2:3]
	v_mad_u64_u32 v[38:39], s[22:23], v47, s4, v[2:3]
	v_mad_u64_u32 v[40:41], s[22:23], v48, s4, v[2:3]
	v_mad_u64_u32 v[42:43], s[22:23], v49, s4, v[2:3]
	v_mad_u64_u32 v[44:45], s[22:23], v50, s4, v[2:3]
	v_mad_u64_u32 v[46:47], s[22:23], v51, s4, v[2:3]
	v_mad_u64_u32 v[48:49], s[22:23], v52, s4, v[2:3]
	v_mad_u64_u32 v[50:51], s[22:23], v53, s4, v[2:3]
	v_mad_u64_u32 v[52:53], s[22:23], v54, s4, v[2:3]
	v_mad_u64_u32 v[54:55], s[22:23], v55, s4, v[2:3]
	v_mad_u64_u32 v[56:57], s[22:23], v56, s4, v[2:3]
	v_mad_u64_u32 v[58:59], s[22:23], v58, s4, v[2:3]
	v_add_u32_e32 v23, 0x5050, v2
	v_and_b32_e32 v62, 28, v2
	v_mov_b32_e32 v2, 0x4a40
	v_lshl_add_u32 v29, v3, 7, v2
	v_and_b32_e32 v2, 31, v0
	v_lshl_add_u32 v31, v2, 2, v29
	v_lshlrev_b32_e32 v33, 4, v3
	v_lshl_add_u64 v[2:3], s[12:13], 0, v[6:7]
	v_lshl_add_u64 v[66:67], v[2:3], 0, 16
	v_lshl_add_u64 v[2:3], s[12:13], 0, v[8:9]
	v_lshl_add_u64 v[68:69], v[2:3], 0, 16
	v_lshl_add_u64 v[2:3], s[12:13], 0, v[10:11]
	v_cndmask_b32_e64 v125, 0, v64, s[2:3]
	v_mul_lo_u32 v64, v71, s6
	v_lshl_add_u64 v[70:71], v[2:3], 0, 16
	v_lshl_add_u64 v[2:3], s[12:13], 0, v[12:13]
	;; [unrolled: 1-line block ×27, first 2 shown]
	v_cndmask_b32_e64 v2, 0, 1, s[2:3]
	v_lshlrev_b32_e32 v4, 2, v2
	v_or_b32_e32 v2, v100, v4
	v_mov_b32_e32 v3, v101
	v_lshlrev_b32_e32 v24, 2, v24
	v_lshl_add_u64 v[2:3], s[12:13], 0, v[2:3]
	v_lshl_add_u64 v[98:99], v[2:3], 0, 4
	;; [unrolled: 1-line block ×5, first 2 shown]
	v_or_b32_e32 v2, v104, v4
	v_mov_b32_e32 v3, v105
	v_lshl_add_u64 v[2:3], s[12:13], 0, v[2:3]
	v_lshl_add_u64 v[102:103], v[2:3], 0, 4
	;; [unrolled: 1-line block ×3, first 2 shown]
	v_lshlrev_b32_e32 v126, 1, v63
	v_mov_b32_e32 v63, v25
	v_lshl_add_u64 v[2:3], s[12:13], 0, v[2:3]
	v_mul_u32_u24_e32 v37, 0x84, v22
	v_lshl_add_u64 v[62:63], s[14:15], 0, v[62:63]
	v_ashrrev_i32_e32 v65, 31, v64
	v_lshl_add_u64 v[104:105], v[2:3], 0, 4
	s_movk_i32 s4, 0x80
	s_mov_b32 s8, 0x30303030
	v_add_u32_e32 v35, v23, v33
	s_mov_b64 s[12:13], 0x90
	v_mov_b32_e32 v24, v25
	v_mov_b32_e32 v60, v25
	;; [unrolled: 1-line block ×3, first 2 shown]
	v_add_u32_e32 v39, 0x2118, v37
	v_add_u32_e32 v41, 0x3180, v37
	;; [unrolled: 1-line block ×17, first 2 shown]
	s_branch .LBB212_6
.LBB212_4:                              ;   in Loop: Header=BB212_6 Depth=1
	s_or_b64 exec, exec, s[22:23]
	s_waitcnt lgkmcnt(0)
	s_barrier
	ds_read2_b32 v[106:107], v37 offset0:16 offset1:17
	ds_read_b128 v[14:17], v29
	ds_read_b128 v[10:13], v29 offset:16
	ds_read_b128 v[6:9], v29 offset:32
	;; [unrolled: 1-line block ×4, first 2 shown]
	ds_read2_b32 v[108:109], v37 offset0:18 offset1:19
	s_waitcnt lgkmcnt(6)
	v_and_b32_e32 v23, 0xf0f0f0f, v106
	v_mov_b32_e32 v137, 0
	s_waitcnt lgkmcnt(5)
	v_dot4c_i32_i8_e32 v137, v23, v14
	v_and_b32_e32 v23, 0xf0f0f0f, v107
	ds_read2_b32 v[110:111], v37 offset0:20 offset1:21
	ds_read2_b32 v[112:113], v37 offset0:22 offset1:23
	;; [unrolled: 1-line block ×3, first 2 shown]
	v_dot4c_i32_i8_e32 v137, v23, v15
	s_waitcnt lgkmcnt(3)
	v_and_b32_e32 v23, 0xf0f0f0f, v108
	v_dot4c_i32_i8_e32 v137, v23, v16
	v_and_b32_e32 v23, 0xf0f0f0f, v109
	v_dot4c_i32_i8_e32 v137, v23, v17
	s_waitcnt lgkmcnt(2)
	v_and_b32_e32 v23, 0xf0f0f0f, v110
	v_dot4c_i32_i8_e32 v137, v23, v10
	v_and_b32_e32 v23, 0xf0f0f0f, v111
	;; [unrolled: 5-line block ×3, first 2 shown]
	v_dot4c_i32_i8_e32 v137, v23, v13
	v_lshrrev_b32_e32 v23, 4, v106
	v_and_b32_e32 v23, 0xf0f0f0f, v23
	v_mov_b32_e32 v149, 0
	v_dot4c_i32_i8_e32 v149, v23, v6
	v_lshrrev_b32_e32 v23, 4, v107
	v_and_b32_e32 v23, 0xf0f0f0f, v23
	v_dot4c_i32_i8_e32 v149, v23, v7
	v_lshrrev_b32_e32 v23, 4, v108
	v_and_b32_e32 v23, 0xf0f0f0f, v23
	;; [unrolled: 3-line block ×3, first 2 shown]
	v_add_u32_e32 v106, 0x10c0, v37
	v_dot4c_i32_i8_e32 v149, v23, v9
	v_lshrrev_b32_e32 v23, 4, v110
	ds_read2_b32 v[106:107], v106 offset1:1
	v_and_b32_e32 v23, 0xf0f0f0f, v23
	v_dot4c_i32_i8_e32 v149, v23, v2
	v_lshrrev_b32_e32 v23, 4, v111
	v_and_b32_e32 v23, 0xf0f0f0f, v23
	v_dot4c_i32_i8_e32 v149, v23, v3
	v_lshrrev_b32_e32 v23, 4, v112
	v_and_b32_e32 v23, 0xf0f0f0f, v23
	s_waitcnt lgkmcnt(0)
	v_and_b32_e32 v108, 0xf0f0f0f, v106
	v_mov_b32_e32 v153, 0
	v_dot4c_i32_i8_e32 v149, v23, v4
	v_lshrrev_b32_e32 v23, 4, v113
	v_dot4c_i32_i8_e32 v153, v108, v14
	v_and_b32_e32 v108, 0xf0f0f0f, v107
	v_and_b32_e32 v23, 0xf0f0f0f, v23
	v_dot4c_i32_i8_e32 v153, v108, v15
	v_add_u32_e32 v108, 0x10c8, v37
	v_dot4c_i32_i8_e32 v149, v23, v5
	ds_read_b32 v152, v128 offset:128
	ds_read_b32 v23, v129 offset:256
	;; [unrolled: 1-line block ×3, first 2 shown]
	ds_read2_b32 v[108:109], v108 offset1:1
	v_lshrrev_b32_e32 v106, 4, v106
	v_and_b32_e32 v106, 0xf0f0f0f, v106
	v_mov_b32_e32 v154, 0
	v_dot4c_i32_i8_e32 v154, v106, v6
	v_lshrrev_b32_e32 v106, 4, v107
	v_and_b32_e32 v106, 0xf0f0f0f, v106
	v_add_u32_e32 v110, 0x10d0, v37
	v_add_u32_e32 v112, 0x10d8, v37
	;; [unrolled: 1-line block ×3, first 2 shown]
	v_dot4c_i32_i8_e32 v154, v106, v7
	s_waitcnt lgkmcnt(0)
	v_lshrrev_b32_e32 v106, 4, v108
	ds_read2_b32 v[110:111], v110 offset1:1
	ds_read2_b32 v[112:113], v112 offset1:1
	;; [unrolled: 1-line block ×3, first 2 shown]
	v_and_b32_e32 v106, 0xf0f0f0f, v106
	v_dot4c_i32_i8_e32 v154, v106, v8
	v_lshrrev_b32_e32 v106, 4, v109
	v_and_b32_e32 v106, 0xf0f0f0f, v106
	v_dot4c_i32_i8_e32 v154, v106, v9
	s_waitcnt lgkmcnt(2)
	v_lshrrev_b32_e32 v106, 4, v110
	v_and_b32_e32 v106, 0xf0f0f0f, v106
	v_dot4c_i32_i8_e32 v154, v106, v2
	v_lshrrev_b32_e32 v106, 4, v111
	v_and_b32_e32 v106, 0xf0f0f0f, v106
	v_dot4c_i32_i8_e32 v154, v106, v3
	s_waitcnt lgkmcnt(1)
	v_lshrrev_b32_e32 v106, 4, v112
	v_and_b32_e32 v106, 0xf0f0f0f, v106
	v_dot4c_i32_i8_e32 v154, v106, v4
	v_lshrrev_b32_e32 v106, 4, v113
	v_and_b32_e32 v106, 0xf0f0f0f, v106
	v_and_b32_e32 v140, 0xf0f0f0f, v108
	v_dot4c_i32_i8_e32 v154, v106, v5
	s_waitcnt lgkmcnt(0)
	v_and_b32_e32 v106, 0xf0f0f0f, v114
	v_mov_b32_e32 v107, 0
	v_dot4c_i32_i8_e32 v153, v140, v16
	v_and_b32_e32 v140, 0xf0f0f0f, v109
	v_dot4c_i32_i8_e32 v107, v106, v14
	v_and_b32_e32 v106, 0xf0f0f0f, v115
	;; [unrolled: 2-line block ×3, first 2 shown]
	v_dot4c_i32_i8_e32 v107, v106, v15
	v_add_u32_e32 v106, 0x2148, v37
	v_dot4c_i32_i8_e32 v153, v140, v10
	v_and_b32_e32 v140, 0xf0f0f0f, v111
	ds_read2_b32 v[110:111], v106 offset1:1
	v_lshrrev_b32_e32 v114, 4, v114
	v_dot4c_i32_i8_e32 v153, v140, v11
	v_and_b32_e32 v140, 0xf0f0f0f, v112
	v_and_b32_e32 v114, 0xf0f0f0f, v114
	v_mov_b32_e32 v145, 0
	v_dot4c_i32_i8_e32 v153, v140, v12
	v_and_b32_e32 v140, 0xf0f0f0f, v113
	v_add_u32_e32 v106, 0x2150, v37
	v_dot4c_i32_i8_e32 v145, v114, v6
	v_lshrrev_b32_e32 v114, 4, v115
	v_dot4c_i32_i8_e32 v153, v140, v13
	v_add_u32_e32 v108, 0x2158, v37
	v_add_u32_e32 v109, 0x31c0, v37
	ds_read2_b32 v[112:113], v106 offset1:1
	ds_read2_b32 v[140:141], v108 offset1:1
	;; [unrolled: 1-line block ×3, first 2 shown]
	s_waitcnt lgkmcnt(3)
	v_and_b32_e32 v106, 0xf0f0f0f, v110
	v_and_b32_e32 v114, 0xf0f0f0f, v114
	v_lshrrev_b32_e32 v110, 4, v110
	v_dot4c_i32_i8_e32 v145, v114, v7
	v_and_b32_e32 v110, 0xf0f0f0f, v110
	v_dot4c_i32_i8_e32 v145, v110, v8
	v_lshrrev_b32_e32 v110, 4, v111
	v_and_b32_e32 v110, 0xf0f0f0f, v110
	v_dot4c_i32_i8_e32 v107, v106, v16
	v_and_b32_e32 v106, 0xf0f0f0f, v111
	v_dot4c_i32_i8_e32 v145, v110, v9
	s_waitcnt lgkmcnt(2)
	v_lshrrev_b32_e32 v110, 4, v112
	v_dot4c_i32_i8_e32 v107, v106, v17
	v_and_b32_e32 v106, 0xf0f0f0f, v112
	v_and_b32_e32 v110, 0xf0f0f0f, v110
	s_waitcnt lgkmcnt(0)
	v_and_b32_e32 v112, 0xf0f0f0f, v142
	v_mov_b32_e32 v156, 0
	v_dot4c_i32_i8_e32 v145, v110, v2
	v_lshrrev_b32_e32 v110, 4, v113
	v_dot4c_i32_i8_e32 v156, v112, v14
	v_and_b32_e32 v14, 0xf0f0f0f, v143
	ds_read2_b32 v[108:109], v121 offset0:1 offset1:3
	v_and_b32_e32 v110, 0xf0f0f0f, v110
	v_dot4c_i32_i8_e32 v156, v14, v15
	v_add_u32_e32 v14, 0x31c8, v37
	v_dot4c_i32_i8_e32 v145, v110, v3
	v_lshrrev_b32_e32 v110, 4, v140
	ds_read2_b32 v[14:15], v14 offset1:1
	v_and_b32_e32 v110, 0xf0f0f0f, v110
	v_dot4c_i32_i8_e32 v107, v106, v10
	v_and_b32_e32 v106, 0xf0f0f0f, v113
	v_dot4c_i32_i8_e32 v145, v110, v4
	v_lshrrev_b32_e32 v110, 4, v141
	v_dot4c_i32_i8_e32 v107, v106, v11
	v_and_b32_e32 v106, 0xf0f0f0f, v140
	v_and_b32_e32 v110, 0xf0f0f0f, v110
	v_add_u32_e32 v112, 0x31d0, v37
	v_add_u32_e32 v114, 0x31d8, v37
	;; [unrolled: 1-line block ×3, first 2 shown]
	v_dot4c_i32_i8_e32 v107, v106, v12
	v_and_b32_e32 v106, 0xf0f0f0f, v141
	v_dot4c_i32_i8_e32 v145, v110, v5
	s_waitcnt lgkmcnt(1)
	v_bfe_u32 v110, v108, 8, 8
	ds_read2_b32 v[112:113], v112 offset1:1
	ds_read2_b32 v[114:115], v114 offset1:1
	;; [unrolled: 1-line block ×3, first 2 shown]
	v_mul_lo_u32 v110, v145, v110
	s_waitcnt lgkmcnt(3)
	v_and_b32_e32 v145, 0xf0f0f0f, v14
	v_dot4c_i32_i8_e32 v156, v145, v16
	v_and_b32_e32 v16, 0xf0f0f0f, v15
	v_dot4c_i32_i8_e32 v156, v16, v17
	s_waitcnt lgkmcnt(2)
	v_and_b32_e32 v16, 0xf0f0f0f, v112
	v_dot4c_i32_i8_e32 v156, v16, v10
	v_and_b32_e32 v10, 0xf0f0f0f, v113
	v_dot4c_i32_i8_e32 v156, v10, v11
	;; [unrolled: 5-line block ×3, first 2 shown]
	v_lshrrev_b32_e32 v10, 4, v142
	v_and_b32_e32 v10, 0xf0f0f0f, v10
	v_mov_b32_e32 v157, 0
	v_dot4c_i32_i8_e32 v157, v10, v6
	v_lshrrev_b32_e32 v6, 4, v143
	v_and_b32_e32 v6, 0xf0f0f0f, v6
	v_dot4c_i32_i8_e32 v157, v6, v7
	v_lshrrev_b32_e32 v6, 4, v14
	v_and_b32_e32 v6, 0xf0f0f0f, v6
	v_dot4c_i32_i8_e32 v157, v6, v8
	v_lshrrev_b32_e32 v6, 4, v15
	v_and_b32_e32 v6, 0xf0f0f0f, v6
	v_dot4c_i32_i8_e32 v157, v6, v9
	v_lshrrev_b32_e32 v6, 4, v112
	v_and_b32_e32 v6, 0xf0f0f0f, v6
	v_dot4c_i32_i8_e32 v157, v6, v2
	v_lshrrev_b32_e32 v2, 4, v113
	v_and_b32_e32 v2, 0xf0f0f0f, v2
	v_dot4c_i32_i8_e32 v157, v2, v3
	v_lshrrev_b32_e32 v2, 4, v114
	v_and_b32_e32 v2, 0xf0f0f0f, v2
	v_dot4c_i32_i8_e32 v157, v2, v4
	v_lshrrev_b32_e32 v2, 4, v115
	v_and_b32_e32 v2, 0xf0f0f0f, v2
	v_dot4c_i32_i8_e32 v107, v106, v13
	v_dot4c_i32_i8_e32 v157, v2, v5
	ds_read_b128 v[10:13], v29 offset:64
	ds_read_b128 v[14:17], v29 offset:80
	;; [unrolled: 1-line block ×4, first 2 shown]
	ds_read2_b32 v[142:143], v37 offset0:26 offset1:27
	v_cvt_f32_f16_e32 v6, v144
	v_cvt_f32_f16_sdwa v8, v144 dst_sel:DWORD dst_unused:UNUSED_PAD src0_sel:WORD_1
	v_and_b32_e32 v7, 0xf0f0f0f, v138
	v_mov_b32_e32 v158, 0
	ds_read_b32 v159, v127
	ds_read2_b32 v[144:145], v37 offset0:28 offset1:29
	ds_read2_b32 v[146:147], v37 offset0:30 offset1:31
	s_waitcnt lgkmcnt(7)
	v_dot4c_i32_i8_e32 v158, v7, v10
	v_and_b32_e32 v7, 0xf0f0f0f, v139
	v_dot4c_i32_i8_e32 v158, v7, v11
	s_waitcnt lgkmcnt(3)
	v_and_b32_e32 v7, 0xf0f0f0f, v142
	v_dot4c_i32_i8_e32 v158, v7, v12
	v_and_b32_e32 v7, 0xf0f0f0f, v143
	v_dot4c_i32_i8_e32 v158, v7, v13
	s_waitcnt lgkmcnt(1)
	v_and_b32_e32 v7, 0xf0f0f0f, v144
	;; [unrolled: 5-line block ×3, first 2 shown]
	v_dot4c_i32_i8_e32 v158, v7, v16
	v_and_b32_e32 v7, 0xf0f0f0f, v147
	v_dot4c_i32_i8_e32 v158, v7, v17
	v_lshrrev_b32_e32 v7, 4, v138
	v_and_b32_e32 v7, 0xf0f0f0f, v7
	v_mov_b32_e32 v160, 0
	v_dot4c_i32_i8_e32 v160, v7, v112
	v_lshrrev_b32_e32 v7, 4, v139
	v_and_b32_e32 v7, 0xf0f0f0f, v7
	v_dot4c_i32_i8_e32 v160, v7, v113
	v_lshrrev_b32_e32 v7, 4, v142
	v_and_b32_e32 v7, 0xf0f0f0f, v7
	;; [unrolled: 3-line block ×7, first 2 shown]
	v_dot4c_i32_i8_e32 v160, v7, v5
	v_and_b32_e32 v7, 0xf0f0f0f, v140
	v_mov_b32_e32 v161, 0
	v_dot4c_i32_i8_e32 v161, v7, v10
	v_and_b32_e32 v7, 0xf0f0f0f, v141
	v_dot4c_i32_i8_e32 v161, v7, v11
	v_add_u32_e32 v7, 0x10e8, v37
	ds_read2_b32 v[138:139], v7 offset1:1
	v_add_u32_e32 v7, 0x10f0, v37
	v_add_u32_e32 v146, 0x2160, v37
	;; [unrolled: 1-line block ×3, first 2 shown]
	ds_read2_b32 v[142:143], v7 offset1:1
	ds_read2_b32 v[144:145], v9 offset1:1
	;; [unrolled: 1-line block ×3, first 2 shown]
	s_waitcnt lgkmcnt(3)
	v_and_b32_e32 v7, 0xf0f0f0f, v138
	v_dot4c_i32_i8_e32 v161, v7, v12
	v_and_b32_e32 v7, 0xf0f0f0f, v139
	v_dot4c_i32_i8_e32 v161, v7, v13
	s_waitcnt lgkmcnt(2)
	v_and_b32_e32 v7, 0xf0f0f0f, v142
	v_dot4c_i32_i8_e32 v161, v7, v14
	v_and_b32_e32 v7, 0xf0f0f0f, v143
	v_dot4c_i32_i8_e32 v161, v7, v15
	;; [unrolled: 5-line block ×3, first 2 shown]
	v_lshrrev_b32_e32 v7, 4, v140
	v_and_b32_e32 v7, 0xf0f0f0f, v7
	v_mov_b32_e32 v162, 0
	v_dot4c_i32_i8_e32 v162, v7, v112
	v_lshrrev_b32_e32 v7, 4, v141
	v_and_b32_e32 v7, 0xf0f0f0f, v7
	v_dot4c_i32_i8_e32 v162, v7, v113
	v_lshrrev_b32_e32 v7, 4, v138
	v_and_b32_e32 v7, 0xf0f0f0f, v7
	;; [unrolled: 3-line block ×7, first 2 shown]
	v_dot4c_i32_i8_e32 v162, v7, v5
	s_waitcnt lgkmcnt(0)
	v_and_b32_e32 v7, 0xf0f0f0f, v146
	v_mov_b32_e32 v9, 0
	v_dot4c_i32_i8_e32 v9, v7, v10
	v_and_b32_e32 v7, 0xf0f0f0f, v147
	v_dot4c_i32_i8_e32 v9, v7, v11
	v_add_u32_e32 v7, 0x2168, v37
	ds_read2_b32 v[138:139], v7 offset1:1
	v_add_u32_e32 v7, 0x2170, v37
	v_add_u32_e32 v142, 0x2178, v37
	;; [unrolled: 1-line block ×3, first 2 shown]
	ds_read2_b32 v[140:141], v7 offset1:1
	ds_read2_b32 v[142:143], v142 offset1:1
	;; [unrolled: 1-line block ×3, first 2 shown]
	s_waitcnt lgkmcnt(3)
	v_and_b32_e32 v7, 0xf0f0f0f, v138
	v_dot4c_i32_i8_e32 v9, v7, v12
	v_and_b32_e32 v7, 0xf0f0f0f, v139
	v_dot4c_i32_i8_e32 v9, v7, v13
	s_waitcnt lgkmcnt(2)
	v_and_b32_e32 v7, 0xf0f0f0f, v140
	v_dot4c_i32_i8_e32 v9, v7, v14
	v_and_b32_e32 v7, 0xf0f0f0f, v141
	v_dot4c_i32_i8_e32 v9, v7, v15
	;; [unrolled: 5-line block ×3, first 2 shown]
	v_bfe_u32 v7, v108, 16, 8
	v_lshrrev_b32_e32 v155, 24, v108
	v_and_b32_e32 v106, 0xff, v108
	v_mul_lo_u32 v7, v9, v7
	v_cvt_f32_i32_e32 v148, v7
	v_lshrrev_b32_e32 v7, 4, v146
	v_and_b32_e32 v7, 0xf0f0f0f, v7
	v_mov_b32_e32 v108, 0
	v_dot4c_i32_i8_e32 v108, v7, v112
	v_lshrrev_b32_e32 v7, 4, v147
	v_and_b32_e32 v7, 0xf0f0f0f, v7
	v_dot4c_i32_i8_e32 v108, v7, v113
	v_lshrrev_b32_e32 v7, 4, v138
	v_and_b32_e32 v7, 0xf0f0f0f, v7
	;; [unrolled: 3-line block ×7, first 2 shown]
	v_dot4c_i32_i8_e32 v108, v7, v5
	s_waitcnt lgkmcnt(0)
	v_and_b32_e32 v7, 0xf0f0f0f, v144
	v_mov_b32_e32 v9, 0
	v_dot4c_i32_i8_e32 v9, v7, v10
	v_and_b32_e32 v7, 0xf0f0f0f, v145
	v_dot4c_i32_i8_e32 v9, v7, v11
	v_add_u32_e32 v7, 0x31e8, v37
	ds_read2_b32 v[10:11], v7 offset1:1
	v_add_u32_e32 v7, 0x31f0, v37
	v_cvt_f32_f16_e32 v138, v18
	v_cvt_f32_f16_sdwa v140, v18 dst_sel:DWORD dst_unused:UNUSED_PAD src0_sel:WORD_1
	v_add_u32_e32 v18, 0x31f8, v37
	ds_read2_b32 v[146:147], v7 offset1:1
	ds_read2_b32 v[150:151], v18 offset1:1
	s_waitcnt lgkmcnt(2)
	v_and_b32_e32 v7, 0xf0f0f0f, v10
	v_dot4c_i32_i8_e32 v9, v7, v12
	v_and_b32_e32 v7, 0xf0f0f0f, v11
	v_dot4c_i32_i8_e32 v9, v7, v13
	ds_read2_b32 v[12:13], v122 offset0:1 offset1:3
	s_waitcnt lgkmcnt(2)
	v_and_b32_e32 v7, 0xf0f0f0f, v146
	v_dot4c_i32_i8_e32 v9, v7, v14
	v_and_b32_e32 v7, 0xf0f0f0f, v147
	v_dot4c_i32_i8_e32 v9, v7, v15
	s_waitcnt lgkmcnt(1)
	v_and_b32_e32 v7, 0xf0f0f0f, v150
	v_dot4c_i32_i8_e32 v9, v7, v16
	v_and_b32_e32 v7, 0xf0f0f0f, v151
	v_dot4c_i32_i8_e32 v9, v7, v17
	s_waitcnt lgkmcnt(0)
	v_and_b32_e32 v7, 0xff, v12
	v_bfe_u32 v14, v12, 16, 8
	v_mul_lo_u32 v7, v156, v7
	v_mul_lo_u32 v9, v9, v14
	v_cvt_f32_i32_e32 v14, v7
	v_lshrrev_b32_e32 v7, 4, v144
	v_cvt_f32_i32_e32 v15, v9
	v_and_b32_e32 v7, 0xf0f0f0f, v7
	v_mov_b32_e32 v9, 0
	v_dot4c_i32_i8_e32 v9, v7, v112
	v_lshrrev_b32_e32 v7, 4, v145
	v_and_b32_e32 v7, 0xf0f0f0f, v7
	v_dot4c_i32_i8_e32 v9, v7, v113
	v_lshrrev_b32_e32 v7, 4, v10
	v_and_b32_e32 v7, 0xf0f0f0f, v7
	;; [unrolled: 3-line block ×7, first 2 shown]
	v_dot4c_i32_i8_e32 v9, v2, v5
	v_lshrrev_b32_e32 v2, 24, v12
	v_bfe_u32 v3, v12, 8, 8
	v_cvt_f32_f16_e32 v139, v20
	v_mul_lo_u32 v4, v157, v3
	v_mul_lo_u32 v2, v9, v2
	v_cvt_f32_f16_e32 v143, v21
	v_cvt_f32_f16_e32 v142, v19
	v_cvt_f32_i32_e32 v3, v2
	v_cvt_f32_i32_e32 v2, v4
	v_cvt_f32_f16_sdwa v141, v20 dst_sel:DWORD dst_unused:UNUSED_PAD src0_sel:WORD_1
	v_cvt_f32_f16_sdwa v17, v21 dst_sel:DWORD dst_unused:UNUSED_PAD src0_sel:WORD_1
	;; [unrolled: 1-line block ×3, first 2 shown]
	v_pk_fma_f32 v[14:15], v[138:139], v[14:15], 0 op_sel_hi:[1,1,0]
	v_cvt_f32_ubyte2_e32 v5, v13
	v_cvt_f32_ubyte0_e32 v4, v13
	v_pk_fma_f32 v[2:3], v[142:143], v[2:3], v[14:15]
	v_cvt_f32_ubyte3_e32 v11, v13
	v_cvt_f32_ubyte1_e32 v10, v13
	ds_read2_b32 v[12:13], v118 offset0:1 offset1:3
	ds_read2_b32 v[14:15], v120 offset0:1 offset1:3
	v_pk_fma_f32 v[4:5], v[140:141], v[4:5], 0 op_sel_hi:[1,1,0]
	v_cvt_f32_f16_sdwa v21, v152 dst_sel:DWORD dst_unused:UNUSED_PAD src0_sel:WORD_1
	v_pk_fma_f32 v[4:5], v[16:17], v[10:11], v[4:5]
	s_waitcnt lgkmcnt(1)
	v_lshrrev_b32_e32 v144, 24, v12
	v_pk_mul_f32 v[4:5], v[4:5], v[8:9] op_sel_hi:[1,0]
	s_waitcnt lgkmcnt(0)
	v_bfe_u32 v8, v14, 8, 8
	v_pk_fma_f32 v[2:3], v[2:3], v[6:7], v[4:5] op_sel_hi:[1,0,1] neg_lo:[0,0,1] neg_hi:[0,0,1]
	v_and_b32_e32 v4, 0xff, v14
	v_and_b32_e32 v5, 0xff, v12
	v_mul_lo_u32 v6, v137, v5
	v_mul_lo_u32 v4, v153, v4
	v_bfe_u32 v9, v12, 8, 8
	v_cvt_f32_i32_e32 v5, v4
	v_cvt_f32_i32_e32 v4, v6
	v_mul_lo_u32 v10, v149, v9
	v_mul_lo_u32 v8, v154, v8
	v_lshrrev_b32_e32 v145, 24, v14
	v_cvt_f32_i32_e32 v9, v8
	v_cvt_f32_i32_e32 v8, v10
	v_cvt_f32_f16_sdwa v20, v159 dst_sel:DWORD dst_unused:UNUSED_PAD src0_sel:WORD_1
	v_bfe_u32 v14, v14, 16, 8
	v_bfe_u32 v12, v12, 16, 8
	v_cvt_f32_ubyte0_e32 v7, v15
	v_cvt_f32_ubyte0_e32 v6, v13
	v_cvt_f32_f16_e32 v19, v152
	v_cvt_f32_f16_e32 v18, v159
	v_mul_lo_u32 v12, v158, v12
	v_mul_lo_u32 v14, v161, v14
	v_cvt_f32_ubyte1_e32 v11, v15
	v_cvt_f32_ubyte1_e32 v10, v13
	v_cvt_f32_i32_e32 v113, v14
	v_cvt_f32_i32_e32 v112, v12
	v_mul_lo_u32 v12, v160, v144
	v_mul_lo_u32 v14, v162, v145
	v_pk_fma_f32 v[6:7], v[140:141], v[6:7], 0 op_sel_hi:[0,1,0]
	v_cvt_f32_i32_e32 v145, v14
	v_cvt_f32_i32_e32 v144, v12
	v_pk_fma_f32 v[4:5], v[138:139], v[4:5], 0 op_sel_hi:[0,1,0]
	v_pk_fma_f32 v[6:7], v[16:17], v[10:11], v[6:7] op_sel_hi:[0,1,1]
	;; [unrolled: 1-line block ×3, first 2 shown]
	v_pk_mul_f32 v[6:7], v[6:7], v[20:21]
	v_cvt_f32_ubyte2_e32 v115, v15
	v_pk_fma_f32 v[4:5], v[4:5], v[18:19], v[6:7] neg_lo:[0,0,1] neg_hi:[0,0,1]
	v_mov_b32_e32 v6, v139
	v_cvt_f32_ubyte2_e32 v114, v13
	v_pk_fma_f32 v[6:7], v[6:7], v[112:113], 0 op_sel_hi:[0,1,0]
	v_mov_b32_e32 v8, v141
	v_mov_b32_e32 v10, v143
	v_cvt_f32_ubyte3_e32 v15, v15
	v_cvt_f32_ubyte3_e32 v14, v13
	v_pk_fma_f32 v[8:9], v[8:9], v[114:115], 0 op_sel_hi:[0,1,0]
	v_pk_fma_f32 v[6:7], v[10:11], v[144:145], v[6:7] op_sel_hi:[0,1,1]
	v_mov_b32_e32 v10, v17
	v_mul_lo_u32 v106, v107, v106
	v_pk_fma_f32 v[8:9], v[10:11], v[14:15], v[8:9] op_sel_hi:[0,1,1]
	v_cvt_f32_i32_e32 v106, v106
	v_pk_mul_f32 v[8:9], v[8:9], v[20:21]
	v_cvt_f32_i32_e32 v110, v110
	v_pk_add_f32 v[4:5], v[24:25], v[4:5]
	v_pk_fma_f32 v[6:7], v[6:7], v[18:19], v[8:9] neg_lo:[0,0,1] neg_hi:[0,0,1]
	v_cvt_f32_ubyte0_e32 v107, v109
	v_pk_add_f32 v[24:25], v[4:5], v[6:7]
	v_cvt_f32_f16_sdwa v7, v23 dst_sel:DWORD dst_unused:UNUSED_PAD src0_sel:WORD_1
	v_mul_lo_u32 v4, v108, v155
	v_cvt_f32_f16_e32 v6, v23
	v_mov_b32_e32 v8, v138
	v_mov_b32_e32 v9, v140
	v_cvt_f32_ubyte1_e32 v111, v109
	v_cvt_f32_i32_e32 v4, v4
	v_pk_fma_f32 v[8:9], v[8:9], v[106:107], 0 op_sel_hi:[1,1,0]
	v_mov_b32_e32 v10, v142
	v_mov_b32_e32 v11, v16
	v_pk_fma_f32 v[8:9], v[10:11], v[110:111], v[8:9]
	v_cvt_f32_ubyte2_e32 v149, v109
	v_mul_f32_e32 v10, v9, v7
	v_mov_b32_e32 v140, v139
	v_cvt_f32_ubyte3_e32 v5, v109
	v_pk_fma_f32 v[8:9], v[8:9], v[6:7], v[10:11] op_sel_hi:[1,1,0] neg_lo:[0,0,1] neg_hi:[0,0,1]
	v_pk_fma_f32 v[10:11], v[140:141], v[148:149], 0 op_sel_hi:[1,1,0]
	v_mov_b32_e32 v16, v143
	v_pk_fma_f32 v[4:5], v[16:17], v[4:5], v[10:11]
	v_mov_b32_e32 v9, v2
	v_mul_f32_e32 v10, v5, v7
	v_pk_fma_f32 v[4:5], v[4:5], v[6:7], v[10:11] op_sel_hi:[1,1,0] neg_lo:[0,0,1] neg_hi:[0,0,1]
	v_pk_add_f32 v[6:7], v[60:61], v[8:9]
	v_mov_b32_e32 v5, v3
	v_pk_add_f32 v[60:61], v[6:7], v[4:5]
	s_barrier
.LBB212_5:                              ;   in Loop: Header=BB212_6 Depth=1
	s_add_i32 s24, s24, -1
	s_addk_i32 s4, 0x100
	v_add_u32_e32 v119, 8, v119
	v_add_u32_e32 v117, 8, v117
	;; [unrolled: 1-line block ×3, first 2 shown]
	v_lshl_add_u64 v[66:67], v[66:67], 0, s[12:13]
	v_lshl_add_u64 v[68:69], v[68:69], 0, s[12:13]
	;; [unrolled: 1-line block ×20, first 2 shown]
	s_cmp_eq_u32 s24, 0
	v_lshl_add_u64 v[104:105], v[104:105], 0, s[12:13]
	s_cbranch_scc1 .LBB212_17
.LBB212_6:                              ; =>This Inner Loop Header: Depth=1
	v_lshl_add_u64 v[2:3], v[66:67], 0, s[18:19]
	global_load_dword v4, v[2:3], off
	v_lshl_add_u64 v[2:3], v[68:69], 0, s[18:19]
	global_load_dword v5, v[2:3], off
	;; [unrolled: 2-line block ×21, first 2 shown]
	s_add_i32 s2, s4, 0xffffff80
	s_cmp_lt_i32 s2, s5
	s_waitcnt vmcnt(20)
	ds_write_b32 v28, v4
	s_waitcnt vmcnt(19)
	ds_write_b32 v30, v5
	;; [unrolled: 2-line block ×17, first 2 shown]
	s_waitcnt vmcnt(3)
	v_ashrrev_i32_e32 v3, v125, v21
	v_and_b32_e32 v3, 0xf0f0f0f, v3
	s_waitcnt vmcnt(2)
	v_ashrrev_i32_e32 v4, v126, v23
	v_and_or_b32 v3, v4, s8, v3
	s_waitcnt vmcnt(1)
	v_ashrrev_i32_e32 v5, v125, v106
	v_and_b32_e32 v5, 0xf0f0f0f, v5
	s_waitcnt vmcnt(0)
	v_ashrrev_i32_e32 v2, v126, v2
	v_and_or_b32 v2, v2, s8, v5
	ds_write_b32 v123, v3
	ds_write_b32 v124, v2
	s_cbranch_scc0 .LBB212_5
; %bb.7:                                ;   in Loop: Header=BB212_6 Depth=1
	v_cmp_gt_i32_e64 s[2:3], s6, v117
	s_and_b64 s[22:23], s[0:1], s[2:3]
	s_and_saveexec_b64 s[2:3], s[22:23]
	s_cbranch_execz .LBB212_9
; %bb.8:                                ;   in Loop: Header=BB212_6 Depth=1
	v_add_u32_e32 v2, v64, v117
	v_mad_i64_i32 v[2:3], s[22:23], v2, 36, v[62:63]
	global_load_dword v2, v[2:3], off offset:4
	s_waitcnt vmcnt(0)
	ds_write_b32 v31, v2
.LBB212_9:                              ;   in Loop: Header=BB212_6 Depth=1
	s_or_b64 exec, exec, s[2:3]
	v_cmp_gt_i32_e64 s[2:3], s6, v22
	s_and_b64 s[22:23], s[20:21], s[2:3]
	s_and_saveexec_b64 s[2:3], s[22:23]
	s_cbranch_execz .LBB212_11
; %bb.10:                               ;   in Loop: Header=BB212_6 Depth=1
	v_add_u32_e32 v2, v64, v22
	v_mad_i64_i32 v[2:3], s[22:23], v2, 36, s[14:15]
	global_load_dword v2, v[2:3], off
	s_waitcnt vmcnt(0)
	ds_write_b32 v35, v2
.LBB212_11:                             ;   in Loop: Header=BB212_6 Depth=1
	s_or_b64 exec, exec, s[2:3]
	s_waitcnt lgkmcnt(0)
	s_barrier
	ds_read2_b32 v[108:109], v37 offset1:1
	ds_read_b128 v[14:17], v29
	ds_read_b128 v[10:13], v29 offset:16
	ds_read_b128 v[6:9], v29 offset:32
	;; [unrolled: 1-line block ×4, first 2 shown]
	ds_read2_b32 v[110:111], v37 offset0:2 offset1:3
	s_waitcnt lgkmcnt(6)
	v_and_b32_e32 v23, 0xf0f0f0f, v108
	v_mov_b32_e32 v153, 0
	s_waitcnt lgkmcnt(5)
	v_dot4c_i32_i8_e32 v153, v23, v14
	v_and_b32_e32 v23, 0xf0f0f0f, v109
	ds_read2_b32 v[112:113], v37 offset0:4 offset1:5
	ds_read2_b32 v[114:115], v37 offset0:6 offset1:7
	;; [unrolled: 1-line block ×3, first 2 shown]
	v_dot4c_i32_i8_e32 v153, v23, v15
	s_waitcnt lgkmcnt(3)
	v_and_b32_e32 v23, 0xf0f0f0f, v110
	v_dot4c_i32_i8_e32 v153, v23, v16
	v_and_b32_e32 v23, 0xf0f0f0f, v111
	v_dot4c_i32_i8_e32 v153, v23, v17
	s_waitcnt lgkmcnt(2)
	v_and_b32_e32 v23, 0xf0f0f0f, v112
	v_dot4c_i32_i8_e32 v153, v23, v10
	v_and_b32_e32 v23, 0xf0f0f0f, v113
	;; [unrolled: 5-line block ×3, first 2 shown]
	v_dot4c_i32_i8_e32 v153, v23, v13
	v_lshrrev_b32_e32 v23, 4, v108
	v_and_b32_e32 v23, 0xf0f0f0f, v23
	v_mov_b32_e32 v157, 0
	v_dot4c_i32_i8_e32 v157, v23, v6
	v_lshrrev_b32_e32 v23, 4, v109
	v_and_b32_e32 v23, 0xf0f0f0f, v23
	v_dot4c_i32_i8_e32 v157, v23, v7
	v_lshrrev_b32_e32 v23, 4, v110
	v_and_b32_e32 v23, 0xf0f0f0f, v23
	v_dot4c_i32_i8_e32 v157, v23, v8
	v_lshrrev_b32_e32 v23, 4, v111
	v_and_b32_e32 v23, 0xf0f0f0f, v23
	v_dot4c_i32_i8_e32 v157, v23, v9
	v_lshrrev_b32_e32 v23, 4, v112
	v_and_b32_e32 v23, 0xf0f0f0f, v23
	v_dot4c_i32_i8_e32 v157, v23, v2
	v_lshrrev_b32_e32 v23, 4, v113
	v_and_b32_e32 v23, 0xf0f0f0f, v23
	v_add_u32_e32 v108, 0x1080, v37
	v_dot4c_i32_i8_e32 v157, v23, v3
	v_lshrrev_b32_e32 v23, 4, v114
	ds_read2_b32 v[110:111], v108 offset1:1
	v_and_b32_e32 v23, 0xf0f0f0f, v23
	v_dot4c_i32_i8_e32 v157, v23, v4
	v_lshrrev_b32_e32 v23, 4, v115
	v_and_b32_e32 v23, 0xf0f0f0f, v23
	v_add_u32_e32 v109, 0x1088, v37
	ds_read2_b32 v[106:107], v118 offset1:2
	v_dot4c_i32_i8_e32 v157, v23, v5
	ds_read_b32 v158, v128 offset:128
	ds_read_b32 v23, v129 offset:256
	;; [unrolled: 1-line block ×3, first 2 shown]
	ds_read2_b32 v[112:113], v109 offset1:1
	s_waitcnt lgkmcnt(5)
	v_and_b32_e32 v108, 0xf0f0f0f, v110
	v_lshrrev_b32_e32 v110, 4, v110
	v_and_b32_e32 v110, 0xf0f0f0f, v110
	v_mov_b32_e32 v162, 0
	v_mov_b32_e32 v159, 0
	v_dot4c_i32_i8_e32 v162, v110, v6
	v_lshrrev_b32_e32 v110, 4, v111
	v_dot4c_i32_i8_e32 v159, v108, v14
	v_and_b32_e32 v108, 0xf0f0f0f, v111
	v_and_b32_e32 v110, 0xf0f0f0f, v110
	v_dot4c_i32_i8_e32 v159, v108, v15
	v_add_u32_e32 v108, 0x1090, v37
	v_add_u32_e32 v140, 0x2100, v37
	v_dot4c_i32_i8_e32 v162, v110, v7
	s_waitcnt lgkmcnt(0)
	v_lshrrev_b32_e32 v110, 4, v112
	v_add_u32_e32 v109, 0x1098, v37
	ds_read2_b32 v[114:115], v108 offset1:1
	ds_read2_b32 v[138:139], v109 offset1:1
	ds_read2_b32 v[140:141], v140 offset1:1
	v_and_b32_e32 v110, 0xf0f0f0f, v110
	v_dot4c_i32_i8_e32 v162, v110, v8
	v_lshrrev_b32_e32 v110, 4, v113
	v_and_b32_e32 v110, 0xf0f0f0f, v110
	v_dot4c_i32_i8_e32 v162, v110, v9
	s_waitcnt lgkmcnt(2)
	v_lshrrev_b32_e32 v110, 4, v114
	v_and_b32_e32 v110, 0xf0f0f0f, v110
	v_dot4c_i32_i8_e32 v162, v110, v2
	v_lshrrev_b32_e32 v110, 4, v115
	v_and_b32_e32 v108, 0xf0f0f0f, v112
	v_and_b32_e32 v110, 0xf0f0f0f, v110
	v_dot4c_i32_i8_e32 v159, v108, v16
	v_and_b32_e32 v108, 0xf0f0f0f, v113
	v_dot4c_i32_i8_e32 v162, v110, v3
	s_waitcnt lgkmcnt(1)
	v_lshrrev_b32_e32 v110, 4, v138
	v_dot4c_i32_i8_e32 v159, v108, v17
	v_and_b32_e32 v108, 0xf0f0f0f, v114
	v_and_b32_e32 v110, 0xf0f0f0f, v110
	v_add_u32_e32 v112, 0x2108, v37
	v_dot4c_i32_i8_e32 v159, v108, v10
	v_and_b32_e32 v108, 0xf0f0f0f, v115
	v_dot4c_i32_i8_e32 v162, v110, v4
	v_lshrrev_b32_e32 v110, 4, v139
	ds_read2_b32 v[114:115], v112 offset1:1
	v_and_b32_e32 v110, 0xf0f0f0f, v110
	v_dot4c_i32_i8_e32 v162, v110, v5
	s_waitcnt lgkmcnt(1)
	v_and_b32_e32 v110, 0xf0f0f0f, v140
	v_mov_b32_e32 v111, 0
	v_lshrrev_b32_e32 v140, 4, v140
	v_dot4c_i32_i8_e32 v159, v108, v11
	v_and_b32_e32 v144, 0xf0f0f0f, v138
	v_dot4c_i32_i8_e32 v111, v110, v14
	v_and_b32_e32 v110, 0xf0f0f0f, v141
	v_and_b32_e32 v140, 0xf0f0f0f, v140
	v_mov_b32_e32 v149, 0
	v_dot4c_i32_i8_e32 v159, v144, v12
	v_and_b32_e32 v144, 0xf0f0f0f, v139
	v_dot4c_i32_i8_e32 v111, v110, v15
	v_add_u32_e32 v110, 0x2110, v37
	v_dot4c_i32_i8_e32 v149, v140, v6
	v_lshrrev_b32_e32 v140, 4, v141
	ds_read2_b32 v[108:109], v120 offset1:2
	v_dot4c_i32_i8_e32 v159, v144, v13
	ds_read2_b32 v[138:139], v110 offset1:1
	ds_read2_b32 v[144:145], v39 offset1:1
	;; [unrolled: 1-line block ×3, first 2 shown]
	s_waitcnt lgkmcnt(4)
	v_and_b32_e32 v110, 0xf0f0f0f, v114
	v_and_b32_e32 v140, 0xf0f0f0f, v140
	v_lshrrev_b32_e32 v114, 4, v114
	v_dot4c_i32_i8_e32 v149, v140, v7
	v_and_b32_e32 v114, 0xf0f0f0f, v114
	v_dot4c_i32_i8_e32 v149, v114, v8
	v_lshrrev_b32_e32 v114, 4, v115
	v_and_b32_e32 v114, 0xf0f0f0f, v114
	v_dot4c_i32_i8_e32 v149, v114, v9
	s_waitcnt lgkmcnt(2)
	v_lshrrev_b32_e32 v114, 4, v138
	v_and_b32_e32 v114, 0xf0f0f0f, v114
	v_dot4c_i32_i8_e32 v111, v110, v16
	v_and_b32_e32 v110, 0xf0f0f0f, v115
	v_dot4c_i32_i8_e32 v149, v114, v2
	v_lshrrev_b32_e32 v114, 4, v139
	v_dot4c_i32_i8_e32 v111, v110, v17
	v_and_b32_e32 v110, 0xf0f0f0f, v138
	ds_read2_b32 v[112:113], v121 offset1:2
	v_and_b32_e32 v114, 0xf0f0f0f, v114
	s_waitcnt lgkmcnt(1)
	v_and_b32_e32 v138, 0xf0f0f0f, v146
	v_mov_b32_e32 v164, 0
	v_dot4c_i32_i8_e32 v111, v110, v10
	v_and_b32_e32 v110, 0xf0f0f0f, v139
	v_dot4c_i32_i8_e32 v149, v114, v3
	v_lshrrev_b32_e32 v114, 4, v144
	v_dot4c_i32_i8_e32 v164, v138, v14
	ds_read2_b32 v[138:139], v43 offset1:1
	v_and_b32_e32 v114, 0xf0f0f0f, v114
	v_dot4c_i32_i8_e32 v149, v114, v4
	v_lshrrev_b32_e32 v114, 4, v145
	v_dot4c_i32_i8_e32 v111, v110, v11
	v_and_b32_e32 v110, 0xf0f0f0f, v144
	v_and_b32_e32 v114, 0xf0f0f0f, v114
	;; [unrolled: 1-line block ×3, first 2 shown]
	v_dot4c_i32_i8_e32 v111, v110, v12
	v_and_b32_e32 v110, 0xf0f0f0f, v145
	v_dot4c_i32_i8_e32 v149, v114, v5
	s_waitcnt lgkmcnt(1)
	v_bfe_u32 v114, v112, 8, 8
	v_dot4c_i32_i8_e32 v164, v14, v15
	ds_read2_b32 v[14:15], v45 offset1:1
	ds_read2_b32 v[140:141], v47 offset1:1
	;; [unrolled: 1-line block ×3, first 2 shown]
	v_mul_lo_u32 v114, v149, v114
	s_waitcnt lgkmcnt(3)
	v_and_b32_e32 v149, 0xf0f0f0f, v138
	v_dot4c_i32_i8_e32 v164, v149, v16
	v_and_b32_e32 v16, 0xf0f0f0f, v139
	v_dot4c_i32_i8_e32 v164, v16, v17
	s_waitcnt lgkmcnt(2)
	v_and_b32_e32 v16, 0xf0f0f0f, v14
	v_dot4c_i32_i8_e32 v164, v16, v10
	v_and_b32_e32 v10, 0xf0f0f0f, v15
	v_dot4c_i32_i8_e32 v164, v10, v11
	;; [unrolled: 5-line block ×3, first 2 shown]
	v_lshrrev_b32_e32 v10, 4, v146
	v_and_b32_e32 v10, 0xf0f0f0f, v10
	v_mov_b32_e32 v165, 0
	v_dot4c_i32_i8_e32 v165, v10, v6
	v_lshrrev_b32_e32 v6, 4, v147
	v_and_b32_e32 v6, 0xf0f0f0f, v6
	v_dot4c_i32_i8_e32 v165, v6, v7
	v_lshrrev_b32_e32 v6, 4, v138
	v_and_b32_e32 v6, 0xf0f0f0f, v6
	;; [unrolled: 3-line block ×6, first 2 shown]
	v_dot4c_i32_i8_e32 v111, v110, v13
	v_dot4c_i32_i8_e32 v165, v2, v4
	v_lshrrev_b32_e32 v2, 4, v141
	ds_read_b128 v[6:9], v29 offset:64
	ds_read_b128 v[10:13], v29 offset:80
	;; [unrolled: 1-line block ×4, first 2 shown]
	ds_read2_b32 v[146:147], v37 offset0:10 offset1:11
	v_and_b32_e32 v2, 0xf0f0f0f, v2
	v_dot4c_i32_i8_e32 v165, v2, v5
	v_cvt_f32_f16_e32 v2, v148
	v_cvt_f32_f16_sdwa v4, v148 dst_sel:DWORD dst_unused:UNUSED_PAD src0_sel:WORD_1
	v_and_b32_e32 v3, 0xf0f0f0f, v142
	v_mov_b32_e32 v166, 0
	ds_read_b32 v167, v127
	ds_read2_b32 v[148:149], v37 offset0:12 offset1:13
	ds_read2_b32 v[150:151], v37 offset0:14 offset1:15
	s_waitcnt lgkmcnt(7)
	v_dot4c_i32_i8_e32 v166, v3, v6
	v_and_b32_e32 v3, 0xf0f0f0f, v143
	v_dot4c_i32_i8_e32 v166, v3, v7
	s_waitcnt lgkmcnt(3)
	v_and_b32_e32 v3, 0xf0f0f0f, v146
	v_dot4c_i32_i8_e32 v166, v3, v8
	v_and_b32_e32 v3, 0xf0f0f0f, v147
	v_dot4c_i32_i8_e32 v166, v3, v9
	s_waitcnt lgkmcnt(1)
	v_and_b32_e32 v3, 0xf0f0f0f, v148
	;; [unrolled: 5-line block ×3, first 2 shown]
	v_dot4c_i32_i8_e32 v166, v3, v12
	v_and_b32_e32 v3, 0xf0f0f0f, v151
	v_dot4c_i32_i8_e32 v166, v3, v13
	v_lshrrev_b32_e32 v3, 4, v142
	v_and_b32_e32 v3, 0xf0f0f0f, v3
	v_mov_b32_e32 v168, 0
	v_dot4c_i32_i8_e32 v168, v3, v14
	v_lshrrev_b32_e32 v3, 4, v143
	v_and_b32_e32 v3, 0xf0f0f0f, v3
	v_dot4c_i32_i8_e32 v168, v3, v15
	v_lshrrev_b32_e32 v3, 4, v146
	v_and_b32_e32 v3, 0xf0f0f0f, v3
	;; [unrolled: 3-line block ×6, first 2 shown]
	ds_read2_b32 v[142:143], v51 offset1:1
	v_dot4c_i32_i8_e32 v168, v3, v140
	v_lshrrev_b32_e32 v3, 4, v151
	v_and_b32_e32 v3, 0xf0f0f0f, v3
	v_dot4c_i32_i8_e32 v168, v3, v141
	v_and_b32_e32 v3, 0xf0f0f0f, v144
	v_mov_b32_e32 v169, 0
	v_dot4c_i32_i8_e32 v169, v3, v6
	v_and_b32_e32 v3, 0xf0f0f0f, v145
	ds_read2_b32 v[146:147], v53 offset1:1
	ds_read2_b32 v[148:149], v55 offset1:1
	;; [unrolled: 1-line block ×3, first 2 shown]
	v_dot4c_i32_i8_e32 v169, v3, v7
	s_waitcnt lgkmcnt(3)
	v_and_b32_e32 v3, 0xf0f0f0f, v142
	v_dot4c_i32_i8_e32 v169, v3, v8
	v_and_b32_e32 v3, 0xf0f0f0f, v143
	v_dot4c_i32_i8_e32 v169, v3, v9
	s_waitcnt lgkmcnt(2)
	v_and_b32_e32 v3, 0xf0f0f0f, v146
	v_dot4c_i32_i8_e32 v169, v3, v10
	v_and_b32_e32 v3, 0xf0f0f0f, v147
	;; [unrolled: 5-line block ×3, first 2 shown]
	v_dot4c_i32_i8_e32 v169, v3, v13
	v_lshrrev_b32_e32 v3, 4, v144
	v_and_b32_e32 v3, 0xf0f0f0f, v3
	v_mov_b32_e32 v170, 0
	v_dot4c_i32_i8_e32 v170, v3, v14
	v_lshrrev_b32_e32 v3, 4, v145
	v_and_b32_e32 v3, 0xf0f0f0f, v3
	v_dot4c_i32_i8_e32 v170, v3, v15
	v_lshrrev_b32_e32 v3, 4, v142
	v_and_b32_e32 v3, 0xf0f0f0f, v3
	;; [unrolled: 3-line block ×6, first 2 shown]
	ds_read2_b32 v[142:143], v59 offset1:1
	v_dot4c_i32_i8_e32 v170, v3, v140
	v_lshrrev_b32_e32 v3, 4, v149
	v_and_b32_e32 v3, 0xf0f0f0f, v3
	v_dot4c_i32_i8_e32 v170, v3, v141
	s_waitcnt lgkmcnt(1)
	v_and_b32_e32 v3, 0xf0f0f0f, v150
	v_mov_b32_e32 v5, 0
	v_dot4c_i32_i8_e32 v5, v3, v6
	v_and_b32_e32 v3, 0xf0f0f0f, v151
	ds_read2_b32 v[144:145], v131 offset1:1
	ds_read2_b32 v[146:147], v132 offset1:1
	;; [unrolled: 1-line block ×3, first 2 shown]
	v_dot4c_i32_i8_e32 v5, v3, v7
	s_waitcnt lgkmcnt(3)
	v_and_b32_e32 v3, 0xf0f0f0f, v142
	v_dot4c_i32_i8_e32 v5, v3, v8
	v_and_b32_e32 v3, 0xf0f0f0f, v143
	v_dot4c_i32_i8_e32 v5, v3, v9
	s_waitcnt lgkmcnt(2)
	v_and_b32_e32 v3, 0xf0f0f0f, v144
	v_dot4c_i32_i8_e32 v5, v3, v10
	v_and_b32_e32 v3, 0xf0f0f0f, v145
	;; [unrolled: 5-line block ×3, first 2 shown]
	v_dot4c_i32_i8_e32 v5, v3, v13
	v_bfe_u32 v3, v112, 16, 8
	v_lshrrev_b32_e32 v163, 24, v112
	v_and_b32_e32 v110, 0xff, v112
	v_mul_lo_u32 v3, v5, v3
	v_cvt_f32_i32_e32 v152, v3
	v_lshrrev_b32_e32 v3, 4, v150
	v_and_b32_e32 v3, 0xf0f0f0f, v3
	v_mov_b32_e32 v112, 0
	v_dot4c_i32_i8_e32 v112, v3, v14
	v_lshrrev_b32_e32 v3, 4, v151
	v_and_b32_e32 v3, 0xf0f0f0f, v3
	v_dot4c_i32_i8_e32 v112, v3, v15
	v_lshrrev_b32_e32 v3, 4, v142
	v_and_b32_e32 v3, 0xf0f0f0f, v3
	;; [unrolled: 3-line block ×6, first 2 shown]
	v_dot4c_i32_i8_e32 v112, v3, v140
	v_lshrrev_b32_e32 v3, 4, v147
	ds_read2_b32 v[150:151], v134 offset1:1
	v_and_b32_e32 v3, 0xf0f0f0f, v3
	v_dot4c_i32_i8_e32 v112, v3, v141
	s_waitcnt lgkmcnt(1)
	v_and_b32_e32 v3, 0xf0f0f0f, v148
	v_mov_b32_e32 v5, 0
	v_dot4c_i32_i8_e32 v5, v3, v6
	v_and_b32_e32 v3, 0xf0f0f0f, v149
	v_dot4c_i32_i8_e32 v5, v3, v7
	ds_read2_b32 v[6:7], v135 offset1:1
	ds_read2_b32 v[154:155], v136 offset1:1
	s_waitcnt lgkmcnt(2)
	v_and_b32_e32 v3, 0xf0f0f0f, v150
	v_dot4c_i32_i8_e32 v5, v3, v8
	v_and_b32_e32 v3, 0xf0f0f0f, v151
	v_dot4c_i32_i8_e32 v5, v3, v9
	ds_read2_b32 v[8:9], v122 offset1:2
	s_waitcnt lgkmcnt(2)
	v_and_b32_e32 v3, 0xf0f0f0f, v6
	v_dot4c_i32_i8_e32 v5, v3, v10
	v_and_b32_e32 v3, 0xf0f0f0f, v7
	v_dot4c_i32_i8_e32 v5, v3, v11
	s_waitcnt lgkmcnt(1)
	v_and_b32_e32 v3, 0xf0f0f0f, v154
	v_dot4c_i32_i8_e32 v5, v3, v12
	v_and_b32_e32 v3, 0xf0f0f0f, v155
	v_dot4c_i32_i8_e32 v5, v3, v13
	s_waitcnt lgkmcnt(0)
	v_and_b32_e32 v3, 0xff, v8
	v_bfe_u32 v10, v8, 16, 8
	v_mul_lo_u32 v3, v164, v3
	v_mul_lo_u32 v5, v5, v10
	v_cvt_f32_i32_e32 v10, v3
	v_lshrrev_b32_e32 v3, 4, v148
	v_cvt_f32_i32_e32 v11, v5
	v_and_b32_e32 v3, 0xf0f0f0f, v3
	v_mov_b32_e32 v5, 0
	v_dot4c_i32_i8_e32 v5, v3, v14
	v_lshrrev_b32_e32 v3, 4, v149
	v_and_b32_e32 v3, 0xf0f0f0f, v3
	v_dot4c_i32_i8_e32 v5, v3, v15
	v_lshrrev_b32_e32 v3, 4, v150
	v_and_b32_e32 v3, 0xf0f0f0f, v3
	;; [unrolled: 3-line block ×7, first 2 shown]
	v_dot4c_i32_i8_e32 v5, v3, v141
	v_lshrrev_b32_e32 v3, 24, v8
	v_bfe_u32 v6, v8, 8, 8
	v_cvt_f32_f16_e32 v143, v20
	v_cvt_f32_f16_e32 v142, v18
	v_mul_lo_u32 v6, v165, v6
	v_mul_lo_u32 v3, v5, v3
	v_cvt_f32_f16_sdwa v145, v20 dst_sel:DWORD dst_unused:UNUSED_PAD src0_sel:WORD_1
	v_cvt_f32_f16_sdwa v144, v18 dst_sel:DWORD dst_unused:UNUSED_PAD src0_sel:WORD_1
	v_cvt_f32_f16_e32 v147, v21
	v_cvt_f32_f16_e32 v146, v19
	v_cvt_f32_i32_e32 v7, v3
	v_cvt_f32_i32_e32 v6, v6
	v_cvt_f32_f16_sdwa v13, v21 dst_sel:DWORD dst_unused:UNUSED_PAD src0_sel:WORD_1
	v_cvt_f32_f16_sdwa v12, v19 dst_sel:DWORD dst_unused:UNUSED_PAD src0_sel:WORD_1
	v_pk_fma_f32 v[10:11], v[142:143], v[10:11], 0 op_sel_hi:[1,1,0]
	v_cvt_f32_ubyte2_e32 v15, v9
	v_cvt_f32_ubyte0_e32 v14, v9
	v_pk_fma_f32 v[14:15], v[144:145], v[14:15], 0 op_sel_hi:[1,1,0]
	v_pk_fma_f32 v[6:7], v[146:147], v[6:7], v[10:11]
	v_cvt_f32_ubyte3_e32 v11, v9
	v_cvt_f32_ubyte1_e32 v10, v9
	v_pk_fma_f32 v[8:9], v[12:13], v[10:11], v[14:15]
	v_and_b32_e32 v156, 0xff, v106
	v_and_b32_e32 v161, 0xff, v108
	v_pk_mul_f32 v[4:5], v[8:9], v[4:5] op_sel_hi:[1,0]
	v_bfe_u32 v8, v108, 8, 8
	v_pk_fma_f32 v[2:3], v[6:7], v[2:3], v[4:5] op_sel_hi:[1,0,1] neg_lo:[0,0,1] neg_hi:[0,0,1]
	v_mul_lo_u32 v4, v153, v156
	v_mul_lo_u32 v5, v159, v161
	v_bfe_u32 v9, v106, 8, 8
	v_cvt_f32_i32_e32 v5, v5
	v_cvt_f32_i32_e32 v4, v4
	v_mul_lo_u32 v10, v157, v9
	v_mul_lo_u32 v8, v162, v8
	v_cvt_f32_i32_e32 v9, v8
	v_cvt_f32_i32_e32 v8, v10
	v_cvt_f32_f16_sdwa v17, v158 dst_sel:DWORD dst_unused:UNUSED_PAD src0_sel:WORD_1
	v_cvt_f32_f16_sdwa v16, v167 dst_sel:DWORD dst_unused:UNUSED_PAD src0_sel:WORD_1
	v_bfe_u32 v18, v108, 16, 8
	v_bfe_u32 v19, v106, 16, 8
	v_lshrrev_b32_e32 v137, 24, v106
	v_lshrrev_b32_e32 v160, 24, v108
	v_cvt_f32_ubyte0_e32 v7, v109
	v_cvt_f32_ubyte0_e32 v6, v107
	v_cvt_f32_f16_e32 v15, v158
	v_cvt_f32_f16_e32 v14, v167
	v_mul_lo_u32 v20, v166, v19
	v_mul_lo_u32 v18, v169, v18
	v_cvt_f32_ubyte1_e32 v11, v109
	v_cvt_f32_ubyte1_e32 v10, v107
	v_cvt_f32_i32_e32 v19, v18
	v_cvt_f32_i32_e32 v18, v20
	v_mul_lo_u32 v106, v168, v137
	v_mul_lo_u32 v108, v170, v160
	v_pk_fma_f32 v[6:7], v[144:145], v[6:7], 0 op_sel_hi:[0,1,0]
	v_cvt_f32_i32_e32 v139, v108
	v_cvt_f32_i32_e32 v138, v106
	v_pk_fma_f32 v[4:5], v[142:143], v[4:5], 0 op_sel_hi:[0,1,0]
	v_pk_fma_f32 v[6:7], v[12:13], v[10:11], v[6:7] op_sel_hi:[0,1,1]
	;; [unrolled: 1-line block ×3, first 2 shown]
	v_pk_mul_f32 v[6:7], v[6:7], v[16:17]
	v_cvt_f32_ubyte2_e32 v21, v109
	v_pk_fma_f32 v[4:5], v[4:5], v[14:15], v[6:7] neg_lo:[0,0,1] neg_hi:[0,0,1]
	v_mov_b32_e32 v6, v143
	v_cvt_f32_ubyte2_e32 v20, v107
	v_pk_fma_f32 v[6:7], v[6:7], v[18:19], 0 op_sel_hi:[0,1,0]
	v_mov_b32_e32 v8, v145
	v_mov_b32_e32 v10, v147
	v_cvt_f32_ubyte3_e32 v109, v109
	v_cvt_f32_ubyte3_e32 v108, v107
	v_pk_fma_f32 v[8:9], v[8:9], v[20:21], 0 op_sel_hi:[0,1,0]
	v_pk_fma_f32 v[6:7], v[10:11], v[138:139], v[6:7] op_sel_hi:[0,1,1]
	v_mov_b32_e32 v10, v13
	v_mul_lo_u32 v110, v111, v110
	v_pk_fma_f32 v[8:9], v[10:11], v[108:109], v[8:9] op_sel_hi:[0,1,1]
	v_cvt_f32_i32_e32 v110, v110
	v_pk_mul_f32 v[8:9], v[8:9], v[16:17]
	v_cvt_f32_i32_e32 v114, v114
	v_pk_add_f32 v[4:5], v[24:25], v[4:5]
	v_pk_fma_f32 v[6:7], v[6:7], v[14:15], v[8:9] neg_lo:[0,0,1] neg_hi:[0,0,1]
	v_cvt_f32_ubyte0_e32 v111, v113
	v_pk_add_f32 v[24:25], v[4:5], v[6:7]
	v_cvt_f32_f16_sdwa v7, v23 dst_sel:DWORD dst_unused:UNUSED_PAD src0_sel:WORD_1
	v_mul_lo_u32 v4, v112, v163
	v_cvt_f32_f16_e32 v6, v23
	v_mov_b32_e32 v8, v142
	v_mov_b32_e32 v9, v144
	v_cvt_f32_ubyte1_e32 v115, v113
	v_cvt_f32_i32_e32 v4, v4
	v_pk_fma_f32 v[8:9], v[8:9], v[110:111], 0 op_sel_hi:[1,1,0]
	v_mov_b32_e32 v10, v146
	v_mov_b32_e32 v11, v12
	v_pk_fma_f32 v[8:9], v[10:11], v[114:115], v[8:9]
	v_cvt_f32_ubyte2_e32 v153, v113
	v_mul_f32_e32 v10, v9, v7
	v_mov_b32_e32 v144, v143
	v_cvt_f32_ubyte3_e32 v5, v113
	v_pk_fma_f32 v[8:9], v[8:9], v[6:7], v[10:11] op_sel_hi:[1,1,0] neg_lo:[0,0,1] neg_hi:[0,0,1]
	v_pk_fma_f32 v[10:11], v[144:145], v[152:153], 0 op_sel_hi:[1,1,0]
	v_mov_b32_e32 v12, v147
	v_pk_fma_f32 v[4:5], v[12:13], v[4:5], v[10:11]
	v_mov_b32_e32 v9, v2
	v_mul_f32_e32 v10, v5, v7
	v_pk_fma_f32 v[4:5], v[4:5], v[6:7], v[10:11] op_sel_hi:[1,1,0] neg_lo:[0,0,1] neg_hi:[0,0,1]
	v_pk_add_f32 v[6:7], v[60:61], v[8:9]
	v_mov_b32_e32 v5, v3
	v_pk_add_f32 v[60:61], v[6:7], v[4:5]
	s_cmp_ge_i32 s4, s5
	s_barrier
	s_cbranch_scc1 .LBB212_5
; %bb.12:                               ;   in Loop: Header=BB212_6 Depth=1
	v_cmp_gt_i32_e64 s[2:3], s6, v119
	s_and_b64 s[22:23], s[0:1], s[2:3]
	s_and_saveexec_b64 s[2:3], s[22:23]
	s_cbranch_execz .LBB212_14
; %bb.13:                               ;   in Loop: Header=BB212_6 Depth=1
	v_add_u32_e32 v2, v64, v119
	v_mad_i64_i32 v[2:3], s[22:23], v2, 36, v[62:63]
	global_load_dword v2, v[2:3], off offset:4
	s_waitcnt vmcnt(0)
	ds_write_b32 v31, v2
.LBB212_14:                             ;   in Loop: Header=BB212_6 Depth=1
	s_or_b64 exec, exec, s[2:3]
	s_and_saveexec_b64 s[22:23], vcc
	s_cbranch_execz .LBB212_4
; %bb.15:                               ;   in Loop: Header=BB212_6 Depth=1
	v_add_u32_e32 v2, 4, v22
	v_cmp_gt_i32_e64 s[2:3], s6, v2
	s_and_b64 s[2:3], s[0:1], s[2:3]
	s_and_b64 exec, exec, s[2:3]
	s_cbranch_execz .LBB212_4
; %bb.16:                               ;   in Loop: Header=BB212_6 Depth=1
	v_ashrrev_i32_e32 v23, 31, v22
	v_lshl_add_u64 v[2:3], v[64:65], 0, v[22:23]
	v_mad_u64_u32 v[4:5], s[2:3], v2, 36, s[14:15]
	v_mad_i32_i24 v5, v3, 36, v5
	global_load_dword v2, v[4:5], off offset:144
	s_waitcnt vmcnt(0)
	ds_write_b32 v35, v2
	s_branch .LBB212_4
.LBB212_17:
	s_mul_i32 s0, s10, s7
	s_waitcnt vmcnt(0)
	v_cmp_gt_i32_e32 vcc, s0, v1
	s_and_saveexec_b64 s[0:1], vcc
	s_cbranch_execz .LBB212_26
; %bb.18:
	v_and_b32_e32 v0, 0x3ff, v0
	v_add_u32_e32 v2, s11, v0
	v_mul_lo_u32 v0, v1, s9
	v_cmp_gt_u32_e32 vcc, s9, v2
	s_and_saveexec_b64 s[0:1], vcc
	s_cbranch_execz .LBB212_20
; %bb.19:
	v_cvt_f16_f32_e32 v1, v24
	v_add_u32_e32 v4, v0, v2
	v_mov_b32_e32 v5, 0
	v_lshl_add_u64 v[4:5], v[4:5], 1, s[16:17]
	global_store_short v[4:5], v1, off
.LBB212_20:
	s_or_b64 exec, exec, s[0:1]
	v_add_u32_e32 v1, 32, v2
	v_cmp_gt_u32_e32 vcc, s9, v1
	s_and_saveexec_b64 s[0:1], vcc
	s_cbranch_execz .LBB212_22
; %bb.21:
	v_cvt_f16_f32_e32 v3, v25
	v_add_u32_e32 v4, v0, v1
	v_mov_b32_e32 v5, 0
	v_lshl_add_u64 v[4:5], v[4:5], 1, s[16:17]
	global_store_short v[4:5], v3, off
.LBB212_22:
	s_or_b64 exec, exec, s[0:1]
	v_add_u32_e32 v1, 64, v2
	;; [unrolled: 12-line block ×3, first 2 shown]
	v_cmp_gt_u32_e32 vcc, s9, v1
	s_and_b64 exec, exec, vcc
	s_cbranch_execz .LBB212_26
; %bb.25:
	v_cvt_f16_f32_e32 v2, v61
	v_add_u32_e32 v0, v0, v1
	v_mov_b32_e32 v1, 0
	v_lshl_add_u64 v[0:1], v[0:1], 1, s[16:17]
	global_store_short v[0:1], v2, off
.LBB212_26:
	s_endpgm
	.section	.rodata,"a",@progbits
	.p2align	6, 0x0
	.amdhsa_kernel _ZL8moe_q4_KIN3c104HalfELb1EEvPKvS3_PT_PKiS7_S7_iiiiiii
		.amdhsa_group_segment_fixed_size 20688
		.amdhsa_private_segment_fixed_size 0
		.amdhsa_kernarg_size 76
		.amdhsa_user_sgpr_count 2
		.amdhsa_user_sgpr_dispatch_ptr 0
		.amdhsa_user_sgpr_queue_ptr 0
		.amdhsa_user_sgpr_kernarg_segment_ptr 1
		.amdhsa_user_sgpr_dispatch_id 0
		.amdhsa_user_sgpr_kernarg_preload_length 0
		.amdhsa_user_sgpr_kernarg_preload_offset 0
		.amdhsa_user_sgpr_private_segment_size 0
		.amdhsa_uses_dynamic_stack 0
		.amdhsa_enable_private_segment 0
		.amdhsa_system_sgpr_workgroup_id_x 1
		.amdhsa_system_sgpr_workgroup_id_y 1
		.amdhsa_system_sgpr_workgroup_id_z 0
		.amdhsa_system_sgpr_workgroup_info 0
		.amdhsa_system_vgpr_workitem_id 1
		.amdhsa_next_free_vgpr 171
		.amdhsa_next_free_sgpr 75
		.amdhsa_accum_offset 172
		.amdhsa_reserve_vcc 1
		.amdhsa_float_round_mode_32 0
		.amdhsa_float_round_mode_16_64 0
		.amdhsa_float_denorm_mode_32 3
		.amdhsa_float_denorm_mode_16_64 3
		.amdhsa_dx10_clamp 1
		.amdhsa_ieee_mode 1
		.amdhsa_fp16_overflow 0
		.amdhsa_tg_split 0
		.amdhsa_exception_fp_ieee_invalid_op 0
		.amdhsa_exception_fp_denorm_src 0
		.amdhsa_exception_fp_ieee_div_zero 0
		.amdhsa_exception_fp_ieee_overflow 0
		.amdhsa_exception_fp_ieee_underflow 0
		.amdhsa_exception_fp_ieee_inexact 0
		.amdhsa_exception_int_div_zero 0
	.end_amdhsa_kernel
	.section	.text._ZL8moe_q4_KIN3c104HalfELb1EEvPKvS3_PT_PKiS7_S7_iiiiiii,"axG",@progbits,_ZL8moe_q4_KIN3c104HalfELb1EEvPKvS3_PT_PKiS7_S7_iiiiiii,comdat
.Lfunc_end212:
	.size	_ZL8moe_q4_KIN3c104HalfELb1EEvPKvS3_PT_PKiS7_S7_iiiiiii, .Lfunc_end212-_ZL8moe_q4_KIN3c104HalfELb1EEvPKvS3_PT_PKiS7_S7_iiiiiii
                                        ; -- End function
	.set _ZL8moe_q4_KIN3c104HalfELb1EEvPKvS3_PT_PKiS7_S7_iiiiiii.num_vgpr, 171
	.set _ZL8moe_q4_KIN3c104HalfELb1EEvPKvS3_PT_PKiS7_S7_iiiiiii.num_agpr, 0
	.set _ZL8moe_q4_KIN3c104HalfELb1EEvPKvS3_PT_PKiS7_S7_iiiiiii.numbered_sgpr, 28
	.set _ZL8moe_q4_KIN3c104HalfELb1EEvPKvS3_PT_PKiS7_S7_iiiiiii.num_named_barrier, 0
	.set _ZL8moe_q4_KIN3c104HalfELb1EEvPKvS3_PT_PKiS7_S7_iiiiiii.private_seg_size, 0
	.set _ZL8moe_q4_KIN3c104HalfELb1EEvPKvS3_PT_PKiS7_S7_iiiiiii.uses_vcc, 1
	.set _ZL8moe_q4_KIN3c104HalfELb1EEvPKvS3_PT_PKiS7_S7_iiiiiii.uses_flat_scratch, 0
	.set _ZL8moe_q4_KIN3c104HalfELb1EEvPKvS3_PT_PKiS7_S7_iiiiiii.has_dyn_sized_stack, 0
	.set _ZL8moe_q4_KIN3c104HalfELb1EEvPKvS3_PT_PKiS7_S7_iiiiiii.has_recursion, 0
	.set _ZL8moe_q4_KIN3c104HalfELb1EEvPKvS3_PT_PKiS7_S7_iiiiiii.has_indirect_call, 0
	.section	.AMDGPU.csdata,"",@progbits
; Kernel info:
; codeLenInByte = 10076
; TotalNumSgprs: 34
; NumVgprs: 171
; NumAgprs: 0
; TotalNumVgprs: 171
; ScratchSize: 0
; MemoryBound: 0
; FloatMode: 240
; IeeeMode: 1
; LDSByteSize: 20688 bytes/workgroup (compile time only)
; SGPRBlocks: 10
; VGPRBlocks: 21
; NumSGPRsForWavesPerEU: 81
; NumVGPRsForWavesPerEU: 171
; AccumOffset: 172
; Occupancy: 2
; WaveLimiterHint : 1
; COMPUTE_PGM_RSRC2:SCRATCH_EN: 0
; COMPUTE_PGM_RSRC2:USER_SGPR: 2
; COMPUTE_PGM_RSRC2:TRAP_HANDLER: 0
; COMPUTE_PGM_RSRC2:TGID_X_EN: 1
; COMPUTE_PGM_RSRC2:TGID_Y_EN: 1
; COMPUTE_PGM_RSRC2:TGID_Z_EN: 0
; COMPUTE_PGM_RSRC2:TIDIG_COMP_CNT: 1
; COMPUTE_PGM_RSRC3_GFX90A:ACCUM_OFFSET: 42
; COMPUTE_PGM_RSRC3_GFX90A:TG_SPLIT: 0
	.section	.text._ZL8moe_q5_KIN3c104HalfELb0EEvPKvS3_PT_PKiS7_S7_iiiiiii,"axG",@progbits,_ZL8moe_q5_KIN3c104HalfELb0EEvPKvS3_PT_PKiS7_S7_iiiiiii,comdat
	.globl	_ZL8moe_q5_KIN3c104HalfELb0EEvPKvS3_PT_PKiS7_S7_iiiiiii ; -- Begin function _ZL8moe_q5_KIN3c104HalfELb0EEvPKvS3_PT_PKiS7_S7_iiiiiii
	.p2align	8
	.type	_ZL8moe_q5_KIN3c104HalfELb0EEvPKvS3_PT_PKiS7_S7_iiiiiii,@function
_ZL8moe_q5_KIN3c104HalfELb0EEvPKvS3_PT_PKiS7_S7_iiiiiii: ; @_ZL8moe_q5_KIN3c104HalfELb0EEvPKvS3_PT_PKiS7_S7_iiiiiii
; %bb.0:
	s_load_dwordx4 s[4:7], s[0:1], 0x18
	s_mov_b32 s8, s3
	s_mov_b32 s9, 0
	s_lshl_b64 s[10:11], s[8:9], 2
	s_waitcnt lgkmcnt(0)
	s_add_u32 s6, s6, s10
	s_addc_u32 s7, s7, s11
	s_load_dword s3, s[6:7], 0x0
	s_waitcnt lgkmcnt(0)
	s_cmpk_gt_u32 s3, 0xff
	s_cbranch_scc1 .LBB213_26
; %bb.1:
	s_load_dwordx2 s[6:7], s[0:1], 0x28
	s_waitcnt lgkmcnt(0)
	s_load_dword s7, s[6:7], 0x0
	s_lshl_b32 s6, s8, 3
	s_waitcnt lgkmcnt(0)
	s_cmp_gt_u32 s6, s7
	s_cbranch_scc1 .LBB213_26
; %bb.2:
	v_bfe_u32 v4, v0, 10, 10
	v_mov_b32_e32 v2, s4
	v_mov_b32_e32 v3, s5
	v_add_u32_e32 v86, s6, v4
	v_mov_b32_e32 v87, 0
	v_lshl_add_u64 v[2:3], v[86:87], 2, v[2:3]
	global_load_dword v1, v[2:3], off
	s_load_dwordx2 s[14:15], s[0:1], 0x30
	s_load_dwordx2 s[12:13], s[0:1], 0x10
	s_load_dwordx4 s[4:7], s[0:1], 0x3c
	s_lshl_b32 s22, s2, 7
	v_mov_b32_e32 v86, v87
	s_waitcnt lgkmcnt(0)
	s_cmpk_lt_i32 s15, 0x100
	v_mov_b32_e32 v47, v87
	v_mov_b32_e32 v46, v87
	s_cbranch_scc1 .LBB213_17
; %bb.3:
	s_load_dwordx4 s[8:11], s[0:1], 0x0
	s_ashr_i32 s0, s15, 31
	s_lshr_b32 s0, s0, 24
	s_add_i32 s0, s15, s0
	s_ashr_i32 s23, s0, 8
	s_ashr_i32 s0, s5, 31
	s_lshr_b32 s0, s0, 27
	s_add_i32 s0, s5, s0
	v_and_b32_e32 v18, 0x3ff, v0
	v_and_b32_e32 v8, 7, v0
	s_ashr_i32 s5, s0, 5
	v_lshlrev_b32_e32 v11, 3, v18
	v_lshlrev_b32_e32 v8, 2, v8
	s_movk_i32 s0, 0xc0
	v_mul_u32_u24_e32 v10, 0x41, v4
	v_and_or_b32 v8, v11, s0, v8
	s_lshl_b32 s0, s23, 3
	v_lshl_add_u32 v124, v10, 2, v8
	v_mov_b32_e32 v8, s0
	v_mad_i32_i24 v12, s23, v4, v8
	v_add_u32_e32 v13, s0, v12
	v_add_u32_e32 v14, s0, v13
	;; [unrolled: 1-line block ×11, first 2 shown]
	v_lshl_add_u32 v8, v4, 5, v18
	v_add_u32_e32 v78, s0, v74
	v_and_b32_e32 v10, 0x7f, v8
	v_lshrrev_b32_e32 v8, 3, v8
	v_and_b32_e32 v11, 3, v0
	v_add_u32_e32 v82, s0, v78
	v_mul_i32_i24_e32 v86, s23, v10
	v_and_b32_e32 v8, 12, v8
	v_lshlrev_b32_e32 v10, 2, v10
	s_mov_b32 s0, 0x8e40
	v_add_u32_e32 v20, 0xfe, v11
	v_bfe_u32 v7, v0, 2, 8
	v_add3_u32 v125, v10, v8, s0
	v_lshlrev_b32_e32 v8, 3, v4
	v_and_b32_e32 v20, 0xff, v20
	v_cmp_gt_u32_e32 vcc, 2, v11
	v_and_b32_e32 v122, 6, v7
	v_add_u32_e32 v10, v7, v8
	v_cndmask_b32_e32 v20, v20, v11, vcc
	v_cmp_ne_u32_e32 vcc, 0, v11
	v_add_u16_e32 v7, v7, v8
	s_mul_i32 s16, s3, s14
	v_addc_co_u32_e32 v87, vcc, 0, v20, vcc
	v_cmp_lt_u32_e64 s[2:3], 1, v11
	v_lshlrev_b32_e32 v127, 1, v20
	v_and_b32_e32 v20, 0x7f, v10
	v_lshlrev_b32_e32 v11, 2, v11
	v_lshrrev_b16_e32 v7, 1, v7
	v_mul_i32_i24_e32 v94, s23, v20
	v_lshl_or_b32 v20, v20, 4, v11
	v_and_b32_e32 v7, 60, v7
	s_mov_b32 s1, 0x8200
	v_add3_u32 v128, v20, v7, s1
	v_mov_b32_e32 v7, 0x7f
	v_bitop3_b32 v7, v10, 64, v7 bitop3:0x6c
	v_mul_i32_i24_e32 v98, s23, v7
	v_lshl_or_b32 v8, v7, 4, v11
	v_lshrrev_b32_e32 v7, 1, v7
	v_and_b32_e32 v7, 60, v7
	v_add3_u32 v129, v8, v7, s1
	v_mov_b32_e32 v8, 0x8a40
	v_lshlrev_b32_e32 v6, 2, v18
	v_and_b32_e32 v7, 31, v0
	v_lshl_add_u32 v131, v4, 7, v8
	v_bfe_u32 v134, v0, 3, 7
	v_bfe_u32 v5, v0, 5, 5
	v_lshl_add_u32 v132, v7, 2, v131
	v_add_u32_e32 v7, v134, v6
	v_mov_b32_e32 v8, 0x8200
	v_lshl_add_u32 v135, v7, 2, v8
	v_lshlrev_b32_e32 v7, 2, v5
	v_add3_u32 v137, v7, v6, s0
	v_add_u32_e32 v7, 32, v18
	v_lshrrev_b32_e32 v138, 3, v7
	v_lshl_add_u32 v7, v7, 2, v138
	v_lshl_add_u32 v139, v7, 2, v8
	v_and_b32_e32 v7, 60, v138
	v_add3_u32 v140, v6, v7, s0
	v_add_u32_e32 v7, 64, v18
	v_lshrrev_b32_e32 v10, 3, v7
	v_lshl_add_u32 v7, v7, 2, v10
	s_abs_i32 s18, s7
	v_lshl_add_u32 v141, v7, 2, v8
	v_and_b32_e32 v7, 60, v10
	v_cvt_f32_u32_e32 v11, s18
	v_add3_u32 v142, v6, v7, s0
	v_add_u32_e32 v7, 0x60, v18
	v_lshrrev_b32_e32 v10, 3, v7
	v_lshl_add_u32 v7, v7, 2, v10
	v_lshl_add_u32 v143, v7, 2, v8
	v_rcp_iflag_f32_e32 v8, v11
	v_and_b32_e32 v7, 60, v10
	v_add3_u32 v144, v6, v7, s0
	s_sub_i32 s0, 0, s18
	v_mul_f32_e32 v7, 0x4f7ffffe, v8
	v_cvt_u32_f32_e32 v7, v7
	s_waitcnt vmcnt(0)
	v_sub_u32_e32 v8, 0, v1
	v_max_i32_e32 v8, v1, v8
	v_and_b32_e32 v46, 0x7c, v6
	v_mul_lo_u32 v10, s0, v7
	v_mul_hi_u32 v10, v7, v10
	v_add_u32_e32 v7, v7, v10
	v_mul_hi_u32 v7, v8, v7
	v_mul_lo_u32 v10, v7, s18
	v_sub_u32_e32 v8, v8, v10
	v_add_u32_e32 v10, 1, v7
	v_cmp_le_u32_e64 s[0:1], s18, v8
	v_and_b32_e32 v2, 28, v6
	v_and_b32_e32 v21, 4, v6
	v_cndmask_b32_e64 v7, v7, v10, s[0:1]
	v_subrev_u32_e32 v10, s18, v8
	v_cndmask_b32_e64 v8, v8, v10, s[0:1]
	v_add_u32_e32 v130, 0x9050, v6
	v_xor_b32_e32 v6, s7, v1
	v_add_u32_e32 v10, 1, v7
	v_cmp_le_u32_e64 s[0:1], s18, v8
	v_ashrrev_i32_e32 v6, 31, v6
	s_mul_i32 s14, s23, s22
	v_cndmask_b32_e64 v7, v7, v10, s[0:1]
	v_xor_b32_e32 v7, v7, v6
	v_sub_u32_e32 v6, v7, v6
	s_mul_hi_i32 s21, s14, 0xb0
	s_mul_i32 s20, s14, 0xb0
	v_cmp_gt_i32_e64 s[0:1], s4, v6
	v_mul_lo_u32 v22, v6, s5
	s_movk_i32 s26, 0xb0
	v_mov_b64_e32 v[6:7], s[20:21]
	v_mov_b32_e32 v47, 0
	v_mul_i32_i24_e32 v9, s23, v4
	v_mad_u64_u32 v[6:7], s[24:25], v5, s26, v[6:7]
	v_mov_b32_e32 v3, v47
	v_mad_u64_u32 v[8:9], s[24:25], v9, s26, v[6:7]
	v_lshl_add_u64 v[10:11], v[8:9], 0, v[2:3]
	v_lshl_add_u64 v[8:9], v[8:9], 0, v[46:47]
	s_waitcnt lgkmcnt(0)
	v_lshl_add_u64 v[8:9], s[8:9], 0, v[8:9]
	v_lshl_add_u64 v[10:11], s[8:9], 0, v[10:11]
	v_lshl_add_u64 v[26:27], v[8:9], 0, 48
	v_mad_u64_u32 v[8:9], s[24:25], v12, s26, v[6:7]
	v_lshl_add_u64 v[24:25], v[10:11], 0, 16
	v_lshl_add_u64 v[10:11], v[8:9], 0, v[2:3]
	v_lshl_add_u64 v[8:9], v[8:9], 0, v[46:47]
	v_lshl_add_u64 v[8:9], s[8:9], 0, v[8:9]
	v_lshl_add_u64 v[10:11], s[8:9], 0, v[10:11]
	v_lshl_add_u64 v[30:31], v[8:9], 0, 48
	v_mad_u64_u32 v[8:9], s[24:25], v13, s26, v[6:7]
	v_lshl_add_u64 v[28:29], v[10:11], 0, 16
	v_lshl_add_u64 v[10:11], v[8:9], 0, v[2:3]
	v_lshl_add_u64 v[8:9], v[8:9], 0, v[46:47]
	;; [unrolled: 7-line block ×13, first 2 shown]
	v_lshl_add_u64 v[8:9], s[8:9], 0, v[8:9]
	v_lshl_add_u64 v[80:81], v[8:9], 0, 48
	v_mad_u64_u32 v[8:9], s[24:25], v82, s26, v[6:7]
	s_mul_i32 s24, s23, 0x78
	s_nop 0
	v_mov_b32_e32 v5, s24
	v_lshlrev_b32_e32 v133, 4, v4
	v_mad_i32_i24 v4, s23, v4, v5
	v_lshl_add_u64 v[10:11], s[8:9], 0, v[10:11]
	v_mad_u64_u32 v[4:5], s[24:25], v4, s26, v[6:7]
	v_cndmask_b32_e64 v126, 0, v21, s[2:3]
	v_cmp_gt_u32_e32 vcc, 4, v18
	v_lshl_add_u64 v[20:21], s[10:11], 0, v[2:3]
	v_lshl_add_u64 v[78:79], v[10:11], 0, 16
	;; [unrolled: 1-line block ×4, first 2 shown]
	s_ashr_i32 s17, s16, 31
	s_and_b64 s[18:19], vcc, s[0:1]
	v_lshl_add_u64 v[2:3], s[8:9], 0, v[2:3]
	v_lshl_add_u64 v[88:89], v[2:3], 0, 16
	;; [unrolled: 1-line block ×3, first 2 shown]
	s_add_u32 s20, s8, s20
	v_lshl_add_u64 v[2:3], s[8:9], 0, v[2:3]
	s_addc_u32 s21, s9, s21
	v_lshl_add_u64 v[90:91], v[2:3], 0, 48
	v_mov_b64_e32 v[2:3], s[20:21]
	v_mad_u64_u32 v[92:93], s[20:21], v86, s26, v[2:3]
	v_mad_u64_u32 v[2:3], s[20:21], v94, s26, 0
	v_mov_b32_e32 v6, 0xb0
	v_cndmask_b32_e64 v4, 0, 1, s[2:3]
	v_lshl_add_u64 v[8:9], v[8:9], 0, v[46:47]
	v_mad_i64_i32 v[2:3], s[20:21], s14, v6, v[2:3]
	v_lshlrev_b32_e32 v7, 2, v4
	v_lshlrev_b32_e32 v46, 2, v87
	v_or_b32_e32 v4, v2, v7
	v_mov_b32_e32 v5, v3
	v_lshl_add_u64 v[2:3], v[2:3], 0, v[46:47]
	v_lshl_add_u64 v[2:3], s[8:9], 0, v[2:3]
	;; [unrolled: 1-line block ×3, first 2 shown]
	v_mad_u64_u32 v[2:3], s[2:3], v98, s26, 0
	v_lshl_add_u64 v[4:5], s[8:9], 0, v[4:5]
	v_mad_i64_i32 v[2:3], s[2:3], s14, v6, v[2:3]
	v_lshl_add_u64 v[94:95], v[4:5], 0, 4
	v_or_b32_e32 v4, v2, v7
	v_mov_b32_e32 v5, v3
	v_lshl_add_u64 v[2:3], v[2:3], 0, v[46:47]
	v_lshl_add_u64 v[10:11], s[8:9], 0, v[10:11]
	;; [unrolled: 1-line block ×5, first 2 shown]
	v_or_b32_e32 v123, 1, v122
	v_mul_u32_u24_e32 v136, 0x104, v18
	v_ashrrev_i32_e32 v23, 31, v22
	v_lshl_add_u64 v[82:83], v[10:11], 0, 16
	v_lshl_add_u64 v[84:85], v[8:9], 0, 48
	;; [unrolled: 1-line block ×4, first 2 shown]
	s_movk_i32 s14, 0x80
	s_mov_b32 s24, 0x10101010
	s_mov_b32 s25, 0x30303030
	s_mov_b64 s[8:9], 0xb0
	v_add_u32_e32 v145, 0x800, v124
	v_add_u32_e32 v146, 0x1000, v124
	;; [unrolled: 1-line block ×15, first 2 shown]
	v_mov_b32_e32 v46, v47
	v_mov_b32_e32 v86, v47
	;; [unrolled: 1-line block ×3, first 2 shown]
	s_branch .LBB213_6
.LBB213_4:                              ;   in Loop: Header=BB213_6 Depth=1
	s_or_b64 exec, exec, s[20:21]
	s_waitcnt lgkmcnt(0)
	s_barrier
	ds_read_b128 v[14:17], v131
	ds_read_b128 v[10:13], v131 offset:16
	ds_read2_b32 v[102:103], v136 offset0:32 offset1:33
	ds_read_b128 v[6:9], v131 offset:32
	ds_read_b128 v[2:5], v131 offset:48
	ds_read_b32 v19, v137
	ds_read_b128 v[160:163], v133 offset:36944
	ds_read2_b32 v[104:105], v136 offset0:34 offset1:35
	v_mov_b32_e32 v118, 0
	s_waitcnt lgkmcnt(5)
	v_dot4c_i32_i8_e32 v118, v102, v14
	v_dot4c_i32_i8_e32 v118, v103, v15
	ds_read2_b32 v[102:103], v136 offset0:36 offset1:37
	ds_read2_b32 v[106:107], v136 offset0:38 offset1:39
	;; [unrolled: 1-line block ×3, first 2 shown]
	s_waitcnt lgkmcnt(3)
	v_dot4c_i32_i8_e32 v118, v104, v16
	v_dot4c_i32_i8_e32 v118, v105, v17
	s_waitcnt lgkmcnt(2)
	v_dot4c_i32_i8_e32 v118, v102, v10
	v_dot4c_i32_i8_e32 v118, v103, v11
	ds_read2_b32 v[102:103], v136 offset0:42 offset1:43
	v_mov_b32_e32 v121, 0
	s_waitcnt lgkmcnt(1)
	v_dot4c_i32_i8_e32 v121, v108, v6
	v_dot4c_i32_i8_e32 v121, v109, v7
	;; [unrolled: 1-line block ×3, first 2 shown]
	s_waitcnt lgkmcnt(0)
	v_dot4c_i32_i8_e32 v121, v102, v8
	v_add_u32_e32 v102, 0x2100, v136
	v_dot4c_i32_i8_e32 v118, v107, v13
	ds_read2_b32 v[104:105], v136 offset0:44 offset1:45
	ds_read2_b32 v[106:107], v136 offset0:46 offset1:47
	;; [unrolled: 1-line block ×3, first 2 shown]
	v_dot4c_i32_i8_e32 v121, v103, v9
	ds_read2_b32 v[102:103], v102 offset1:1
	v_mov_b32_e32 v165, 0
	ds_read_b32 v182, v140 offset:128
	ds_read_b32 v119, v142 offset:256
	;; [unrolled: 1-line block ×3, first 2 shown]
	s_waitcnt lgkmcnt(6)
	v_dot4c_i32_i8_e32 v121, v104, v2
	v_dot4c_i32_i8_e32 v121, v105, v3
	s_waitcnt lgkmcnt(3)
	v_dot4c_i32_i8_e32 v165, v102, v14
	v_add_u32_e32 v102, 0x2108, v136
	v_dot4c_i32_i8_e32 v165, v103, v15
	ds_read2_b32 v[102:103], v102 offset1:1
	v_dot4c_i32_i8_e32 v121, v106, v4
	v_add_u32_e32 v104, 0x2110, v136
	v_add_u32_e32 v106, 0x2118, v136
	;; [unrolled: 1-line block ×3, first 2 shown]
	v_dot4c_i32_i8_e32 v121, v107, v5
	ds_read2_b32 v[104:105], v104 offset1:1
	ds_read2_b32 v[106:107], v106 offset1:1
	;; [unrolled: 1-line block ×3, first 2 shown]
	s_waitcnt lgkmcnt(3)
	v_dot4c_i32_i8_e32 v165, v102, v16
	v_add_u32_e32 v102, 0x2128, v136
	v_dot4c_i32_i8_e32 v165, v103, v17
	ds_read2_b32 v[102:103], v102 offset1:1
	s_waitcnt lgkmcnt(3)
	v_dot4c_i32_i8_e32 v165, v104, v10
	v_dot4c_i32_i8_e32 v165, v105, v11
	v_mov_b32_e32 v176, 0
	s_waitcnt lgkmcnt(2)
	v_dot4c_i32_i8_e32 v165, v106, v12
	s_waitcnt lgkmcnt(1)
	v_dot4c_i32_i8_e32 v176, v110, v6
	v_add_u32_e32 v104, 0x2130, v136
	v_add_u32_e32 v106, 0x2138, v136
	;; [unrolled: 1-line block ×3, first 2 shown]
	v_dot4c_i32_i8_e32 v165, v107, v13
	v_dot4c_i32_i8_e32 v176, v111, v7
	ds_read2_b32 v[104:105], v104 offset1:1
	ds_read2_b32 v[106:107], v106 offset1:1
	;; [unrolled: 1-line block ×3, first 2 shown]
	s_waitcnt lgkmcnt(3)
	v_dot4c_i32_i8_e32 v176, v102, v8
	v_add_u32_e32 v102, 0x4188, v136
	v_dot4c_i32_i8_e32 v176, v103, v9
	ds_read2_b32 v[102:103], v102 offset1:1
	s_waitcnt lgkmcnt(3)
	v_dot4c_i32_i8_e32 v176, v104, v2
	v_dot4c_i32_i8_e32 v176, v105, v3
	v_mov_b32_e32 v114, 0
	s_waitcnt lgkmcnt(2)
	v_dot4c_i32_i8_e32 v176, v106, v4
	s_waitcnt lgkmcnt(1)
	v_dot4c_i32_i8_e32 v114, v110, v14
	v_add_u32_e32 v104, 0x4190, v136
	v_add_u32_e32 v112, 0x41a0, v136
	v_dot4c_i32_i8_e32 v176, v107, v5
	v_dot4c_i32_i8_e32 v114, v111, v15
	v_add_u32_e32 v105, 0x4198, v136
	ds_read2_b32 v[106:107], v104 offset1:1
	ds_read2_b32 v[110:111], v105 offset1:1
	;; [unrolled: 1-line block ×3, first 2 shown]
	s_waitcnt lgkmcnt(3)
	v_dot4c_i32_i8_e32 v114, v102, v16
	ds_read2_b32 v[104:105], v141 offset0:1 offset1:3
	v_dot4c_i32_i8_e32 v114, v103, v17
	s_waitcnt lgkmcnt(3)
	v_dot4c_i32_i8_e32 v114, v106, v10
	v_add_u32_e32 v106, 0x41a8, v136
	v_dot4c_i32_i8_e32 v114, v107, v11
	ds_read2_b32 v[106:107], v106 offset1:1
	s_waitcnt lgkmcnt(3)
	v_dot4c_i32_i8_e32 v114, v110, v12
	v_dot4c_i32_i8_e32 v114, v111, v13
	s_waitcnt lgkmcnt(1)
	v_and_b32_e32 v102, 0xff, v104
	v_mov_b32_e32 v116, 0
	v_dot4c_i32_i8_e32 v116, v112, v6
	v_mul_lo_u32 v102, v114, v102
	v_add_u32_e32 v110, 0x41b0, v136
	v_add_u32_e32 v112, 0x41b8, v136
	;; [unrolled: 1-line block ×3, first 2 shown]
	v_dot4c_i32_i8_e32 v116, v113, v7
	ds_read2_b32 v[110:111], v110 offset1:1
	ds_read2_b32 v[112:113], v112 offset1:1
	;; [unrolled: 1-line block ×3, first 2 shown]
	s_waitcnt lgkmcnt(3)
	v_dot4c_i32_i8_e32 v116, v106, v8
	v_dot4c_i32_i8_e32 v116, v107, v9
	s_waitcnt lgkmcnt(2)
	v_dot4c_i32_i8_e32 v116, v110, v2
	v_dot4c_i32_i8_e32 v116, v111, v3
	v_mov_b32_e32 v177, 0
	s_waitcnt lgkmcnt(1)
	v_dot4c_i32_i8_e32 v116, v112, v4
	s_waitcnt lgkmcnt(0)
	v_dot4c_i32_i8_e32 v177, v114, v14
	v_add_u32_e32 v14, 0x6208, v136
	v_add_u32_e32 v110, 0x6210, v136
	v_add_u32_e32 v112, 0x6218, v136
	v_add_u32_e32 v114, 0x6220, v136
	v_dot4c_i32_i8_e32 v116, v113, v5
	v_dot4c_i32_i8_e32 v177, v115, v15
	ds_read2_b32 v[14:15], v14 offset1:1
	ds_read2_b32 v[110:111], v110 offset1:1
	;; [unrolled: 1-line block ×4, first 2 shown]
	v_mov_b32_e32 v178, 0
	v_mov_b32_e32 v184, 0
	v_bfe_u32 v106, v104, 8, 8
	s_waitcnt lgkmcnt(3)
	v_dot4c_i32_i8_e32 v177, v14, v16
	s_waitcnt lgkmcnt(0)
	v_dot4c_i32_i8_e32 v178, v114, v6
	v_add_u32_e32 v6, 0x6228, v136
	v_dot4c_i32_i8_e32 v177, v15, v17
	v_dot4c_i32_i8_e32 v178, v115, v7
	ds_read2_b32 v[6:7], v6 offset1:1
	v_dot4c_i32_i8_e32 v177, v110, v10
	v_dot4c_i32_i8_e32 v177, v111, v11
	;; [unrolled: 1-line block ×3, first 2 shown]
	v_add_u32_e32 v10, 0x6230, v136
	v_add_u32_e32 v12, 0x6238, v136
	v_dot4c_i32_i8_e32 v177, v113, v13
	v_add_u32_e32 v14, 0x6240, v136
	ds_read2_b32 v[10:11], v10 offset1:1
	ds_read2_b32 v[12:13], v12 offset1:1
	;; [unrolled: 1-line block ×3, first 2 shown]
	s_waitcnt lgkmcnt(3)
	v_dot4c_i32_i8_e32 v178, v6, v8
	v_dot4c_i32_i8_e32 v178, v7, v9
	s_waitcnt lgkmcnt(2)
	v_dot4c_i32_i8_e32 v178, v10, v2
	v_dot4c_i32_i8_e32 v178, v11, v3
	;; [unrolled: 3-line block ×3, first 2 shown]
	ds_read_b128 v[14:17], v131 offset:64
	ds_read_b128 v[10:13], v131 offset:80
	;; [unrolled: 1-line block ×4, first 2 shown]
	ds_read2_b32 v[110:111], v136 offset0:50 offset1:51
	s_waitcnt lgkmcnt(4)
	v_dot4c_i32_i8_e32 v184, v108, v14
	v_dot4c_i32_i8_e32 v184, v109, v15
	ds_read2_b32 v[108:109], v136 offset0:52 offset1:53
	ds_read2_b32 v[112:113], v136 offset0:54 offset1:55
	;; [unrolled: 1-line block ×3, first 2 shown]
	v_mul_lo_u32 v106, v116, v106
	s_waitcnt lgkmcnt(3)
	v_dot4c_i32_i8_e32 v184, v110, v16
	v_mov_b32_e32 v110, 0
	v_dot4c_i32_i8_e32 v110, v114, v14
	v_add_u32_e32 v114, 0x6248, v136
	v_dot4c_i32_i8_e32 v184, v111, v17
	v_dot4c_i32_i8_e32 v110, v115, v15
	ds_read2_b32 v[114:115], v114 offset1:1
	s_waitcnt lgkmcnt(3)
	v_dot4c_i32_i8_e32 v184, v108, v10
	v_dot4c_i32_i8_e32 v184, v109, v11
	v_cvt_f32_f16_e32 v116, v117
	v_cvt_f32_f16_sdwa v164, v117 dst_sel:DWORD dst_unused:UNUSED_PAD src0_sel:WORD_1
	s_waitcnt lgkmcnt(2)
	v_dot4c_i32_i8_e32 v184, v112, v12
	v_add_u32_e32 v117, 0x6250, v136
	v_dot4c_i32_i8_e32 v184, v113, v13
	v_cvt_f32_f16_e32 v113, v162
	v_cvt_f32_f16_e32 v112, v160
	v_cvt_f32_f16_sdwa v109, v162 dst_sel:DWORD dst_unused:UNUSED_PAD src0_sel:WORD_1
	v_cvt_f32_f16_sdwa v108, v160 dst_sel:DWORD dst_unused:UNUSED_PAD src0_sel:WORD_1
	v_add_u32_e32 v160, 0x6258, v136
	v_add_u32_e32 v162, 0x6260, v136
	ds_read2_b32 v[168:169], v117 offset1:1
	ds_read2_b32 v[170:171], v160 offset1:1
	;; [unrolled: 1-line block ×3, first 2 shown]
	s_waitcnt lgkmcnt(3)
	v_dot4c_i32_i8_e32 v110, v114, v16
	ds_read2_b32 v[174:175], v143 offset0:1 offset1:3
	v_dot4c_i32_i8_e32 v110, v115, v17
	s_waitcnt lgkmcnt(3)
	v_dot4c_i32_i8_e32 v110, v168, v10
	v_dot4c_i32_i8_e32 v110, v169, v11
	s_waitcnt lgkmcnt(2)
	v_dot4c_i32_i8_e32 v110, v170, v12
	v_dot4c_i32_i8_e32 v110, v171, v13
	s_waitcnt lgkmcnt(0)
	v_and_b32_e32 v114, 0xff, v174
	v_bfe_u32 v115, v174, 16, 8
	v_mul_lo_u32 v114, v177, v114
	v_mul_lo_u32 v110, v110, v115
	v_add_u32_e32 v162, 0x6268, v136
	v_cvt_f32_f16_e32 v111, v163
	v_cvt_f32_i32_e32 v169, v110
	v_cvt_f32_i32_e32 v168, v114
	v_cvt_f32_f16_sdwa v115, v163 dst_sel:DWORD dst_unused:UNUSED_PAD src0_sel:WORD_1
	ds_read2_b32 v[162:163], v162 offset1:1
	v_mov_b32_e32 v185, 0
	v_mov_b32_e32 v117, 0
	v_dot4c_i32_i8_e32 v185, v166, v6
	v_dot4c_i32_i8_e32 v117, v172, v6
	v_add_u32_e32 v166, 0x6270, v136
	v_add_u32_e32 v170, 0x6278, v136
	;; [unrolled: 1-line block ×3, first 2 shown]
	v_cvt_f32_f16_e32 v110, v161
	v_cvt_f32_f16_sdwa v114, v161 dst_sel:DWORD dst_unused:UNUSED_PAD src0_sel:WORD_1
	v_pk_fma_f32 v[160:161], v[112:113], v[168:169], 0 op_sel_hi:[1,1,0]
	v_dot4c_i32_i8_e32 v117, v173, v7
	ds_read2_b32 v[168:169], v166 offset1:1
	ds_read2_b32 v[170:171], v170 offset1:1
	;; [unrolled: 1-line block ×3, first 2 shown]
	s_waitcnt lgkmcnt(3)
	v_dot4c_i32_i8_e32 v117, v162, v8
	v_dot4c_i32_i8_e32 v117, v163, v9
	s_waitcnt lgkmcnt(2)
	v_dot4c_i32_i8_e32 v117, v168, v2
	v_dot4c_i32_i8_e32 v117, v169, v3
	;; [unrolled: 3-line block ×3, first 2 shown]
	v_lshrrev_b32_e32 v162, 24, v174
	v_bfe_u32 v163, v174, 8, 8
	v_mul_lo_u32 v166, v178, v163
	v_mul_lo_u32 v117, v117, v162
	v_cvt_f32_i32_e32 v163, v117
	v_cvt_f32_i32_e32 v162, v166
	v_cvt_f32_ubyte2_e32 v169, v175
	v_cvt_f32_ubyte0_e32 v168, v175
	v_pk_fma_f32 v[168:169], v[108:109], v[168:169], 0 op_sel_hi:[1,1,0]
	v_pk_fma_f32 v[160:161], v[110:111], v[162:163], v[160:161]
	v_cvt_f32_ubyte3_e32 v163, v175
	v_cvt_f32_ubyte1_e32 v162, v175
	v_pk_fma_f32 v[162:163], v[114:115], v[162:163], v[168:169]
	ds_read2_b32 v[168:169], v135 offset0:1 offset1:3
	ds_read2_b32 v[170:171], v139 offset0:1 offset1:3
	v_pk_mul_f32 v[162:163], v[162:163], v[164:165] op_sel_hi:[1,0]
	v_cvt_f32_f16_e32 v175, v182
	v_pk_fma_f32 v[116:117], v[160:161], v[116:117], v[162:163] op_sel_hi:[1,0,1] neg_lo:[0,0,1] neg_hi:[0,0,1]
	s_waitcnt lgkmcnt(1)
	v_and_b32_e32 v161, 0xff, v168
	s_waitcnt lgkmcnt(0)
	v_and_b32_e32 v160, 0xff, v170
	v_mul_lo_u32 v118, v118, v161
	v_mul_lo_u32 v160, v165, v160
	v_cvt_f32_i32_e32 v161, v160
	v_cvt_f32_i32_e32 v160, v118
	v_bfe_u32 v118, v170, 8, 8
	v_bfe_u32 v164, v168, 8, 8
	v_mul_lo_u32 v121, v121, v164
	v_mul_lo_u32 v118, v176, v118
	v_cvt_f32_i32_e32 v165, v118
	v_cvt_f32_i32_e32 v164, v121
	v_cvt_f32_f16_sdwa v183, v182 dst_sel:DWORD dst_unused:UNUSED_PAD src0_sel:WORD_1
	v_cvt_f32_f16_sdwa v182, v19 dst_sel:DWORD dst_unused:UNUSED_PAD src0_sel:WORD_1
	v_cvt_f32_ubyte0_e32 v163, v171
	v_cvt_f32_ubyte0_e32 v162, v169
	v_cvt_f32_f16_e32 v174, v19
	v_dot4c_i32_i8_e32 v185, v167, v7
	v_cvt_f32_ubyte1_e32 v167, v171
	v_cvt_f32_ubyte1_e32 v166, v169
	v_pk_fma_f32 v[162:163], v[108:109], v[162:163], 0 op_sel_hi:[0,1,0]
	v_pk_fma_f32 v[160:161], v[112:113], v[160:161], 0 op_sel_hi:[0,1,0]
	;; [unrolled: 1-line block ×4, first 2 shown]
	v_pk_mul_f32 v[162:163], v[162:163], v[182:183]
	v_add_u32_e32 v118, 0x2148, v136
	v_pk_fma_f32 v[160:161], v[160:161], v[174:175], v[162:163] neg_lo:[0,0,1] neg_hi:[0,0,1]
	ds_read2_b32 v[176:177], v136 offset0:58 offset1:59
	ds_read2_b32 v[178:179], v136 offset0:60 offset1:61
	;; [unrolled: 1-line block ×3, first 2 shown]
	v_pk_add_f32 v[46:47], v[46:47], v[160:161]
	ds_read2_b32 v[160:161], v118 offset1:1
	v_mov_b32_e32 v19, 0
	v_dot4c_i32_i8_e32 v19, v172, v14
	v_add_u32_e32 v118, 0x2150, v136
	v_add_u32_e32 v166, 0x2160, v136
	v_dot4c_i32_i8_e32 v19, v173, v15
	v_add_u32_e32 v121, 0x2158, v136
	ds_read2_b32 v[162:163], v118 offset1:1
	ds_read2_b32 v[164:165], v121 offset1:1
	;; [unrolled: 1-line block ×3, first 2 shown]
	s_waitcnt lgkmcnt(3)
	v_dot4c_i32_i8_e32 v19, v160, v16
	v_dot4c_i32_i8_e32 v19, v161, v17
	s_waitcnt lgkmcnt(2)
	v_dot4c_i32_i8_e32 v19, v162, v10
	v_dot4c_i32_i8_e32 v19, v163, v11
	;; [unrolled: 3-line block ×3, first 2 shown]
	v_bfe_u32 v118, v170, 16, 8
	v_bfe_u32 v121, v168, 16, 8
	v_mul_lo_u32 v121, v184, v121
	v_mul_lo_u32 v19, v19, v118
	v_cvt_f32_i32_e32 v161, v19
	v_cvt_f32_i32_e32 v160, v121
	v_mov_b32_e32 v118, v113
	v_mov_b32_e32 v19, 0
	v_dot4c_i32_i8_e32 v185, v176, v8
	v_pk_fma_f32 v[160:161], v[118:119], v[160:161], 0 op_sel_hi:[0,1,0]
	v_add_u32_e32 v118, 0x2168, v136
	ds_read2_b32 v[164:165], v118 offset1:1
	s_waitcnt lgkmcnt(1)
	v_dot4c_i32_i8_e32 v19, v166, v6
	v_add_u32_e32 v118, 0x2170, v136
	v_lshrrev_b32_e32 v186, 24, v168
	v_dot4c_i32_i8_e32 v185, v177, v9
	v_dot4c_i32_i8_e32 v19, v167, v7
	v_add_u32_e32 v121, 0x2178, v136
	v_add_u32_e32 v168, 0x41c0, v136
	ds_read2_b32 v[166:167], v118 offset1:1
	ds_read2_b32 v[172:173], v121 offset1:1
	ds_read2_b32 v[176:177], v168 offset1:1
	s_waitcnt lgkmcnt(3)
	v_dot4c_i32_i8_e32 v19, v164, v8
	v_dot4c_i32_i8_e32 v19, v165, v9
	;; [unrolled: 1-line block ×3, first 2 shown]
	s_waitcnt lgkmcnt(2)
	v_dot4c_i32_i8_e32 v19, v166, v2
	v_dot4c_i32_i8_e32 v185, v179, v3
	;; [unrolled: 1-line block ×4, first 2 shown]
	s_waitcnt lgkmcnt(1)
	v_dot4c_i32_i8_e32 v19, v172, v4
	v_lshrrev_b32_e32 v187, 24, v170
	v_dot4c_i32_i8_e32 v185, v181, v5
	v_dot4c_i32_i8_e32 v19, v173, v5
	v_cvt_f32_ubyte2_e32 v163, v171
	v_cvt_f32_ubyte2_e32 v162, v169
	v_mul_lo_u32 v118, v185, v186
	v_mul_lo_u32 v19, v19, v187
	v_cvt_f32_i32_e32 v165, v19
	v_cvt_f32_i32_e32 v164, v118
	v_mov_b32_e32 v118, v109
	v_pk_fma_f32 v[162:163], v[118:119], v[162:163], 0 op_sel_hi:[0,1,0]
	v_mov_b32_e32 v118, v111
	v_pk_fma_f32 v[160:161], v[118:119], v[164:165], v[160:161] op_sel_hi:[0,1,1]
	v_cvt_f32_ubyte3_e32 v165, v171
	v_cvt_f32_ubyte3_e32 v164, v169
	v_mov_b32_e32 v118, v115
	v_mov_b32_e32 v19, 0
	v_pk_fma_f32 v[162:163], v[118:119], v[164:165], v[162:163] op_sel_hi:[0,1,1]
	s_waitcnt lgkmcnt(0)
	v_dot4c_i32_i8_e32 v19, v176, v14
	v_add_u32_e32 v14, 0x41c8, v136
	v_pk_mul_f32 v[162:163], v[162:163], v[182:183]
	v_dot4c_i32_i8_e32 v19, v177, v15
	ds_read2_b32 v[14:15], v14 offset1:1
	v_pk_fma_f32 v[160:161], v[160:161], v[174:175], v[162:163] neg_lo:[0,0,1] neg_hi:[0,0,1]
	v_add_u32_e32 v118, 0x41d0, v136
	v_add_u32_e32 v164, 0x41e0, v136
	v_pk_add_f32 v[46:47], v[46:47], v[160:161]
	v_add_u32_e32 v121, 0x41d8, v136
	ds_read2_b32 v[160:161], v118 offset1:1
	ds_read2_b32 v[162:163], v121 offset1:1
	;; [unrolled: 1-line block ×3, first 2 shown]
	s_waitcnt lgkmcnt(3)
	v_dot4c_i32_i8_e32 v19, v14, v16
	v_dot4c_i32_i8_e32 v19, v15, v17
	v_mov_b32_e32 v16, 0
	s_waitcnt lgkmcnt(2)
	v_dot4c_i32_i8_e32 v19, v160, v10
	s_waitcnt lgkmcnt(0)
	v_dot4c_i32_i8_e32 v16, v164, v6
	v_add_u32_e32 v6, 0x41e8, v136
	v_dot4c_i32_i8_e32 v19, v161, v11
	v_dot4c_i32_i8_e32 v16, v165, v7
	ds_read2_b32 v[6:7], v6 offset1:1
	v_dot4c_i32_i8_e32 v19, v162, v12
	v_add_u32_e32 v12, 0x41f0, v136
	v_dot4c_i32_i8_e32 v19, v163, v13
	ds_read2_b32 v[12:13], v12 offset1:1
	v_add_u32_e32 v14, 0x41f8, v136
	ds_read2_b32 v[14:15], v14 offset1:1
	s_waitcnt lgkmcnt(2)
	v_dot4c_i32_i8_e32 v16, v6, v8
	v_dot4c_i32_i8_e32 v16, v7, v9
	s_waitcnt lgkmcnt(1)
	v_dot4c_i32_i8_e32 v16, v12, v2
	v_cvt_f32_i32_e32 v102, v102
	v_dot4c_i32_i8_e32 v16, v13, v3
	v_cvt_f32_i32_e32 v106, v106
	v_bfe_u32 v10, v104, 16, 8
	s_waitcnt lgkmcnt(0)
	v_dot4c_i32_i8_e32 v16, v14, v4
	v_lshrrev_b32_e32 v120, 24, v104
	v_mul_lo_u32 v10, v19, v10
	v_dot4c_i32_i8_e32 v16, v15, v5
	v_cvt_f32_f16_sdwa v5, v119 dst_sel:DWORD dst_unused:UNUSED_PAD src0_sel:WORD_1
	v_cvt_f32_ubyte0_e32 v103, v105
	v_cvt_f32_i32_e32 v10, v10
	v_mul_lo_u32 v2, v16, v120
	v_cvt_f32_f16_e32 v4, v119
	v_mov_b32_e32 v6, v112
	v_mov_b32_e32 v7, v108
	v_cvt_f32_ubyte1_e32 v107, v105
	v_cvt_f32_i32_e32 v2, v2
	v_pk_fma_f32 v[6:7], v[6:7], v[102:103], 0 op_sel_hi:[1,1,0]
	v_mov_b32_e32 v8, v110
	v_mov_b32_e32 v9, v114
	v_pk_fma_f32 v[6:7], v[8:9], v[106:107], v[6:7]
	v_cvt_f32_ubyte2_e32 v11, v105
	v_mul_f32_e32 v8, v7, v5
	v_mov_b32_e32 v108, v113
	v_cvt_f32_ubyte3_e32 v3, v105
	v_pk_fma_f32 v[6:7], v[6:7], v[4:5], v[8:9] op_sel_hi:[1,1,0] neg_lo:[0,0,1] neg_hi:[0,0,1]
	v_pk_fma_f32 v[8:9], v[108:109], v[10:11], 0 op_sel_hi:[1,1,0]
	v_mov_b32_e32 v114, v111
	v_pk_fma_f32 v[2:3], v[114:115], v[2:3], v[8:9]
	v_mov_b32_e32 v7, v116
	v_mul_f32_e32 v8, v3, v5
	v_pk_fma_f32 v[2:3], v[2:3], v[4:5], v[8:9] op_sel_hi:[1,1,0] neg_lo:[0,0,1] neg_hi:[0,0,1]
	v_pk_add_f32 v[4:5], v[86:87], v[6:7]
	v_mov_b32_e32 v3, v117
	v_pk_add_f32 v[86:87], v[4:5], v[2:3]
	s_barrier
.LBB213_5:                              ;   in Loop: Header=BB213_6 Depth=1
	s_add_i32 s23, s23, -1
	s_addk_i32 s14, 0x100
	v_add_u32_e32 v138, 8, v138
	v_add_u32_e32 v134, 8, v134
	;; [unrolled: 1-line block ×3, first 2 shown]
	v_lshl_add_u64 v[24:25], v[24:25], 0, s[8:9]
	v_lshl_add_u64 v[26:27], v[26:27], 0, s[8:9]
	;; [unrolled: 1-line block ×36, first 2 shown]
	s_cmp_eq_u32 s23, 0
	v_lshl_add_u64 v[100:101], v[100:101], 0, s[8:9]
	s_cbranch_scc1 .LBB213_17
.LBB213_6:                              ; =>This Inner Loop Header: Depth=1
	v_lshl_add_u64 v[2:3], v[26:27], 0, s[16:17]
	global_load_dword v12, v[2:3], off
	v_lshl_add_u64 v[2:3], v[24:25], 0, s[16:17]
	global_load_dword v13, v[2:3], off
	;; [unrolled: 2-line block ×12, first 2 shown]
	v_lshl_add_u64 v[2:3], v[52:53], 0, s[16:17]
	v_lshl_add_u64 v[4:5], v[50:51], 0, s[16:17]
	global_load_dword v107, v[2:3], off
	global_load_dword v108, v[4:5], off
	v_lshl_add_u64 v[6:7], v[56:57], 0, s[16:17]
	v_lshl_add_u64 v[8:9], v[54:55], 0, s[16:17]
	;; [unrolled: 1-line block ×5, first 2 shown]
	global_load_dword v6, v[6:7], off
	s_nop 0
	global_load_dword v7, v[8:9], off
	s_nop 0
	global_load_dword v8, v[2:3], off
	global_load_dword v9, v[10:11], off
	s_nop 0
	global_load_dword v4, v[4:5], off
	s_add_i32 s2, s14, 0xffffff80
	s_cmp_lt_i32 s2, s15
	s_waitcnt vmcnt(18)
	v_lshrrev_b32_e32 v3, 4, v12
	v_and_b32_e32 v2, 0xf0f0f0f, v12
	s_waitcnt vmcnt(17)
	v_ashrrev_i32_e32 v5, v122, v13
	v_ashrrev_i32_e32 v10, v123, v13
	s_waitcnt vmcnt(16)
	v_and_b32_e32 v11, 0xf0f0f0f, v14
	v_lshrrev_b32_e32 v12, 4, v14
	s_waitcnt vmcnt(15)
	v_ashrrev_i32_e32 v13, v122, v15
	v_ashrrev_i32_e32 v14, v123, v15
	s_waitcnt vmcnt(14)
	v_and_b32_e32 v15, 0xf0f0f0f, v16
	v_lshrrev_b32_e32 v16, 4, v16
	;; [unrolled: 6-line block ×3, first 2 shown]
	s_waitcnt vmcnt(11)
	v_ashrrev_i32_e32 v111, v122, v102
	v_ashrrev_i32_e32 v102, v123, v102
	v_and_b32_e32 v3, 0xf0f0f0f, v3
	v_lshlrev_b32_e32 v5, 4, v5
	v_lshlrev_b32_e32 v10, 4, v10
	s_waitcnt vmcnt(10)
	v_and_b32_e32 v112, 0xf0f0f0f, v103
	v_lshrrev_b32_e32 v103, 4, v103
	s_waitcnt vmcnt(9)
	v_ashrrev_i32_e32 v113, v122, v104
	v_ashrrev_i32_e32 v104, v123, v104
	v_and_b32_e32 v12, 0xf0f0f0f, v12
	v_lshlrev_b32_e32 v13, 4, v13
	v_lshlrev_b32_e32 v14, 4, v14
	v_and_b32_e32 v16, 0xf0f0f0f, v16
	v_lshlrev_b32_e32 v109, 4, v109
	v_lshlrev_b32_e32 v17, 4, v17
	;; [unrolled: 3-line block ×3, first 2 shown]
	v_and_or_b32 v2, v5, s24, v2
	v_and_or_b32 v3, v10, s24, v3
	v_and_b32_e32 v103, 0xf0f0f0f, v103
	v_lshlrev_b32_e32 v113, 4, v113
	v_lshlrev_b32_e32 v104, 4, v104
	v_and_or_b32 v5, v13, s24, v11
	v_and_or_b32 v10, v14, s24, v12
	;; [unrolled: 1-line block ×6, first 2 shown]
	ds_write2_b32 v124, v2, v3 offset1:8
	ds_write2_b32 v145, v5, v10 offset0:8 offset1:16
	ds_write2_b32 v146, v11, v12 offset0:16 offset1:24
	;; [unrolled: 1-line block ×3, first 2 shown]
	v_lshl_add_u64 v[2:3], v[62:63], 0, s[16:17]
	v_and_or_b32 v5, v113, s24, v112
	global_load_dword v10, v[2:3], off
	v_and_or_b32 v2, v104, s24, v103
	ds_write2_b32 v148, v5, v2 offset0:32 offset1:40
	s_waitcnt vmcnt(9)
	v_lshrrev_b32_e32 v2, 4, v105
	v_and_b32_e32 v11, 0xf0f0f0f, v2
	v_lshl_add_u64 v[2:3], v[68:69], 0, s[16:17]
	global_load_dword v12, v[2:3], off
	v_lshl_add_u64 v[2:3], v[66:67], 0, s[16:17]
	s_waitcnt vmcnt(9)
	v_ashrrev_i32_e32 v13, v122, v106
	global_load_dword v14, v[2:3], off
	v_ashrrev_i32_e32 v3, v123, v106
	v_and_b32_e32 v5, 0xf0f0f0f, v105
	v_lshlrev_b32_e32 v2, 4, v13
	v_lshlrev_b32_e32 v3, 4, v3
	v_and_or_b32 v5, v2, s24, v5
	v_and_or_b32 v11, v3, s24, v11
	v_lshl_add_u64 v[2:3], v[72:73], 0, s[16:17]
	global_load_dword v13, v[2:3], off
	v_lshl_add_u64 v[2:3], v[70:71], 0, s[16:17]
	ds_write2_b32 v149, v5, v11 offset0:40 offset1:48
	global_load_dword v5, v[2:3], off
	s_waitcnt vmcnt(11)
	v_lshrrev_b32_e32 v2, 4, v107
	v_and_b32_e32 v15, 0xf0f0f0f, v2
	s_waitcnt vmcnt(10)
	v_ashrrev_i32_e32 v2, v122, v108
	v_lshlrev_b32_e32 v16, 4, v2
	v_lshl_add_u64 v[2:3], v[76:77], 0, s[16:17]
	global_load_dword v17, v[2:3], off
	v_ashrrev_i32_e32 v19, v123, v108
	v_lshl_add_u64 v[2:3], v[74:75], 0, s[16:17]
	v_and_b32_e32 v11, 0xf0f0f0f, v107
	global_load_dword v102, v[2:3], off
	v_lshlrev_b32_e32 v2, 4, v19
	v_and_or_b32 v3, v16, s24, v11
	v_and_or_b32 v2, v2, s24, v15
	ds_write2_b32 v150, v3, v2 offset0:48 offset1:56
	v_lshl_add_u64 v[2:3], v[80:81], 0, s[16:17]
	global_load_dword v15, v[2:3], off
	v_lshl_add_u64 v[2:3], v[78:79], 0, s[16:17]
	global_load_dword v16, v[2:3], off
	s_waitcnt vmcnt(12)
	v_ashrrev_i32_e32 v2, v122, v7
	v_lshlrev_b32_e32 v19, 4, v2
	v_ashrrev_i32_e32 v2, v123, v7
	v_and_b32_e32 v11, 0xf0f0f0f, v6
	v_lshrrev_b32_e32 v6, 4, v6
	v_lshlrev_b32_e32 v7, 4, v2
	v_lshl_add_u64 v[2:3], v[84:85], 0, s[16:17]
	v_and_b32_e32 v6, 0xf0f0f0f, v6
	global_load_dword v103, v[2:3], off
	v_lshl_add_u64 v[2:3], v[82:83], 0, s[16:17]
	v_and_or_b32 v11, v19, s24, v11
	global_load_dword v19, v[2:3], off
	v_and_or_b32 v2, v7, s24, v6
	ds_write2_b32 v151, v11, v2 offset0:56 offset1:64
	s_waitcnt vmcnt(13)
	v_lshrrev_b32_e32 v2, 4, v8
	v_and_b32_e32 v7, 0xf0f0f0f, v2
	v_lshl_add_u64 v[2:3], v[90:91], 0, s[16:17]
	v_and_b32_e32 v6, 0xf0f0f0f, v8
	global_load_dword v8, v[2:3], off
	s_waitcnt vmcnt(13)
	v_ashrrev_i32_e32 v11, v122, v9
	v_lshl_add_u64 v[2:3], v[88:89], 0, s[16:17]
	global_load_dword v104, v[2:3], off
	v_lshlrev_b32_e32 v2, 4, v11
	v_ashrrev_i32_e32 v3, v123, v9
	v_lshlrev_b32_e32 v9, 4, v3
	v_and_or_b32 v6, v2, s24, v6
	v_lshl_add_u64 v[2:3], v[92:93], 0, s[16:17]
	global_load_dword v11, v[2:3], off
	v_lshl_add_u64 v[2:3], v[96:97], 0, s[16:17]
	global_load_dword v105, v[2:3], off
	;; [unrolled: 2-line block ×3, first 2 shown]
	v_lshl_add_u64 v[2:3], v[100:101], 0, s[16:17]
	v_and_or_b32 v7, v9, s24, v7
	global_load_dword v9, v[2:3], off
	v_lshl_add_u64 v[2:3], v[98:99], 0, s[16:17]
	global_load_dword v2, v[2:3], off
	ds_write2_b32 v152, v6, v7 offset0:64 offset1:72
	s_waitcnt vmcnt(18)
	v_and_b32_e32 v3, 0xf0f0f0f, v4
	v_lshrrev_b32_e32 v4, 4, v4
	v_and_b32_e32 v4, 0xf0f0f0f, v4
	s_waitcnt vmcnt(17)
	v_ashrrev_i32_e32 v6, v122, v10
	v_ashrrev_i32_e32 v7, v123, v10
	v_lshlrev_b32_e32 v6, 4, v6
	v_lshlrev_b32_e32 v7, 4, v7
	v_and_or_b32 v3, v6, s24, v3
	v_and_or_b32 v4, v7, s24, v4
	ds_write2_b32 v153, v3, v4 offset0:72 offset1:80
	s_waitcnt vmcnt(16)
	v_lshrrev_b32_e32 v4, 4, v12
	v_and_b32_e32 v3, 0xf0f0f0f, v12
	s_waitcnt vmcnt(15)
	v_ashrrev_i32_e32 v6, v122, v14
	v_ashrrev_i32_e32 v7, v123, v14
	v_and_b32_e32 v4, 0xf0f0f0f, v4
	v_lshlrev_b32_e32 v6, 4, v6
	v_lshlrev_b32_e32 v7, 4, v7
	v_and_or_b32 v3, v6, s24, v3
	v_and_or_b32 v4, v7, s24, v4
	ds_write2_b32 v154, v3, v4 offset0:80 offset1:88
	s_waitcnt vmcnt(14)
	v_lshrrev_b32_e32 v4, 4, v13
	v_and_b32_e32 v3, 0xf0f0f0f, v13
	v_and_b32_e32 v4, 0xf0f0f0f, v4
	s_waitcnt vmcnt(13)
	v_ashrrev_i32_e32 v6, v122, v5
	v_ashrrev_i32_e32 v5, v123, v5
	v_lshlrev_b32_e32 v6, 4, v6
	v_lshlrev_b32_e32 v5, 4, v5
	v_and_or_b32 v3, v6, s24, v3
	v_and_or_b32 v4, v5, s24, v4
	ds_write2_b32 v155, v3, v4 offset0:88 offset1:96
	s_waitcnt vmcnt(12)
	v_lshrrev_b32_e32 v4, 4, v17
	v_and_b32_e32 v3, 0xf0f0f0f, v17
	v_and_b32_e32 v4, 0xf0f0f0f, v4
	s_waitcnt vmcnt(11)
	v_ashrrev_i32_e32 v5, v122, v102
	v_ashrrev_i32_e32 v6, v123, v102
	v_lshlrev_b32_e32 v5, 4, v5
	v_lshlrev_b32_e32 v6, 4, v6
	v_and_or_b32 v3, v5, s24, v3
	v_and_or_b32 v4, v6, s24, v4
	ds_write2_b32 v156, v3, v4 offset0:96 offset1:104
	s_waitcnt vmcnt(10)
	v_lshrrev_b32_e32 v4, 4, v15
	s_waitcnt vmcnt(9)
	v_ashrrev_i32_e32 v5, v122, v16
	v_ashrrev_i32_e32 v6, v123, v16
	v_and_b32_e32 v3, 0xf0f0f0f, v15
	v_and_b32_e32 v4, 0xf0f0f0f, v4
	v_lshlrev_b32_e32 v5, 4, v5
	v_lshlrev_b32_e32 v6, 4, v6
	v_and_or_b32 v3, v5, s24, v3
	v_and_or_b32 v4, v6, s24, v4
	ds_write2_b32 v157, v3, v4 offset0:104 offset1:112
	s_waitcnt vmcnt(8)
	v_lshrrev_b32_e32 v4, 4, v103
	v_and_b32_e32 v3, 0xf0f0f0f, v103
	v_and_b32_e32 v4, 0xf0f0f0f, v4
	s_waitcnt vmcnt(7)
	v_ashrrev_i32_e32 v5, v122, v19
	v_ashrrev_i32_e32 v6, v123, v19
	v_lshlrev_b32_e32 v5, 4, v5
	v_lshlrev_b32_e32 v6, 4, v6
	v_and_or_b32 v3, v5, s24, v3
	v_and_or_b32 v4, v6, s24, v4
	ds_write2_b32 v158, v3, v4 offset0:112 offset1:120
	s_waitcnt vmcnt(6)
	v_lshrrev_b32_e32 v4, 4, v8
	v_and_b32_e32 v3, 0xf0f0f0f, v8
	v_and_b32_e32 v4, 0xf0f0f0f, v4
	s_waitcnt vmcnt(5)
	v_ashrrev_i32_e32 v5, v122, v104
	v_ashrrev_i32_e32 v6, v123, v104
	v_lshlrev_b32_e32 v5, 4, v5
	v_lshlrev_b32_e32 v6, 4, v6
	v_and_or_b32 v3, v5, s24, v3
	v_and_or_b32 v4, v6, s24, v4
	ds_write2_b32 v159, v3, v4 offset0:120 offset1:128
	s_waitcnt vmcnt(4)
	ds_write_b32 v125, v11
	s_waitcnt vmcnt(3)
	v_ashrrev_i32_e32 v3, v126, v105
	v_and_b32_e32 v3, 0xf0f0f0f, v3
	s_waitcnt vmcnt(2)
	v_ashrrev_i32_e32 v4, v127, v106
	v_and_or_b32 v3, v4, s25, v3
	ds_write_b32 v128, v3
	s_waitcnt vmcnt(1)
	v_ashrrev_i32_e32 v3, v126, v9
	v_and_b32_e32 v3, 0xf0f0f0f, v3
	s_waitcnt vmcnt(0)
	v_ashrrev_i32_e32 v2, v127, v2
	v_and_or_b32 v2, v2, s25, v3
	ds_write_b32 v129, v2
	s_cbranch_scc0 .LBB213_5
; %bb.7:                                ;   in Loop: Header=BB213_6 Depth=1
	v_cmp_gt_i32_e64 s[2:3], s5, v134
	s_and_b64 s[20:21], s[0:1], s[2:3]
	s_and_saveexec_b64 s[2:3], s[20:21]
	s_cbranch_execz .LBB213_9
; %bb.8:                                ;   in Loop: Header=BB213_6 Depth=1
	v_add_u32_e32 v2, v22, v134
	v_mad_i64_i32 v[2:3], s[20:21], v2, 36, v[20:21]
	global_load_dword v2, v[2:3], off offset:4
	s_waitcnt vmcnt(0)
	ds_write_b32 v132, v2
.LBB213_9:                              ;   in Loop: Header=BB213_6 Depth=1
	s_or_b64 exec, exec, s[2:3]
	v_cmp_gt_i32_e64 s[2:3], s5, v18
	s_and_b64 s[20:21], s[18:19], s[2:3]
	s_and_saveexec_b64 s[2:3], s[20:21]
	s_cbranch_execz .LBB213_11
; %bb.10:                               ;   in Loop: Header=BB213_6 Depth=1
	v_add_u32_e32 v2, v22, v18
	v_mad_i64_i32 v[2:3], s[20:21], v2, 36, s[10:11]
	global_load_dword v2, v[2:3], off
	v_add_u32_e32 v3, v130, v133
	s_waitcnt vmcnt(0)
	ds_write_b32 v3, v2
.LBB213_11:                             ;   in Loop: Header=BB213_6 Depth=1
	s_or_b64 exec, exec, s[2:3]
	s_waitcnt lgkmcnt(0)
	s_barrier
	ds_read_b128 v[14:17], v131
	ds_read_b128 v[10:13], v131 offset:16
	ds_read2_b32 v[102:103], v136 offset1:1
	ds_read_b128 v[6:9], v131 offset:32
	ds_read_b128 v[2:5], v131 offset:48
	;; [unrolled: 1-line block ×3, first 2 shown]
	ds_read2_b32 v[104:105], v136 offset0:2 offset1:3
	v_mov_b32_e32 v19, 0
	s_waitcnt lgkmcnt(4)
	v_dot4c_i32_i8_e32 v19, v102, v14
	v_dot4c_i32_i8_e32 v19, v103, v15
	ds_read2_b32 v[102:103], v136 offset0:4 offset1:5
	ds_read2_b32 v[106:107], v136 offset0:6 offset1:7
	;; [unrolled: 1-line block ×3, first 2 shown]
	s_waitcnt lgkmcnt(3)
	v_dot4c_i32_i8_e32 v19, v104, v16
	v_dot4c_i32_i8_e32 v19, v105, v17
	s_waitcnt lgkmcnt(2)
	v_dot4c_i32_i8_e32 v19, v102, v10
	v_dot4c_i32_i8_e32 v19, v103, v11
	ds_read2_b32 v[102:103], v136 offset0:10 offset1:11
	v_mov_b32_e32 v179, 0
	s_waitcnt lgkmcnt(1)
	v_dot4c_i32_i8_e32 v179, v108, v6
	v_dot4c_i32_i8_e32 v179, v109, v7
	;; [unrolled: 1-line block ×3, first 2 shown]
	s_waitcnt lgkmcnt(0)
	v_dot4c_i32_i8_e32 v179, v102, v8
	v_add_u32_e32 v102, 0x2080, v136
	ds_read2_b32 v[104:105], v135 offset1:2
	v_dot4c_i32_i8_e32 v19, v107, v13
	ds_read2_b32 v[106:107], v136 offset0:12 offset1:13
	ds_read2_b32 v[108:109], v136 offset0:14 offset1:15
	;; [unrolled: 1-line block ×3, first 2 shown]
	v_dot4c_i32_i8_e32 v179, v103, v9
	ds_read2_b32 v[102:103], v102 offset1:1
	v_mov_b32_e32 v180, 0
	ds_read_b32 v181, v140 offset:128
	ds_read_b32 v160, v142 offset:256
	;; [unrolled: 1-line block ×3, first 2 shown]
	s_waitcnt lgkmcnt(6)
	v_dot4c_i32_i8_e32 v179, v106, v2
	v_dot4c_i32_i8_e32 v179, v107, v3
	s_waitcnt lgkmcnt(3)
	v_dot4c_i32_i8_e32 v180, v102, v14
	v_add_u32_e32 v102, 0x2088, v136
	v_dot4c_i32_i8_e32 v180, v103, v15
	ds_read2_b32 v[102:103], v102 offset1:1
	v_dot4c_i32_i8_e32 v179, v108, v4
	v_add_u32_e32 v106, 0x2090, v136
	v_add_u32_e32 v108, 0x2098, v136
	v_dot4c_i32_i8_e32 v179, v109, v5
	v_add_u32_e32 v110, 0x20a0, v136
	ds_read2_b32 v[106:107], v106 offset1:1
	ds_read2_b32 v[108:109], v108 offset1:1
	;; [unrolled: 1-line block ×3, first 2 shown]
	s_waitcnt lgkmcnt(3)
	v_dot4c_i32_i8_e32 v180, v102, v16
	v_add_u32_e32 v102, 0x20a8, v136
	v_dot4c_i32_i8_e32 v180, v103, v17
	ds_read2_b32 v[102:103], v102 offset1:1
	s_waitcnt lgkmcnt(3)
	v_dot4c_i32_i8_e32 v180, v106, v10
	v_dot4c_i32_i8_e32 v180, v107, v11
	v_mov_b32_e32 v184, 0
	s_waitcnt lgkmcnt(2)
	v_dot4c_i32_i8_e32 v180, v108, v12
	s_waitcnt lgkmcnt(1)
	v_dot4c_i32_i8_e32 v184, v114, v6
	v_add_u32_e32 v106, 0x20b0, v136
	v_add_u32_e32 v108, 0x20b8, v136
	;; [unrolled: 1-line block ×3, first 2 shown]
	ds_read2_b32 v[110:111], v139 offset1:2
	v_dot4c_i32_i8_e32 v180, v109, v13
	v_dot4c_i32_i8_e32 v184, v115, v7
	ds_read2_b32 v[106:107], v106 offset1:1
	ds_read2_b32 v[108:109], v108 offset1:1
	;; [unrolled: 1-line block ×3, first 2 shown]
	s_waitcnt lgkmcnt(4)
	v_dot4c_i32_i8_e32 v184, v102, v8
	v_add_u32_e32 v102, 0x4108, v136
	v_dot4c_i32_i8_e32 v184, v103, v9
	ds_read2_b32 v[102:103], v102 offset1:1
	s_waitcnt lgkmcnt(3)
	v_dot4c_i32_i8_e32 v184, v106, v2
	v_dot4c_i32_i8_e32 v184, v107, v3
	v_mov_b32_e32 v118, 0
	s_waitcnt lgkmcnt(2)
	v_dot4c_i32_i8_e32 v184, v108, v4
	s_waitcnt lgkmcnt(1)
	v_dot4c_i32_i8_e32 v118, v114, v14
	v_add_u32_e32 v106, 0x4110, v136
	v_add_u32_e32 v116, 0x4120, v136
	v_dot4c_i32_i8_e32 v184, v109, v5
	v_dot4c_i32_i8_e32 v118, v115, v15
	v_add_u32_e32 v107, 0x4118, v136
	ds_read2_b32 v[108:109], v106 offset1:1
	ds_read2_b32 v[114:115], v107 offset1:1
	;; [unrolled: 1-line block ×3, first 2 shown]
	s_waitcnt lgkmcnt(3)
	v_dot4c_i32_i8_e32 v118, v102, v16
	ds_read2_b32 v[106:107], v141 offset1:2
	v_dot4c_i32_i8_e32 v118, v103, v17
	s_waitcnt lgkmcnt(3)
	v_dot4c_i32_i8_e32 v118, v108, v10
	v_add_u32_e32 v108, 0x4128, v136
	v_dot4c_i32_i8_e32 v118, v109, v11
	ds_read2_b32 v[108:109], v108 offset1:1
	s_waitcnt lgkmcnt(3)
	v_dot4c_i32_i8_e32 v118, v114, v12
	v_dot4c_i32_i8_e32 v118, v115, v13
	s_waitcnt lgkmcnt(1)
	v_and_b32_e32 v102, 0xff, v106
	v_mov_b32_e32 v120, 0
	v_dot4c_i32_i8_e32 v120, v116, v6
	v_mul_lo_u32 v102, v118, v102
	v_add_u32_e32 v114, 0x4130, v136
	v_add_u32_e32 v116, 0x4138, v136
	;; [unrolled: 1-line block ×3, first 2 shown]
	v_dot4c_i32_i8_e32 v120, v117, v7
	ds_read2_b32 v[114:115], v114 offset1:1
	ds_read2_b32 v[116:117], v116 offset1:1
	;; [unrolled: 1-line block ×3, first 2 shown]
	s_waitcnt lgkmcnt(3)
	v_dot4c_i32_i8_e32 v120, v108, v8
	v_dot4c_i32_i8_e32 v120, v109, v9
	s_waitcnt lgkmcnt(2)
	v_dot4c_i32_i8_e32 v120, v114, v2
	v_dot4c_i32_i8_e32 v120, v115, v3
	v_mov_b32_e32 v167, 0
	s_waitcnt lgkmcnt(1)
	v_dot4c_i32_i8_e32 v120, v116, v4
	s_waitcnt lgkmcnt(0)
	v_dot4c_i32_i8_e32 v167, v118, v14
	v_add_u32_e32 v14, 0x6188, v136
	v_add_u32_e32 v114, 0x6190, v136
	;; [unrolled: 1-line block ×4, first 2 shown]
	v_dot4c_i32_i8_e32 v120, v117, v5
	v_dot4c_i32_i8_e32 v167, v119, v15
	ds_read2_b32 v[14:15], v14 offset1:1
	ds_read2_b32 v[114:115], v114 offset1:1
	;; [unrolled: 1-line block ×4, first 2 shown]
	v_mov_b32_e32 v186, 0
	v_mov_b32_e32 v187, 0
	v_bfe_u32 v108, v106, 8, 8
	s_waitcnt lgkmcnt(3)
	v_dot4c_i32_i8_e32 v167, v14, v16
	s_waitcnt lgkmcnt(0)
	v_dot4c_i32_i8_e32 v186, v118, v6
	v_add_u32_e32 v6, 0x61a8, v136
	v_dot4c_i32_i8_e32 v167, v15, v17
	v_dot4c_i32_i8_e32 v186, v119, v7
	ds_read2_b32 v[6:7], v6 offset1:1
	v_dot4c_i32_i8_e32 v167, v114, v10
	v_dot4c_i32_i8_e32 v167, v115, v11
	;; [unrolled: 1-line block ×3, first 2 shown]
	v_add_u32_e32 v10, 0x61b0, v136
	v_add_u32_e32 v12, 0x61b8, v136
	v_dot4c_i32_i8_e32 v167, v117, v13
	v_add_u32_e32 v14, 0x61c0, v136
	ds_read2_b32 v[10:11], v10 offset1:1
	ds_read2_b32 v[12:13], v12 offset1:1
	;; [unrolled: 1-line block ×3, first 2 shown]
	s_waitcnt lgkmcnt(3)
	v_dot4c_i32_i8_e32 v186, v6, v8
	v_dot4c_i32_i8_e32 v186, v7, v9
	s_waitcnt lgkmcnt(2)
	v_dot4c_i32_i8_e32 v186, v10, v2
	v_dot4c_i32_i8_e32 v186, v11, v3
	;; [unrolled: 3-line block ×3, first 2 shown]
	ds_read_b128 v[14:17], v131 offset:64
	ds_read_b128 v[10:13], v131 offset:80
	;; [unrolled: 1-line block ×4, first 2 shown]
	ds_read2_b32 v[114:115], v136 offset0:18 offset1:19
	s_waitcnt lgkmcnt(4)
	v_dot4c_i32_i8_e32 v187, v112, v14
	v_dot4c_i32_i8_e32 v187, v113, v15
	ds_read2_b32 v[112:113], v136 offset0:20 offset1:21
	ds_read2_b32 v[116:117], v136 offset0:22 offset1:23
	;; [unrolled: 1-line block ×3, first 2 shown]
	v_mul_lo_u32 v108, v120, v108
	s_waitcnt lgkmcnt(3)
	v_dot4c_i32_i8_e32 v187, v114, v16
	v_mov_b32_e32 v114, 0
	v_dot4c_i32_i8_e32 v114, v118, v14
	v_add_u32_e32 v118, 0x61c8, v136
	v_dot4c_i32_i8_e32 v187, v115, v17
	v_dot4c_i32_i8_e32 v114, v119, v15
	ds_read2_b32 v[118:119], v118 offset1:1
	s_waitcnt lgkmcnt(3)
	v_dot4c_i32_i8_e32 v187, v112, v10
	v_dot4c_i32_i8_e32 v187, v113, v11
	v_cvt_f32_f16_e32 v120, v121
	v_cvt_f32_f16_sdwa v166, v121 dst_sel:DWORD dst_unused:UNUSED_PAD src0_sel:WORD_1
	s_waitcnt lgkmcnt(2)
	v_dot4c_i32_i8_e32 v187, v116, v12
	v_add_u32_e32 v121, 0x61d0, v136
	v_dot4c_i32_i8_e32 v187, v117, v13
	v_cvt_f32_f16_e32 v117, v164
	v_cvt_f32_f16_e32 v116, v162
	v_cvt_f32_f16_sdwa v113, v164 dst_sel:DWORD dst_unused:UNUSED_PAD src0_sel:WORD_1
	v_cvt_f32_f16_sdwa v112, v162 dst_sel:DWORD dst_unused:UNUSED_PAD src0_sel:WORD_1
	v_add_u32_e32 v162, 0x61d8, v136
	v_add_u32_e32 v164, 0x61e0, v136
	ds_read2_b32 v[170:171], v121 offset1:1
	ds_read2_b32 v[172:173], v162 offset1:1
	;; [unrolled: 1-line block ×3, first 2 shown]
	s_waitcnt lgkmcnt(3)
	v_dot4c_i32_i8_e32 v114, v118, v16
	ds_read2_b32 v[176:177], v143 offset1:2
	v_dot4c_i32_i8_e32 v114, v119, v17
	s_waitcnt lgkmcnt(3)
	v_dot4c_i32_i8_e32 v114, v170, v10
	v_dot4c_i32_i8_e32 v114, v171, v11
	s_waitcnt lgkmcnt(2)
	v_dot4c_i32_i8_e32 v114, v172, v12
	v_dot4c_i32_i8_e32 v114, v173, v13
	s_waitcnt lgkmcnt(0)
	v_and_b32_e32 v118, 0xff, v176
	v_bfe_u32 v119, v176, 16, 8
	v_mul_lo_u32 v118, v167, v118
	v_mul_lo_u32 v114, v114, v119
	v_add_u32_e32 v164, 0x61e8, v136
	v_cvt_f32_f16_e32 v115, v165
	v_cvt_f32_i32_e32 v171, v114
	v_cvt_f32_i32_e32 v170, v118
	v_cvt_f32_f16_sdwa v119, v165 dst_sel:DWORD dst_unused:UNUSED_PAD src0_sel:WORD_1
	ds_read2_b32 v[164:165], v164 offset1:1
	v_mov_b32_e32 v121, 0
	v_mov_b32_e32 v188, 0
	v_dot4c_i32_i8_e32 v121, v174, v6
	v_add_u32_e32 v167, 0x61f0, v136
	v_add_u32_e32 v174, 0x20c0, v136
	v_dot4c_i32_i8_e32 v188, v168, v6
	v_cvt_f32_f16_e32 v114, v163
	v_cvt_f32_f16_sdwa v118, v163 dst_sel:DWORD dst_unused:UNUSED_PAD src0_sel:WORD_1
	v_pk_fma_f32 v[162:163], v[116:117], v[170:171], 0 op_sel_hi:[1,1,0]
	v_dot4c_i32_i8_e32 v121, v175, v7
	v_add_u32_e32 v168, 0x61f8, v136
	ds_read2_b32 v[170:171], v167 offset1:1
	ds_read2_b32 v[172:173], v168 offset1:1
	;; [unrolled: 1-line block ×3, first 2 shown]
	s_waitcnt lgkmcnt(3)
	v_dot4c_i32_i8_e32 v121, v164, v8
	v_dot4c_i32_i8_e32 v121, v165, v9
	s_waitcnt lgkmcnt(2)
	v_dot4c_i32_i8_e32 v121, v170, v2
	v_dot4c_i32_i8_e32 v121, v171, v3
	;; [unrolled: 3-line block ×3, first 2 shown]
	v_lshrrev_b32_e32 v164, 24, v176
	v_bfe_u32 v165, v176, 8, 8
	v_mul_lo_u32 v167, v186, v165
	v_mul_lo_u32 v121, v121, v164
	v_cvt_f32_i32_e32 v165, v121
	v_cvt_f32_i32_e32 v164, v167
	v_cvt_f32_ubyte2_e32 v171, v177
	v_cvt_f32_ubyte0_e32 v170, v177
	v_pk_fma_f32 v[170:171], v[112:113], v[170:171], 0 op_sel_hi:[1,1,0]
	v_pk_fma_f32 v[162:163], v[114:115], v[164:165], v[162:163]
	v_cvt_f32_ubyte3_e32 v165, v177
	v_cvt_f32_ubyte1_e32 v164, v177
	v_pk_fma_f32 v[164:165], v[118:119], v[164:165], v[170:171]
	v_and_b32_e32 v178, 0xff, v104
	v_pk_mul_f32 v[164:165], v[164:165], v[166:167] op_sel_hi:[1,0]
	v_and_b32_e32 v183, 0xff, v110
	v_pk_fma_f32 v[120:121], v[162:163], v[120:121], v[164:165] op_sel_hi:[1,0,1] neg_lo:[0,0,1] neg_hi:[0,0,1]
	ds_read2_b32 v[162:163], v136 offset0:26 offset1:27
	v_dot4c_i32_i8_e32 v188, v169, v7
	ds_read_b32 v186, v137
	ds_read2_b32 v[164:165], v136 offset0:28 offset1:29
	ds_read2_b32 v[166:167], v136 offset0:30 offset1:31
	v_mul_lo_u32 v19, v19, v178
	v_cvt_f32_i32_e32 v168, v19
	s_waitcnt lgkmcnt(3)
	v_dot4c_i32_i8_e32 v188, v162, v8
	v_mul_lo_u32 v162, v180, v183
	v_cvt_f32_i32_e32 v169, v162
	v_bfe_u32 v19, v110, 8, 8
	v_bfe_u32 v162, v104, 8, 8
	v_mul_lo_u32 v162, v179, v162
	v_mul_lo_u32 v19, v184, v19
	v_cvt_f32_i32_e32 v173, v19
	v_cvt_f32_i32_e32 v172, v162
	v_cvt_f32_f16_e32 v179, v181
	v_cvt_f32_f16_sdwa v181, v181 dst_sel:DWORD dst_unused:UNUSED_PAD src0_sel:WORD_1
	s_waitcnt lgkmcnt(2)
	v_cvt_f32_f16_sdwa v180, v186 dst_sel:DWORD dst_unused:UNUSED_PAD src0_sel:WORD_1
	v_cvt_f32_ubyte0_e32 v171, v111
	v_cvt_f32_ubyte0_e32 v170, v105
	v_cvt_f32_f16_e32 v178, v186
	v_cvt_f32_ubyte1_e32 v177, v111
	v_cvt_f32_ubyte1_e32 v176, v105
	v_pk_fma_f32 v[170:171], v[112:113], v[170:171], 0 op_sel_hi:[0,1,0]
	v_add_u32_e32 v162, 0x20c8, v136
	v_pk_fma_f32 v[168:169], v[116:117], v[168:169], 0 op_sel_hi:[0,1,0]
	v_pk_fma_f32 v[170:171], v[118:119], v[176:177], v[170:171] op_sel_hi:[0,1,1]
	v_dot4c_i32_i8_e32 v188, v163, v9
	ds_read2_b32 v[162:163], v162 offset1:1
	v_pk_fma_f32 v[168:169], v[114:115], v[172:173], v[168:169] op_sel_hi:[0,1,1]
	v_pk_mul_f32 v[170:171], v[170:171], v[180:181]
	v_mov_b32_e32 v19, 0
	v_pk_fma_f32 v[168:169], v[168:169], v[178:179], v[170:171] neg_lo:[0,0,1] neg_hi:[0,0,1]
	s_waitcnt lgkmcnt(2)
	v_dot4c_i32_i8_e32 v188, v164, v2
	v_pk_add_f32 v[46:47], v[46:47], v[168:169]
	v_dot4c_i32_i8_e32 v19, v174, v14
	v_add_u32_e32 v164, 0x20d0, v136
	v_add_u32_e32 v168, 0x20d8, v136
	;; [unrolled: 1-line block ×3, first 2 shown]
	v_dot4c_i32_i8_e32 v188, v165, v3
	v_dot4c_i32_i8_e32 v19, v175, v15
	ds_read2_b32 v[164:165], v164 offset1:1
	ds_read2_b32 v[168:169], v168 offset1:1
	;; [unrolled: 1-line block ×3, first 2 shown]
	s_waitcnt lgkmcnt(3)
	v_dot4c_i32_i8_e32 v19, v162, v16
	v_dot4c_i32_i8_e32 v19, v163, v17
	s_waitcnt lgkmcnt(2)
	v_dot4c_i32_i8_e32 v19, v164, v10
	v_dot4c_i32_i8_e32 v19, v165, v11
	s_waitcnt lgkmcnt(1)
	v_dot4c_i32_i8_e32 v19, v168, v12
	v_lshrrev_b32_e32 v161, 24, v104
	v_lshrrev_b32_e32 v182, 24, v110
	v_dot4c_i32_i8_e32 v19, v169, v13
	v_bfe_u32 v110, v110, 16, 8
	v_bfe_u32 v104, v104, 16, 8
	v_mul_lo_u32 v104, v187, v104
	v_mul_lo_u32 v19, v19, v110
	v_cvt_f32_i32_e32 v163, v19
	v_cvt_f32_i32_e32 v162, v104
	v_mov_b32_e32 v104, v117
	v_dot4c_i32_i8_e32 v188, v166, v4
	v_dot4c_i32_i8_e32 v188, v167, v5
	v_pk_fma_f32 v[162:163], v[104:105], v[162:163], 0 op_sel_hi:[0,1,0]
	v_add_u32_e32 v104, 0x20e8, v136
	ds_read2_b32 v[166:167], v104 offset1:1
	v_mov_b32_e32 v19, 0
	s_waitcnt lgkmcnt(1)
	v_dot4c_i32_i8_e32 v19, v170, v6
	v_add_u32_e32 v104, 0x20f0, v136
	v_add_u32_e32 v172, 0x4140, v136
	v_dot4c_i32_i8_e32 v19, v171, v7
	v_add_u32_e32 v110, 0x20f8, v136
	ds_read2_b32 v[168:169], v104 offset1:1
	ds_read2_b32 v[170:171], v110 offset1:1
	;; [unrolled: 1-line block ×3, first 2 shown]
	s_waitcnt lgkmcnt(3)
	v_dot4c_i32_i8_e32 v19, v166, v8
	v_dot4c_i32_i8_e32 v19, v167, v9
	s_waitcnt lgkmcnt(2)
	v_dot4c_i32_i8_e32 v19, v168, v2
	v_dot4c_i32_i8_e32 v19, v169, v3
	;; [unrolled: 3-line block ×3, first 2 shown]
	v_mul_lo_u32 v104, v188, v161
	v_cvt_f32_i32_e32 v166, v104
	v_cvt_f32_ubyte2_e32 v165, v111
	v_mul_lo_u32 v19, v19, v182
	v_cvt_f32_i32_e32 v167, v19
	v_cvt_f32_ubyte2_e32 v164, v105
	v_mov_b32_e32 v104, v113
	v_pk_fma_f32 v[164:165], v[104:105], v[164:165], 0 op_sel_hi:[0,1,0]
	v_mov_b32_e32 v104, v115
	v_pk_fma_f32 v[162:163], v[104:105], v[166:167], v[162:163] op_sel_hi:[0,1,1]
	v_cvt_f32_ubyte3_e32 v111, v111
	v_cvt_f32_ubyte3_e32 v110, v105
	v_mov_b32_e32 v104, v119
	v_pk_fma_f32 v[104:105], v[104:105], v[110:111], v[164:165] op_sel_hi:[0,1,1]
	v_mov_b32_e32 v19, 0
	v_pk_mul_f32 v[104:105], v[104:105], v[180:181]
	s_waitcnt lgkmcnt(0)
	v_dot4c_i32_i8_e32 v19, v172, v14
	v_add_u32_e32 v14, 0x4148, v136
	v_pk_fma_f32 v[104:105], v[162:163], v[178:179], v[104:105] neg_lo:[0,0,1] neg_hi:[0,0,1]
	v_dot4c_i32_i8_e32 v19, v173, v15
	ds_read2_b32 v[14:15], v14 offset1:1
	v_pk_add_f32 v[46:47], v[46:47], v[104:105]
	v_add_u32_e32 v104, 0x4150, v136
	v_add_u32_e32 v110, 0x4158, v136
	;; [unrolled: 1-line block ×3, first 2 shown]
	ds_read2_b32 v[104:105], v104 offset1:1
	ds_read2_b32 v[110:111], v110 offset1:1
	;; [unrolled: 1-line block ×3, first 2 shown]
	s_waitcnt lgkmcnt(3)
	v_dot4c_i32_i8_e32 v19, v14, v16
	v_dot4c_i32_i8_e32 v19, v15, v17
	v_mov_b32_e32 v16, 0
	s_waitcnt lgkmcnt(2)
	v_dot4c_i32_i8_e32 v19, v104, v10
	s_waitcnt lgkmcnt(0)
	v_dot4c_i32_i8_e32 v16, v162, v6
	v_add_u32_e32 v6, 0x4168, v136
	v_dot4c_i32_i8_e32 v19, v105, v11
	v_dot4c_i32_i8_e32 v16, v163, v7
	ds_read2_b32 v[6:7], v6 offset1:1
	v_dot4c_i32_i8_e32 v19, v110, v12
	v_add_u32_e32 v12, 0x4170, v136
	v_dot4c_i32_i8_e32 v19, v111, v13
	ds_read2_b32 v[12:13], v12 offset1:1
	v_add_u32_e32 v14, 0x4178, v136
	ds_read2_b32 v[14:15], v14 offset1:1
	s_waitcnt lgkmcnt(2)
	v_dot4c_i32_i8_e32 v16, v6, v8
	v_dot4c_i32_i8_e32 v16, v7, v9
	s_waitcnt lgkmcnt(1)
	v_dot4c_i32_i8_e32 v16, v12, v2
	v_cvt_f32_i32_e32 v102, v102
	v_dot4c_i32_i8_e32 v16, v13, v3
	v_cvt_f32_i32_e32 v108, v108
	v_bfe_u32 v10, v106, 16, 8
	s_waitcnt lgkmcnt(0)
	v_dot4c_i32_i8_e32 v16, v14, v4
	v_lshrrev_b32_e32 v185, 24, v106
	v_mul_lo_u32 v10, v19, v10
	v_dot4c_i32_i8_e32 v16, v15, v5
	v_cvt_f32_f16_sdwa v5, v160 dst_sel:DWORD dst_unused:UNUSED_PAD src0_sel:WORD_1
	v_cvt_f32_ubyte0_e32 v103, v107
	v_cvt_f32_i32_e32 v10, v10
	v_mul_lo_u32 v2, v16, v185
	v_cvt_f32_f16_e32 v4, v160
	v_mov_b32_e32 v6, v116
	v_mov_b32_e32 v7, v112
	v_cvt_f32_ubyte1_e32 v109, v107
	v_cvt_f32_i32_e32 v2, v2
	v_pk_fma_f32 v[6:7], v[6:7], v[102:103], 0 op_sel_hi:[1,1,0]
	v_mov_b32_e32 v8, v114
	v_mov_b32_e32 v9, v118
	v_pk_fma_f32 v[6:7], v[8:9], v[108:109], v[6:7]
	v_cvt_f32_ubyte2_e32 v11, v107
	v_mul_f32_e32 v8, v7, v5
	v_mov_b32_e32 v112, v117
	v_cvt_f32_ubyte3_e32 v3, v107
	v_pk_fma_f32 v[6:7], v[6:7], v[4:5], v[8:9] op_sel_hi:[1,1,0] neg_lo:[0,0,1] neg_hi:[0,0,1]
	v_pk_fma_f32 v[8:9], v[112:113], v[10:11], 0 op_sel_hi:[1,1,0]
	v_mov_b32_e32 v118, v115
	v_pk_fma_f32 v[2:3], v[118:119], v[2:3], v[8:9]
	v_mov_b32_e32 v7, v120
	v_mul_f32_e32 v8, v3, v5
	v_pk_fma_f32 v[2:3], v[2:3], v[4:5], v[8:9] op_sel_hi:[1,1,0] neg_lo:[0,0,1] neg_hi:[0,0,1]
	v_pk_add_f32 v[4:5], v[86:87], v[6:7]
	v_mov_b32_e32 v3, v121
	v_pk_add_f32 v[86:87], v[4:5], v[2:3]
	s_cmp_ge_i32 s14, s15
	s_barrier
	s_cbranch_scc1 .LBB213_5
; %bb.12:                               ;   in Loop: Header=BB213_6 Depth=1
	v_cmp_gt_i32_e64 s[2:3], s5, v138
	s_and_b64 s[20:21], s[0:1], s[2:3]
	s_and_saveexec_b64 s[2:3], s[20:21]
	s_cbranch_execz .LBB213_14
; %bb.13:                               ;   in Loop: Header=BB213_6 Depth=1
	v_add_u32_e32 v2, v22, v138
	v_mad_i64_i32 v[2:3], s[20:21], v2, 36, v[20:21]
	global_load_dword v2, v[2:3], off offset:4
	s_waitcnt vmcnt(0)
	ds_write_b32 v132, v2
.LBB213_14:                             ;   in Loop: Header=BB213_6 Depth=1
	s_or_b64 exec, exec, s[2:3]
	s_and_saveexec_b64 s[20:21], vcc
	s_cbranch_execz .LBB213_4
; %bb.15:                               ;   in Loop: Header=BB213_6 Depth=1
	v_add_u32_e32 v2, 4, v18
	v_cmp_gt_i32_e64 s[2:3], s5, v2
	s_and_b64 s[2:3], s[0:1], s[2:3]
	s_and_b64 exec, exec, s[2:3]
	s_cbranch_execz .LBB213_4
; %bb.16:                               ;   in Loop: Header=BB213_6 Depth=1
	v_ashrrev_i32_e32 v19, 31, v18
	v_lshl_add_u64 v[2:3], v[22:23], 0, v[18:19]
	v_mad_u64_u32 v[4:5], s[2:3], v2, 36, s[10:11]
	v_mad_i32_i24 v5, v3, 36, v5
	global_load_dword v2, v[4:5], off offset:144
	v_add_u32_e32 v3, v130, v133
	s_waitcnt vmcnt(0)
	ds_write_b32 v3, v2
	s_branch .LBB213_4
.LBB213_17:
	s_mul_i32 s0, s7, s4
	s_waitcnt vmcnt(0)
	v_cmp_gt_i32_e32 vcc, s0, v1
	s_and_saveexec_b64 s[0:1], vcc
	s_cbranch_execz .LBB213_26
; %bb.18:
	v_and_b32_e32 v0, 0x3ff, v0
	v_add_u32_e32 v2, s22, v0
	v_mul_lo_u32 v0, v1, s6
	v_cmp_gt_u32_e32 vcc, s6, v2
	s_and_saveexec_b64 s[0:1], vcc
	s_cbranch_execz .LBB213_20
; %bb.19:
	v_cvt_f16_f32_e32 v1, v46
	v_add_u32_e32 v4, v0, v2
	v_mov_b32_e32 v5, 0
	v_lshl_add_u64 v[4:5], v[4:5], 1, s[12:13]
	global_store_short v[4:5], v1, off
.LBB213_20:
	s_or_b64 exec, exec, s[0:1]
	v_add_u32_e32 v1, 32, v2
	v_cmp_gt_u32_e32 vcc, s6, v1
	s_and_saveexec_b64 s[0:1], vcc
	s_cbranch_execz .LBB213_22
; %bb.21:
	v_cvt_f16_f32_e32 v3, v47
	v_add_u32_e32 v4, v0, v1
	v_mov_b32_e32 v5, 0
	v_lshl_add_u64 v[4:5], v[4:5], 1, s[12:13]
	global_store_short v[4:5], v3, off
.LBB213_22:
	s_or_b64 exec, exec, s[0:1]
	v_add_u32_e32 v1, 64, v2
	;; [unrolled: 12-line block ×3, first 2 shown]
	v_cmp_gt_u32_e32 vcc, s6, v1
	s_and_b64 exec, exec, vcc
	s_cbranch_execz .LBB213_26
; %bb.25:
	v_cvt_f16_f32_e32 v2, v87
	v_add_u32_e32 v0, v0, v1
	v_mov_b32_e32 v1, 0
	v_lshl_add_u64 v[0:1], v[0:1], 1, s[12:13]
	global_store_short v[0:1], v2, off
.LBB213_26:
	s_endpgm
	.section	.rodata,"a",@progbits
	.p2align	6, 0x0
	.amdhsa_kernel _ZL8moe_q5_KIN3c104HalfELb0EEvPKvS3_PT_PKiS7_S7_iiiiiii
		.amdhsa_group_segment_fixed_size 37072
		.amdhsa_private_segment_fixed_size 0
		.amdhsa_kernarg_size 76
		.amdhsa_user_sgpr_count 2
		.amdhsa_user_sgpr_dispatch_ptr 0
		.amdhsa_user_sgpr_queue_ptr 0
		.amdhsa_user_sgpr_kernarg_segment_ptr 1
		.amdhsa_user_sgpr_dispatch_id 0
		.amdhsa_user_sgpr_kernarg_preload_length 0
		.amdhsa_user_sgpr_kernarg_preload_offset 0
		.amdhsa_user_sgpr_private_segment_size 0
		.amdhsa_uses_dynamic_stack 0
		.amdhsa_enable_private_segment 0
		.amdhsa_system_sgpr_workgroup_id_x 1
		.amdhsa_system_sgpr_workgroup_id_y 1
		.amdhsa_system_sgpr_workgroup_id_z 0
		.amdhsa_system_sgpr_workgroup_info 0
		.amdhsa_system_vgpr_workitem_id 1
		.amdhsa_next_free_vgpr 189
		.amdhsa_next_free_sgpr 96
		.amdhsa_accum_offset 192
		.amdhsa_reserve_vcc 1
		.amdhsa_float_round_mode_32 0
		.amdhsa_float_round_mode_16_64 0
		.amdhsa_float_denorm_mode_32 3
		.amdhsa_float_denorm_mode_16_64 3
		.amdhsa_dx10_clamp 1
		.amdhsa_ieee_mode 1
		.amdhsa_fp16_overflow 0
		.amdhsa_tg_split 0
		.amdhsa_exception_fp_ieee_invalid_op 0
		.amdhsa_exception_fp_denorm_src 0
		.amdhsa_exception_fp_ieee_div_zero 0
		.amdhsa_exception_fp_ieee_overflow 0
		.amdhsa_exception_fp_ieee_underflow 0
		.amdhsa_exception_fp_ieee_inexact 0
		.amdhsa_exception_int_div_zero 0
	.end_amdhsa_kernel
	.section	.text._ZL8moe_q5_KIN3c104HalfELb0EEvPKvS3_PT_PKiS7_S7_iiiiiii,"axG",@progbits,_ZL8moe_q5_KIN3c104HalfELb0EEvPKvS3_PT_PKiS7_S7_iiiiiii,comdat
.Lfunc_end213:
	.size	_ZL8moe_q5_KIN3c104HalfELb0EEvPKvS3_PT_PKiS7_S7_iiiiiii, .Lfunc_end213-_ZL8moe_q5_KIN3c104HalfELb0EEvPKvS3_PT_PKiS7_S7_iiiiiii
                                        ; -- End function
	.set _ZL8moe_q5_KIN3c104HalfELb0EEvPKvS3_PT_PKiS7_S7_iiiiiii.num_vgpr, 189
	.set _ZL8moe_q5_KIN3c104HalfELb0EEvPKvS3_PT_PKiS7_S7_iiiiiii.num_agpr, 0
	.set _ZL8moe_q5_KIN3c104HalfELb0EEvPKvS3_PT_PKiS7_S7_iiiiiii.numbered_sgpr, 27
	.set _ZL8moe_q5_KIN3c104HalfELb0EEvPKvS3_PT_PKiS7_S7_iiiiiii.num_named_barrier, 0
	.set _ZL8moe_q5_KIN3c104HalfELb0EEvPKvS3_PT_PKiS7_S7_iiiiiii.private_seg_size, 0
	.set _ZL8moe_q5_KIN3c104HalfELb0EEvPKvS3_PT_PKiS7_S7_iiiiiii.uses_vcc, 1
	.set _ZL8moe_q5_KIN3c104HalfELb0EEvPKvS3_PT_PKiS7_S7_iiiiiii.uses_flat_scratch, 0
	.set _ZL8moe_q5_KIN3c104HalfELb0EEvPKvS3_PT_PKiS7_S7_iiiiiii.has_dyn_sized_stack, 0
	.set _ZL8moe_q5_KIN3c104HalfELb0EEvPKvS3_PT_PKiS7_S7_iiiiiii.has_recursion, 0
	.set _ZL8moe_q5_KIN3c104HalfELb0EEvPKvS3_PT_PKiS7_S7_iiiiiii.has_indirect_call, 0
	.section	.AMDGPU.csdata,"",@progbits
; Kernel info:
; codeLenInByte = 10084
; TotalNumSgprs: 33
; NumVgprs: 189
; NumAgprs: 0
; TotalNumVgprs: 189
; ScratchSize: 0
; MemoryBound: 0
; FloatMode: 240
; IeeeMode: 1
; LDSByteSize: 37072 bytes/workgroup (compile time only)
; SGPRBlocks: 12
; VGPRBlocks: 23
; NumSGPRsForWavesPerEU: 102
; NumVGPRsForWavesPerEU: 189
; AccumOffset: 192
; Occupancy: 2
; WaveLimiterHint : 1
; COMPUTE_PGM_RSRC2:SCRATCH_EN: 0
; COMPUTE_PGM_RSRC2:USER_SGPR: 2
; COMPUTE_PGM_RSRC2:TRAP_HANDLER: 0
; COMPUTE_PGM_RSRC2:TGID_X_EN: 1
; COMPUTE_PGM_RSRC2:TGID_Y_EN: 1
; COMPUTE_PGM_RSRC2:TGID_Z_EN: 0
; COMPUTE_PGM_RSRC2:TIDIG_COMP_CNT: 1
; COMPUTE_PGM_RSRC3_GFX90A:ACCUM_OFFSET: 47
; COMPUTE_PGM_RSRC3_GFX90A:TG_SPLIT: 0
	.section	.text._ZL8moe_q5_KIN3c104HalfELb1EEvPKvS3_PT_PKiS7_S7_iiiiiii,"axG",@progbits,_ZL8moe_q5_KIN3c104HalfELb1EEvPKvS3_PT_PKiS7_S7_iiiiiii,comdat
	.globl	_ZL8moe_q5_KIN3c104HalfELb1EEvPKvS3_PT_PKiS7_S7_iiiiiii ; -- Begin function _ZL8moe_q5_KIN3c104HalfELb1EEvPKvS3_PT_PKiS7_S7_iiiiiii
	.p2align	8
	.type	_ZL8moe_q5_KIN3c104HalfELb1EEvPKvS3_PT_PKiS7_S7_iiiiiii,@function
_ZL8moe_q5_KIN3c104HalfELb1EEvPKvS3_PT_PKiS7_S7_iiiiiii: ; @_ZL8moe_q5_KIN3c104HalfELb1EEvPKvS3_PT_PKiS7_S7_iiiiiii
; %bb.0:
	s_load_dwordx4 s[4:7], s[0:1], 0x18
	s_mov_b32 s8, s3
	s_mov_b32 s9, 0
	s_lshl_b64 s[10:11], s[8:9], 2
	s_waitcnt lgkmcnt(0)
	s_add_u32 s6, s6, s10
	s_addc_u32 s7, s7, s11
	s_load_dword s3, s[6:7], 0x0
	s_waitcnt lgkmcnt(0)
	s_cmpk_gt_u32 s3, 0xff
	s_cbranch_scc1 .LBB214_26
; %bb.1:
	s_load_dwordx2 s[6:7], s[0:1], 0x28
	s_waitcnt lgkmcnt(0)
	s_load_dword s7, s[6:7], 0x0
	s_lshl_b32 s6, s8, 3
	s_waitcnt lgkmcnt(0)
	s_cmp_gt_u32 s6, s7
	s_cbranch_scc1 .LBB214_26
; %bb.2:
	v_bfe_u32 v2, v0, 10, 10
	v_mov_b32_e32 v4, s4
	v_mov_b32_e32 v5, s5
	v_add_u32_e32 v78, s6, v2
	v_mov_b32_e32 v79, 0
	v_lshl_add_u64 v[4:5], v[78:79], 2, v[4:5]
	global_load_dword v1, v[4:5], off
	s_load_dwordx8 s[4:11], s[0:1], 0x30
	s_load_dwordx2 s[16:17], s[0:1], 0x10
	s_waitcnt lgkmcnt(0)
	s_lshl_b32 s11, s2, 7
	v_mov_b32_e32 v78, v79
	v_mov_b32_e32 v53, v79
	s_cmpk_lt_i32 s5, 0x100
	v_mov_b32_e32 v52, v79
	s_cbranch_scc1 .LBB214_17
; %bb.3:
	s_load_dwordx4 s[12:15], s[0:1], 0x0
	s_ashr_i32 s0, s5, 31
	s_lshr_b32 s0, s0, 24
	s_add_i32 s0, s5, s0
	s_ashr_i32 s24, s0, 8
	s_ashr_i32 s0, s8, 31
	s_lshr_b32 s0, s0, 27
	s_add_i32 s0, s8, s0
	s_ashr_i32 s8, s0, 5
	s_not_b32 s0, s11
	v_lshlrev_b32_e32 v4, 1, v0
	v_and_b32_e32 v5, 7, v0
	s_add_i32 s2, s6, s0
	v_and_or_b32 v4, v4, 48, v5
	s_mul_i32 s18, s3, s4
	v_min_i32_e32 v5, s2, v2
	v_lshlrev_b32_e32 v4, 2, v4
	s_movk_i32 s3, 0x104
	v_mul_lo_u32 v6, v5, s24
	v_mad_u64_u32 v[20:21], s[0:1], v5, s3, v[4:5]
	v_add_u32_e32 v5, 8, v2
	v_min_i32_e32 v5, s2, v5
	v_mul_lo_u32 v10, v5, s24
	v_mad_u64_u32 v[22:23], s[0:1], v5, s3, v[4:5]
	v_add_u32_e32 v5, 16, v2
	v_min_i32_e32 v5, s2, v5
	;; [unrolled: 4-line block ×14, first 2 shown]
	v_mul_lo_u32 v47, v5, s24
	v_mad_u64_u32 v[48:49], s[0:1], v5, s3, v[4:5]
	v_add_u32_e32 v5, 0x78, v2
	v_and_b32_e32 v18, 0x3ff, v0
	v_min_i32_e32 v5, s2, v5
	v_mad_u64_u32 v[50:51], s[0:1], v5, s3, v[4:5]
	v_lshl_add_u32 v4, v2, 5, v18
	v_and_b32_e32 v4, 0x7f, v4
	v_min_i32_e32 v4, s2, v4
	v_mul_lo_u32 v49, v5, s24
	v_ashrrev_i32_e32 v5, 31, v4
	v_lshrrev_b32_e32 v5, 27, v5
	v_add_u32_e32 v5, v4, v5
	v_ashrrev_i32_e32 v5, 5, v5
	v_mul_lo_u32 v51, v4, s24
	v_lshlrev_b32_e32 v5, 2, v5
	v_lshlrev_b32_e32 v4, 2, v4
	s_mov_b32 s6, 0x8e40
	v_and_b32_e32 v91, 3, v0
	v_bfe_u32 v90, v0, 2, 8
	v_add3_u32 v21, v5, v4, s6
	v_add_u32_e32 v5, 0xfe, v91
	v_lshl_add_u32 v4, v2, 3, v90
	v_and_b32_e32 v5, 0xff, v5
	v_cmp_gt_u32_e32 vcc, 2, v91
	v_lshlrev_b32_e32 v7, 2, v91
	s_mov_b32 s0, 0x8200
	v_cndmask_b32_e32 v94, v5, v91, vcc
	v_and_b32_e32 v5, 0x7f, v4
	v_min_i32_e32 v98, s2, v5
	v_ashrrev_i32_e32 v5, 31, v98
	v_lshrrev_b32_e32 v5, 29, v5
	v_add_u32_e32 v5, v98, v5
	v_ashrrev_i32_e32 v5, 3, v5
	v_lshlrev_b32_e32 v5, 2, v5
	v_add3_u32 v99, v5, v7, s0
	v_mov_b32_e32 v5, 0x7f
	v_bitop3_b32 v4, v4, 64, v5 bitop3:0x6c
	v_min_i32_e32 v102, s2, v4
	v_ashrrev_i32_e32 v4, 31, v102
	v_lshrrev_b32_e32 v4, 29, v4
	v_add_u32_e32 v4, v102, v4
	v_ashrrev_i32_e32 v4, 3, v4
	v_lshlrev_b32_e32 v19, 2, v18
	v_lshlrev_b32_e32 v4, 2, v4
	v_bfe_u32 v23, v0, 3, 7
	v_add3_u32 v103, v4, v7, s0
	v_add_u32_e32 v4, v23, v19
	v_mov_b32_e32 v5, 0x8200
	v_lshl_add_u32 v25, v4, 2, v5
	v_add_u32_e32 v4, 32, v18
	v_lshrrev_b32_e32 v27, 3, v4
	v_lshl_add_u32 v4, v4, 2, v27
	v_lshl_add_u32 v29, v4, 2, v5
	v_add_u32_e32 v4, 64, v18
	v_lshrrev_b32_e32 v106, 3, v4
	v_lshl_add_u32 v4, v4, 2, v106
	s_abs_i32 s2, s10
	v_lshl_add_u32 v31, v4, 2, v5
	v_cvt_f32_u32_e32 v4, s2
	v_add_u32_e32 v7, 0x60, v18
	v_lshrrev_b32_e32 v107, 3, v7
	s_sub_i32 s0, 0, s2
	v_rcp_iflag_f32_e32 v4, v4
	v_lshl_add_u32 v7, v7, 2, v107
	v_lshl_add_u32 v33, v7, 2, v5
	s_waitcnt vmcnt(0)
	v_sub_u32_e32 v7, 0, v1
	v_mul_f32_e32 v4, 0x4f7ffffe, v4
	v_cvt_u32_f32_e32 v4, v4
	v_max_i32_e32 v7, v1, v7
	v_xor_b32_e32 v5, s10, v1
	v_ashrrev_i32_e32 v5, 31, v5
	v_mul_lo_u32 v8, s0, v4
	v_mul_hi_u32 v8, v4, v8
	v_add_u32_e32 v4, v4, v8
	v_mul_hi_u32 v4, v7, v4
	v_mul_lo_u32 v8, v4, s2
	v_sub_u32_e32 v7, v7, v8
	v_add_u32_e32 v8, 1, v4
	v_cmp_le_u32_e64 s[0:1], s2, v7
	s_mul_i32 s4, s24, s11
	v_cmp_ne_u32_e32 vcc, 0, v91
	v_cndmask_b32_e64 v4, v4, v8, s[0:1]
	v_subrev_u32_e32 v8, s2, v7
	v_cndmask_b32_e64 v7, v7, v8, s[0:1]
	v_add_u32_e32 v8, 1, v4
	v_cmp_le_u32_e64 s[0:1], s2, v7
	v_addc_co_u32_e32 v86, vcc, 0, v94, vcc
	s_nop 0
	v_cndmask_b32_e64 v4, v4, v8, s[0:1]
	v_xor_b32_e32 v4, v4, v5
	v_sub_u32_e32 v134, v4, v5
	s_mul_hi_i32 s3, s4, 0xb0
	s_mul_i32 s2, s4, 0xb0
	v_bfe_u32 v3, v0, 5, 5
	v_cmp_gt_u32_e32 vcc, 4, v18
	v_cmp_gt_i32_e64 s[0:1], s7, v134
	s_movk_i32 s25, 0xb0
	v_mov_b64_e32 v[4:5], s[2:3]
	s_ashr_i32 s19, s18, 31
	s_and_b64 s[20:21], vcc, s[0:1]
	v_mad_u64_u32 v[4:5], s[22:23], v3, s25, v[4:5]
	v_lshlrev_b32_e32 v3, 2, v3
	v_mad_i64_i32 v[80:81], s[22:23], v45, s25, v[4:5]
	s_waitcnt lgkmcnt(0)
	s_add_u32 s2, s12, s2
	v_add3_u32 v45, v3, v19, s6
	v_and_b32_e32 v3, 60, v27
	v_and_b32_e32 v52, 0x7c, v19
	v_mov_b32_e32 v53, 0
	v_mad_i64_i32 v[6:7], s[22:23], v6, s25, v[4:5]
	v_mad_i64_i32 v[10:11], s[22:23], v10, s25, v[4:5]
	;; [unrolled: 1-line block ×15, first 2 shown]
	s_addc_u32 s3, s13, s3
	v_mul_lo_u32 v35, v98, s24
	v_add3_u32 v47, v19, v3, s6
	v_and_b32_e32 v3, 60, v106
	v_lshl_add_u64 v[8:9], v[6:7], 0, v[52:53]
	v_lshl_add_u64 v[12:13], v[10:11], 0, v[52:53]
	;; [unrolled: 1-line block ×15, first 2 shown]
	v_mov_b64_e32 v[54:55], s[2:3]
	v_lshl_add_u64 v[124:125], v[4:5], 0, v[52:53]
	v_lshlrev_b32_e32 v52, 2, v86
	v_mad_i64_i32 v[86:87], s[2:3], v35, s25, 0
	v_mov_b32_e32 v35, 0xb0
	v_mul_lo_u32 v37, v102, s24
	v_add3_u32 v49, v19, v3, s6
	v_and_b32_e32 v3, 60, v107
	v_mad_i64_i32 v[54:55], s[2:3], v51, s25, v[54:55]
	v_mad_i64_i32 v[128:129], s[2:3], s4, v35, v[86:87]
	;; [unrolled: 1-line block ×3, first 2 shown]
	v_add3_u32 v51, v19, v3, s6
	v_mov_b32_e32 v3, 0x8a40
	v_mad_i64_i32 v[132:133], s[2:3], s4, v35, v[86:87]
	v_and_b32_e32 v86, 28, v19
	v_mov_b32_e32 v87, v53
	v_lshl_add_u32 v155, v2, 7, v3
	v_and_b32_e32 v3, 31, v0
	v_lshl_add_u32 v156, v3, 2, v155
	v_lshlrev_b32_e32 v157, 4, v2
	v_lshl_add_u64 v[2:3], v[6:7], 0, v[86:87]
	v_and_b32_e32 v95, 4, v19
	v_cmp_lt_u32_e64 s[2:3], 1, v91
	v_lshl_add_u64 v[2:3], s[12:13], 0, v[2:3]
	v_lshlrev_b32_e32 v35, 4, v98
	v_cndmask_b32_e64 v41, 0, v95, s[2:3]
	v_lshlrev_b32_e32 v43, 1, v94
	v_lshl_add_u64 v[6:7], v[10:11], 0, v[86:87]
	v_lshl_add_u64 v[94:95], v[60:61], 0, v[86:87]
	v_lshl_add_u64 v[60:61], v[2:3], 0, 16
	v_lshl_add_u64 v[2:3], s[12:13], 0, v[8:9]
	v_add_u32_e32 v35, v99, v35
	v_lshlrev_b32_e32 v37, 4, v102
	v_lshl_add_u64 v[98:99], v[62:63], 0, v[86:87]
	v_lshl_add_u64 v[62:63], v[2:3], 0, 48
	;; [unrolled: 1-line block ×3, first 2 shown]
	v_add_u32_e32 v37, v103, v37
	v_lshl_add_u64 v[10:11], v[14:15], 0, v[86:87]
	v_lshl_add_u64 v[102:103], v[64:65], 0, v[86:87]
	;; [unrolled: 1-line block ×14, first 2 shown]
	v_and_b32_e32 v39, 6, v90
	v_lshl_add_u64 v[90:91], v[58:59], 0, v[86:87]
	v_lshl_add_u64 v[118:119], v[72:73], 0, v[86:87]
	;; [unrolled: 1-line block ×58, first 2 shown]
	v_cndmask_b32_e64 v2, 0, 1, s[2:3]
	v_lshlrev_b32_e32 v4, 2, v2
	v_or_b32_e32 v2, v128, v4
	v_mov_b32_e32 v3, v129
	v_lshl_add_u64 v[2:3], s[12:13], 0, v[2:3]
	v_lshl_add_u64 v[126:127], v[2:3], 0, 4
	;; [unrolled: 1-line block ×5, first 2 shown]
	v_or_b32_e32 v2, v132, v4
	v_mov_b32_e32 v3, v133
	v_lshl_add_u64 v[2:3], s[12:13], 0, v[2:3]
	v_lshl_add_u64 v[130:131], v[2:3], 0, 4
	;; [unrolled: 1-line block ×3, first 2 shown]
	v_mul_lo_u32 v58, v134, s8
	v_lshl_add_u64 v[2:3], s[12:13], 0, v[2:3]
	v_add_u32_e32 v154, 0x9050, v19
	v_ashrrev_i32_e32 v59, 31, v58
	v_lshl_add_u64 v[132:133], v[2:3], 0, 4
	s_movk_i32 s4, 0x80
	s_mov_b32 s6, 0x10101010
	s_mov_b32 s25, 0x30303030
	s_mov_b64 s[12:13], 0xb0
	v_mov_b32_e32 v52, v53
	v_mov_b32_e32 v78, v53
	;; [unrolled: 1-line block ×3, first 2 shown]
	v_or_b32_e32 v158, 1, v39
	v_mul_u32_u24_e32 v159, 0x104, v18
	s_branch .LBB214_6
.LBB214_4:                              ;   in Loop: Header=BB214_6 Depth=1
	s_or_b64 exec, exec, s[22:23]
	s_waitcnt lgkmcnt(0)
	s_barrier
	ds_read_b128 v[14:17], v155
	ds_read_b128 v[10:13], v155 offset:16
	ds_read2_b32 v[134:135], v159 offset0:32 offset1:33
	ds_read_b128 v[6:9], v155 offset:32
	ds_read_b128 v[2:5], v155 offset:48
	ds_read_b32 v19, v45
	ds_read_b128 v[160:163], v157 offset:36944
	ds_read2_b32 v[136:137], v159 offset0:34 offset1:35
	v_mov_b32_e32 v150, 0
	s_waitcnt lgkmcnt(5)
	v_dot4c_i32_i8_e32 v150, v134, v14
	v_dot4c_i32_i8_e32 v150, v135, v15
	ds_read2_b32 v[134:135], v159 offset0:36 offset1:37
	ds_read2_b32 v[138:139], v159 offset0:38 offset1:39
	;; [unrolled: 1-line block ×3, first 2 shown]
	s_waitcnt lgkmcnt(3)
	v_dot4c_i32_i8_e32 v150, v136, v16
	v_dot4c_i32_i8_e32 v150, v137, v17
	s_waitcnt lgkmcnt(2)
	v_dot4c_i32_i8_e32 v150, v134, v10
	v_dot4c_i32_i8_e32 v150, v135, v11
	ds_read2_b32 v[134:135], v159 offset0:42 offset1:43
	v_mov_b32_e32 v153, 0
	s_waitcnt lgkmcnt(1)
	v_dot4c_i32_i8_e32 v153, v140, v6
	v_dot4c_i32_i8_e32 v153, v141, v7
	v_dot4c_i32_i8_e32 v150, v138, v12
	s_waitcnt lgkmcnt(0)
	v_dot4c_i32_i8_e32 v153, v134, v8
	v_add_u32_e32 v134, 0x2100, v159
	v_dot4c_i32_i8_e32 v150, v139, v13
	ds_read2_b32 v[136:137], v159 offset0:44 offset1:45
	ds_read2_b32 v[138:139], v159 offset0:46 offset1:47
	;; [unrolled: 1-line block ×3, first 2 shown]
	v_dot4c_i32_i8_e32 v153, v135, v9
	ds_read2_b32 v[134:135], v134 offset1:1
	v_mov_b32_e32 v165, 0
	ds_read_b32 v182, v47 offset:128
	ds_read_b32 v151, v49 offset:256
	;; [unrolled: 1-line block ×3, first 2 shown]
	s_waitcnt lgkmcnt(6)
	v_dot4c_i32_i8_e32 v153, v136, v2
	v_dot4c_i32_i8_e32 v153, v137, v3
	s_waitcnt lgkmcnt(3)
	v_dot4c_i32_i8_e32 v165, v134, v14
	v_add_u32_e32 v134, 0x2108, v159
	v_dot4c_i32_i8_e32 v165, v135, v15
	ds_read2_b32 v[134:135], v134 offset1:1
	v_dot4c_i32_i8_e32 v153, v138, v4
	v_add_u32_e32 v136, 0x2110, v159
	v_add_u32_e32 v138, 0x2118, v159
	;; [unrolled: 1-line block ×3, first 2 shown]
	v_dot4c_i32_i8_e32 v153, v139, v5
	ds_read2_b32 v[136:137], v136 offset1:1
	ds_read2_b32 v[138:139], v138 offset1:1
	ds_read2_b32 v[142:143], v142 offset1:1
	s_waitcnt lgkmcnt(3)
	v_dot4c_i32_i8_e32 v165, v134, v16
	v_add_u32_e32 v134, 0x2128, v159
	v_dot4c_i32_i8_e32 v165, v135, v17
	ds_read2_b32 v[134:135], v134 offset1:1
	s_waitcnt lgkmcnt(3)
	v_dot4c_i32_i8_e32 v165, v136, v10
	v_dot4c_i32_i8_e32 v165, v137, v11
	v_mov_b32_e32 v176, 0
	s_waitcnt lgkmcnt(2)
	v_dot4c_i32_i8_e32 v165, v138, v12
	s_waitcnt lgkmcnt(1)
	v_dot4c_i32_i8_e32 v176, v142, v6
	v_add_u32_e32 v136, 0x2130, v159
	v_add_u32_e32 v138, 0x2138, v159
	;; [unrolled: 1-line block ×3, first 2 shown]
	v_dot4c_i32_i8_e32 v165, v139, v13
	v_dot4c_i32_i8_e32 v176, v143, v7
	ds_read2_b32 v[136:137], v136 offset1:1
	ds_read2_b32 v[138:139], v138 offset1:1
	;; [unrolled: 1-line block ×3, first 2 shown]
	s_waitcnt lgkmcnt(3)
	v_dot4c_i32_i8_e32 v176, v134, v8
	v_add_u32_e32 v134, 0x4188, v159
	v_dot4c_i32_i8_e32 v176, v135, v9
	ds_read2_b32 v[134:135], v134 offset1:1
	s_waitcnt lgkmcnt(3)
	v_dot4c_i32_i8_e32 v176, v136, v2
	v_dot4c_i32_i8_e32 v176, v137, v3
	v_mov_b32_e32 v146, 0
	s_waitcnt lgkmcnt(2)
	v_dot4c_i32_i8_e32 v176, v138, v4
	s_waitcnt lgkmcnt(1)
	v_dot4c_i32_i8_e32 v146, v142, v14
	v_add_u32_e32 v136, 0x4190, v159
	v_add_u32_e32 v144, 0x41a0, v159
	v_dot4c_i32_i8_e32 v176, v139, v5
	v_dot4c_i32_i8_e32 v146, v143, v15
	v_add_u32_e32 v137, 0x4198, v159
	ds_read2_b32 v[138:139], v136 offset1:1
	ds_read2_b32 v[142:143], v137 offset1:1
	;; [unrolled: 1-line block ×3, first 2 shown]
	s_waitcnt lgkmcnt(3)
	v_dot4c_i32_i8_e32 v146, v134, v16
	ds_read2_b32 v[136:137], v31 offset0:1 offset1:3
	v_dot4c_i32_i8_e32 v146, v135, v17
	s_waitcnt lgkmcnt(3)
	v_dot4c_i32_i8_e32 v146, v138, v10
	v_add_u32_e32 v138, 0x41a8, v159
	v_dot4c_i32_i8_e32 v146, v139, v11
	ds_read2_b32 v[138:139], v138 offset1:1
	s_waitcnt lgkmcnt(3)
	v_dot4c_i32_i8_e32 v146, v142, v12
	v_dot4c_i32_i8_e32 v146, v143, v13
	s_waitcnt lgkmcnt(1)
	v_and_b32_e32 v134, 0xff, v136
	v_mov_b32_e32 v148, 0
	v_dot4c_i32_i8_e32 v148, v144, v6
	v_mul_lo_u32 v134, v146, v134
	v_add_u32_e32 v142, 0x41b0, v159
	v_add_u32_e32 v144, 0x41b8, v159
	;; [unrolled: 1-line block ×3, first 2 shown]
	v_dot4c_i32_i8_e32 v148, v145, v7
	ds_read2_b32 v[142:143], v142 offset1:1
	ds_read2_b32 v[144:145], v144 offset1:1
	;; [unrolled: 1-line block ×3, first 2 shown]
	s_waitcnt lgkmcnt(3)
	v_dot4c_i32_i8_e32 v148, v138, v8
	v_dot4c_i32_i8_e32 v148, v139, v9
	s_waitcnt lgkmcnt(2)
	v_dot4c_i32_i8_e32 v148, v142, v2
	v_dot4c_i32_i8_e32 v148, v143, v3
	v_mov_b32_e32 v177, 0
	s_waitcnt lgkmcnt(1)
	v_dot4c_i32_i8_e32 v148, v144, v4
	s_waitcnt lgkmcnt(0)
	v_dot4c_i32_i8_e32 v177, v146, v14
	v_add_u32_e32 v14, 0x6208, v159
	v_add_u32_e32 v142, 0x6210, v159
	;; [unrolled: 1-line block ×4, first 2 shown]
	v_dot4c_i32_i8_e32 v148, v145, v5
	v_dot4c_i32_i8_e32 v177, v147, v15
	ds_read2_b32 v[14:15], v14 offset1:1
	ds_read2_b32 v[142:143], v142 offset1:1
	;; [unrolled: 1-line block ×4, first 2 shown]
	v_mov_b32_e32 v178, 0
	v_mov_b32_e32 v184, 0
	v_bfe_u32 v138, v136, 8, 8
	s_waitcnt lgkmcnt(3)
	v_dot4c_i32_i8_e32 v177, v14, v16
	s_waitcnt lgkmcnt(0)
	v_dot4c_i32_i8_e32 v178, v146, v6
	v_add_u32_e32 v6, 0x6228, v159
	v_dot4c_i32_i8_e32 v177, v15, v17
	v_dot4c_i32_i8_e32 v178, v147, v7
	ds_read2_b32 v[6:7], v6 offset1:1
	v_dot4c_i32_i8_e32 v177, v142, v10
	v_dot4c_i32_i8_e32 v177, v143, v11
	;; [unrolled: 1-line block ×3, first 2 shown]
	v_add_u32_e32 v10, 0x6230, v159
	v_add_u32_e32 v12, 0x6238, v159
	v_dot4c_i32_i8_e32 v177, v145, v13
	v_add_u32_e32 v14, 0x6240, v159
	ds_read2_b32 v[10:11], v10 offset1:1
	ds_read2_b32 v[12:13], v12 offset1:1
	;; [unrolled: 1-line block ×3, first 2 shown]
	s_waitcnt lgkmcnt(3)
	v_dot4c_i32_i8_e32 v178, v6, v8
	v_dot4c_i32_i8_e32 v178, v7, v9
	s_waitcnt lgkmcnt(2)
	v_dot4c_i32_i8_e32 v178, v10, v2
	v_dot4c_i32_i8_e32 v178, v11, v3
	;; [unrolled: 3-line block ×3, first 2 shown]
	ds_read_b128 v[14:17], v155 offset:64
	ds_read_b128 v[10:13], v155 offset:80
	;; [unrolled: 1-line block ×4, first 2 shown]
	ds_read2_b32 v[142:143], v159 offset0:50 offset1:51
	s_waitcnt lgkmcnt(4)
	v_dot4c_i32_i8_e32 v184, v140, v14
	v_dot4c_i32_i8_e32 v184, v141, v15
	ds_read2_b32 v[140:141], v159 offset0:52 offset1:53
	ds_read2_b32 v[144:145], v159 offset0:54 offset1:55
	;; [unrolled: 1-line block ×3, first 2 shown]
	v_mul_lo_u32 v138, v148, v138
	s_waitcnt lgkmcnt(3)
	v_dot4c_i32_i8_e32 v184, v142, v16
	v_mov_b32_e32 v142, 0
	v_dot4c_i32_i8_e32 v142, v146, v14
	v_add_u32_e32 v146, 0x6248, v159
	v_dot4c_i32_i8_e32 v184, v143, v17
	v_dot4c_i32_i8_e32 v142, v147, v15
	ds_read2_b32 v[146:147], v146 offset1:1
	s_waitcnt lgkmcnt(3)
	v_dot4c_i32_i8_e32 v184, v140, v10
	v_dot4c_i32_i8_e32 v184, v141, v11
	v_cvt_f32_f16_e32 v148, v149
	v_cvt_f32_f16_sdwa v164, v149 dst_sel:DWORD dst_unused:UNUSED_PAD src0_sel:WORD_1
	s_waitcnt lgkmcnt(2)
	v_dot4c_i32_i8_e32 v184, v144, v12
	v_add_u32_e32 v149, 0x6250, v159
	v_dot4c_i32_i8_e32 v184, v145, v13
	v_cvt_f32_f16_e32 v145, v162
	v_cvt_f32_f16_e32 v144, v160
	v_cvt_f32_f16_sdwa v141, v162 dst_sel:DWORD dst_unused:UNUSED_PAD src0_sel:WORD_1
	v_cvt_f32_f16_sdwa v140, v160 dst_sel:DWORD dst_unused:UNUSED_PAD src0_sel:WORD_1
	v_add_u32_e32 v160, 0x6258, v159
	v_add_u32_e32 v162, 0x6260, v159
	ds_read2_b32 v[168:169], v149 offset1:1
	ds_read2_b32 v[170:171], v160 offset1:1
	;; [unrolled: 1-line block ×3, first 2 shown]
	s_waitcnt lgkmcnt(3)
	v_dot4c_i32_i8_e32 v142, v146, v16
	ds_read2_b32 v[174:175], v33 offset0:1 offset1:3
	v_dot4c_i32_i8_e32 v142, v147, v17
	s_waitcnt lgkmcnt(3)
	v_dot4c_i32_i8_e32 v142, v168, v10
	v_dot4c_i32_i8_e32 v142, v169, v11
	s_waitcnt lgkmcnt(2)
	v_dot4c_i32_i8_e32 v142, v170, v12
	v_dot4c_i32_i8_e32 v142, v171, v13
	s_waitcnt lgkmcnt(0)
	v_and_b32_e32 v146, 0xff, v174
	v_bfe_u32 v147, v174, 16, 8
	v_mul_lo_u32 v146, v177, v146
	v_mul_lo_u32 v142, v142, v147
	v_add_u32_e32 v162, 0x6268, v159
	v_cvt_f32_f16_e32 v143, v163
	v_cvt_f32_i32_e32 v169, v142
	v_cvt_f32_i32_e32 v168, v146
	v_cvt_f32_f16_sdwa v147, v163 dst_sel:DWORD dst_unused:UNUSED_PAD src0_sel:WORD_1
	ds_read2_b32 v[162:163], v162 offset1:1
	v_mov_b32_e32 v185, 0
	v_mov_b32_e32 v149, 0
	v_dot4c_i32_i8_e32 v185, v166, v6
	v_dot4c_i32_i8_e32 v149, v172, v6
	v_add_u32_e32 v166, 0x6270, v159
	v_add_u32_e32 v170, 0x6278, v159
	;; [unrolled: 1-line block ×3, first 2 shown]
	v_cvt_f32_f16_e32 v142, v161
	v_cvt_f32_f16_sdwa v146, v161 dst_sel:DWORD dst_unused:UNUSED_PAD src0_sel:WORD_1
	v_pk_fma_f32 v[160:161], v[144:145], v[168:169], 0 op_sel_hi:[1,1,0]
	v_dot4c_i32_i8_e32 v149, v173, v7
	ds_read2_b32 v[168:169], v166 offset1:1
	ds_read2_b32 v[170:171], v170 offset1:1
	;; [unrolled: 1-line block ×3, first 2 shown]
	s_waitcnt lgkmcnt(3)
	v_dot4c_i32_i8_e32 v149, v162, v8
	v_dot4c_i32_i8_e32 v149, v163, v9
	s_waitcnt lgkmcnt(2)
	v_dot4c_i32_i8_e32 v149, v168, v2
	v_dot4c_i32_i8_e32 v149, v169, v3
	;; [unrolled: 3-line block ×3, first 2 shown]
	v_lshrrev_b32_e32 v162, 24, v174
	v_bfe_u32 v163, v174, 8, 8
	v_mul_lo_u32 v166, v178, v163
	v_mul_lo_u32 v149, v149, v162
	v_cvt_f32_i32_e32 v163, v149
	v_cvt_f32_i32_e32 v162, v166
	v_cvt_f32_ubyte2_e32 v169, v175
	v_cvt_f32_ubyte0_e32 v168, v175
	v_pk_fma_f32 v[168:169], v[140:141], v[168:169], 0 op_sel_hi:[1,1,0]
	v_pk_fma_f32 v[160:161], v[142:143], v[162:163], v[160:161]
	v_cvt_f32_ubyte3_e32 v163, v175
	v_cvt_f32_ubyte1_e32 v162, v175
	v_pk_fma_f32 v[162:163], v[146:147], v[162:163], v[168:169]
	ds_read2_b32 v[168:169], v25 offset0:1 offset1:3
	ds_read2_b32 v[170:171], v29 offset0:1 offset1:3
	v_pk_mul_f32 v[162:163], v[162:163], v[164:165] op_sel_hi:[1,0]
	v_cvt_f32_f16_e32 v175, v182
	v_pk_fma_f32 v[148:149], v[160:161], v[148:149], v[162:163] op_sel_hi:[1,0,1] neg_lo:[0,0,1] neg_hi:[0,0,1]
	s_waitcnt lgkmcnt(1)
	v_and_b32_e32 v161, 0xff, v168
	s_waitcnt lgkmcnt(0)
	v_and_b32_e32 v160, 0xff, v170
	v_mul_lo_u32 v150, v150, v161
	v_mul_lo_u32 v160, v165, v160
	v_cvt_f32_i32_e32 v161, v160
	v_cvt_f32_i32_e32 v160, v150
	v_bfe_u32 v150, v170, 8, 8
	v_bfe_u32 v164, v168, 8, 8
	v_mul_lo_u32 v153, v153, v164
	v_mul_lo_u32 v150, v176, v150
	v_cvt_f32_i32_e32 v165, v150
	v_cvt_f32_i32_e32 v164, v153
	v_cvt_f32_f16_sdwa v183, v182 dst_sel:DWORD dst_unused:UNUSED_PAD src0_sel:WORD_1
	v_cvt_f32_f16_sdwa v182, v19 dst_sel:DWORD dst_unused:UNUSED_PAD src0_sel:WORD_1
	v_cvt_f32_ubyte0_e32 v163, v171
	v_cvt_f32_ubyte0_e32 v162, v169
	v_cvt_f32_f16_e32 v174, v19
	v_dot4c_i32_i8_e32 v185, v167, v7
	v_cvt_f32_ubyte1_e32 v167, v171
	v_cvt_f32_ubyte1_e32 v166, v169
	v_pk_fma_f32 v[162:163], v[140:141], v[162:163], 0 op_sel_hi:[0,1,0]
	v_pk_fma_f32 v[160:161], v[144:145], v[160:161], 0 op_sel_hi:[0,1,0]
	;; [unrolled: 1-line block ×4, first 2 shown]
	v_pk_mul_f32 v[162:163], v[162:163], v[182:183]
	v_add_u32_e32 v150, 0x2148, v159
	v_pk_fma_f32 v[160:161], v[160:161], v[174:175], v[162:163] neg_lo:[0,0,1] neg_hi:[0,0,1]
	ds_read2_b32 v[176:177], v159 offset0:58 offset1:59
	ds_read2_b32 v[178:179], v159 offset0:60 offset1:61
	;; [unrolled: 1-line block ×3, first 2 shown]
	v_pk_add_f32 v[52:53], v[52:53], v[160:161]
	ds_read2_b32 v[160:161], v150 offset1:1
	v_mov_b32_e32 v19, 0
	v_dot4c_i32_i8_e32 v19, v172, v14
	v_add_u32_e32 v150, 0x2150, v159
	v_add_u32_e32 v166, 0x2160, v159
	v_dot4c_i32_i8_e32 v19, v173, v15
	v_add_u32_e32 v153, 0x2158, v159
	ds_read2_b32 v[162:163], v150 offset1:1
	ds_read2_b32 v[164:165], v153 offset1:1
	;; [unrolled: 1-line block ×3, first 2 shown]
	s_waitcnt lgkmcnt(3)
	v_dot4c_i32_i8_e32 v19, v160, v16
	v_dot4c_i32_i8_e32 v19, v161, v17
	s_waitcnt lgkmcnt(2)
	v_dot4c_i32_i8_e32 v19, v162, v10
	v_dot4c_i32_i8_e32 v19, v163, v11
	s_waitcnt lgkmcnt(1)
	v_dot4c_i32_i8_e32 v19, v164, v12
	v_dot4c_i32_i8_e32 v19, v165, v13
	v_bfe_u32 v150, v170, 16, 8
	v_bfe_u32 v153, v168, 16, 8
	v_mul_lo_u32 v153, v184, v153
	v_mul_lo_u32 v19, v19, v150
	v_cvt_f32_i32_e32 v161, v19
	v_cvt_f32_i32_e32 v160, v153
	v_mov_b32_e32 v150, v145
	v_mov_b32_e32 v19, 0
	v_dot4c_i32_i8_e32 v185, v176, v8
	v_pk_fma_f32 v[160:161], v[150:151], v[160:161], 0 op_sel_hi:[0,1,0]
	v_add_u32_e32 v150, 0x2168, v159
	ds_read2_b32 v[164:165], v150 offset1:1
	s_waitcnt lgkmcnt(1)
	v_dot4c_i32_i8_e32 v19, v166, v6
	v_add_u32_e32 v150, 0x2170, v159
	v_lshrrev_b32_e32 v186, 24, v168
	v_dot4c_i32_i8_e32 v185, v177, v9
	v_dot4c_i32_i8_e32 v19, v167, v7
	v_add_u32_e32 v153, 0x2178, v159
	v_add_u32_e32 v168, 0x41c0, v159
	ds_read2_b32 v[166:167], v150 offset1:1
	ds_read2_b32 v[172:173], v153 offset1:1
	;; [unrolled: 1-line block ×3, first 2 shown]
	s_waitcnt lgkmcnt(3)
	v_dot4c_i32_i8_e32 v19, v164, v8
	v_dot4c_i32_i8_e32 v19, v165, v9
	;; [unrolled: 1-line block ×3, first 2 shown]
	s_waitcnt lgkmcnt(2)
	v_dot4c_i32_i8_e32 v19, v166, v2
	v_dot4c_i32_i8_e32 v185, v179, v3
	;; [unrolled: 1-line block ×4, first 2 shown]
	s_waitcnt lgkmcnt(1)
	v_dot4c_i32_i8_e32 v19, v172, v4
	v_lshrrev_b32_e32 v187, 24, v170
	v_dot4c_i32_i8_e32 v185, v181, v5
	v_dot4c_i32_i8_e32 v19, v173, v5
	v_cvt_f32_ubyte2_e32 v163, v171
	v_cvt_f32_ubyte2_e32 v162, v169
	v_mul_lo_u32 v150, v185, v186
	v_mul_lo_u32 v19, v19, v187
	v_cvt_f32_i32_e32 v165, v19
	v_cvt_f32_i32_e32 v164, v150
	v_mov_b32_e32 v150, v141
	v_pk_fma_f32 v[162:163], v[150:151], v[162:163], 0 op_sel_hi:[0,1,0]
	v_mov_b32_e32 v150, v143
	v_pk_fma_f32 v[160:161], v[150:151], v[164:165], v[160:161] op_sel_hi:[0,1,1]
	v_cvt_f32_ubyte3_e32 v165, v171
	v_cvt_f32_ubyte3_e32 v164, v169
	v_mov_b32_e32 v150, v147
	v_mov_b32_e32 v19, 0
	v_pk_fma_f32 v[162:163], v[150:151], v[164:165], v[162:163] op_sel_hi:[0,1,1]
	s_waitcnt lgkmcnt(0)
	v_dot4c_i32_i8_e32 v19, v176, v14
	v_add_u32_e32 v14, 0x41c8, v159
	v_pk_mul_f32 v[162:163], v[162:163], v[182:183]
	v_dot4c_i32_i8_e32 v19, v177, v15
	ds_read2_b32 v[14:15], v14 offset1:1
	v_pk_fma_f32 v[160:161], v[160:161], v[174:175], v[162:163] neg_lo:[0,0,1] neg_hi:[0,0,1]
	v_add_u32_e32 v150, 0x41d0, v159
	v_add_u32_e32 v164, 0x41e0, v159
	v_pk_add_f32 v[52:53], v[52:53], v[160:161]
	v_add_u32_e32 v153, 0x41d8, v159
	ds_read2_b32 v[160:161], v150 offset1:1
	ds_read2_b32 v[162:163], v153 offset1:1
	;; [unrolled: 1-line block ×3, first 2 shown]
	s_waitcnt lgkmcnt(3)
	v_dot4c_i32_i8_e32 v19, v14, v16
	v_dot4c_i32_i8_e32 v19, v15, v17
	v_mov_b32_e32 v16, 0
	s_waitcnt lgkmcnt(2)
	v_dot4c_i32_i8_e32 v19, v160, v10
	s_waitcnt lgkmcnt(0)
	v_dot4c_i32_i8_e32 v16, v164, v6
	v_add_u32_e32 v6, 0x41e8, v159
	v_dot4c_i32_i8_e32 v19, v161, v11
	v_dot4c_i32_i8_e32 v16, v165, v7
	ds_read2_b32 v[6:7], v6 offset1:1
	v_dot4c_i32_i8_e32 v19, v162, v12
	v_add_u32_e32 v12, 0x41f0, v159
	v_dot4c_i32_i8_e32 v19, v163, v13
	ds_read2_b32 v[12:13], v12 offset1:1
	v_add_u32_e32 v14, 0x41f8, v159
	ds_read2_b32 v[14:15], v14 offset1:1
	s_waitcnt lgkmcnt(2)
	v_dot4c_i32_i8_e32 v16, v6, v8
	v_dot4c_i32_i8_e32 v16, v7, v9
	s_waitcnt lgkmcnt(1)
	v_dot4c_i32_i8_e32 v16, v12, v2
	v_cvt_f32_i32_e32 v134, v134
	v_dot4c_i32_i8_e32 v16, v13, v3
	v_cvt_f32_i32_e32 v138, v138
	v_bfe_u32 v10, v136, 16, 8
	s_waitcnt lgkmcnt(0)
	v_dot4c_i32_i8_e32 v16, v14, v4
	v_lshrrev_b32_e32 v152, 24, v136
	v_mul_lo_u32 v10, v19, v10
	v_dot4c_i32_i8_e32 v16, v15, v5
	v_cvt_f32_f16_sdwa v5, v151 dst_sel:DWORD dst_unused:UNUSED_PAD src0_sel:WORD_1
	v_cvt_f32_ubyte0_e32 v135, v137
	v_cvt_f32_i32_e32 v10, v10
	v_mul_lo_u32 v2, v16, v152
	v_cvt_f32_f16_e32 v4, v151
	v_mov_b32_e32 v6, v144
	v_mov_b32_e32 v7, v140
	v_cvt_f32_ubyte1_e32 v139, v137
	v_cvt_f32_i32_e32 v2, v2
	v_pk_fma_f32 v[6:7], v[6:7], v[134:135], 0 op_sel_hi:[1,1,0]
	v_mov_b32_e32 v8, v142
	v_mov_b32_e32 v9, v146
	v_pk_fma_f32 v[6:7], v[8:9], v[138:139], v[6:7]
	v_cvt_f32_ubyte2_e32 v11, v137
	v_mul_f32_e32 v8, v7, v5
	v_mov_b32_e32 v140, v145
	v_cvt_f32_ubyte3_e32 v3, v137
	v_pk_fma_f32 v[6:7], v[6:7], v[4:5], v[8:9] op_sel_hi:[1,1,0] neg_lo:[0,0,1] neg_hi:[0,0,1]
	v_pk_fma_f32 v[8:9], v[140:141], v[10:11], 0 op_sel_hi:[1,1,0]
	v_mov_b32_e32 v146, v143
	v_pk_fma_f32 v[2:3], v[146:147], v[2:3], v[8:9]
	v_mov_b32_e32 v7, v148
	v_mul_f32_e32 v8, v3, v5
	v_pk_fma_f32 v[2:3], v[2:3], v[4:5], v[8:9] op_sel_hi:[1,1,0] neg_lo:[0,0,1] neg_hi:[0,0,1]
	v_pk_add_f32 v[4:5], v[78:79], v[6:7]
	v_mov_b32_e32 v3, v149
	v_pk_add_f32 v[78:79], v[4:5], v[2:3]
	s_barrier
.LBB214_5:                              ;   in Loop: Header=BB214_6 Depth=1
	s_add_i32 s24, s24, -1
	s_addk_i32 s4, 0x100
	v_add_u32_e32 v27, 8, v27
	v_add_u32_e32 v23, 8, v23
	;; [unrolled: 1-line block ×3, first 2 shown]
	v_lshl_add_u64 v[60:61], v[60:61], 0, s[12:13]
	v_lshl_add_u64 v[62:63], v[62:63], 0, s[12:13]
	;; [unrolled: 1-line block ×36, first 2 shown]
	s_cmp_eq_u32 s24, 0
	v_lshl_add_u64 v[132:133], v[132:133], 0, s[12:13]
	s_cbranch_scc1 .LBB214_17
.LBB214_6:                              ; =>This Inner Loop Header: Depth=1
	v_lshl_add_u64 v[2:3], v[62:63], 0, s[18:19]
	global_load_dword v12, v[2:3], off
	v_lshl_add_u64 v[2:3], v[60:61], 0, s[18:19]
	global_load_dword v13, v[2:3], off
	;; [unrolled: 2-line block ×12, first 2 shown]
	v_lshl_add_u64 v[2:3], v[88:89], 0, s[18:19]
	v_lshl_add_u64 v[4:5], v[86:87], 0, s[18:19]
	global_load_dword v139, v[2:3], off
	global_load_dword v140, v[4:5], off
	v_lshl_add_u64 v[6:7], v[92:93], 0, s[18:19]
	v_lshl_add_u64 v[8:9], v[90:91], 0, s[18:19]
	;; [unrolled: 1-line block ×5, first 2 shown]
	global_load_dword v6, v[6:7], off
	s_nop 0
	global_load_dword v7, v[8:9], off
	s_nop 0
	global_load_dword v8, v[2:3], off
	global_load_dword v9, v[10:11], off
	s_nop 0
	global_load_dword v4, v[4:5], off
	s_add_i32 s2, s4, 0xffffff80
	s_cmp_lt_i32 s2, s5
	s_waitcnt vmcnt(18)
	v_lshrrev_b32_e32 v3, 4, v12
	v_and_b32_e32 v2, 0xf0f0f0f, v12
	s_waitcnt vmcnt(17)
	v_ashrrev_i32_e32 v5, v39, v13
	v_ashrrev_i32_e32 v10, v158, v13
	s_waitcnt vmcnt(16)
	v_and_b32_e32 v11, 0xf0f0f0f, v14
	v_lshrrev_b32_e32 v12, 4, v14
	s_waitcnt vmcnt(15)
	v_ashrrev_i32_e32 v13, v39, v15
	v_ashrrev_i32_e32 v14, v158, v15
	s_waitcnt vmcnt(14)
	v_and_b32_e32 v15, 0xf0f0f0f, v16
	v_lshrrev_b32_e32 v16, 4, v16
	;; [unrolled: 6-line block ×3, first 2 shown]
	s_waitcnt vmcnt(11)
	v_ashrrev_i32_e32 v143, v39, v134
	v_ashrrev_i32_e32 v134, v158, v134
	v_and_b32_e32 v3, 0xf0f0f0f, v3
	v_lshlrev_b32_e32 v5, 4, v5
	v_lshlrev_b32_e32 v10, 4, v10
	s_waitcnt vmcnt(10)
	v_and_b32_e32 v144, 0xf0f0f0f, v135
	v_lshrrev_b32_e32 v135, 4, v135
	s_waitcnt vmcnt(9)
	v_ashrrev_i32_e32 v145, v39, v136
	v_ashrrev_i32_e32 v136, v158, v136
	v_and_b32_e32 v12, 0xf0f0f0f, v12
	v_lshlrev_b32_e32 v13, 4, v13
	v_lshlrev_b32_e32 v14, 4, v14
	v_and_b32_e32 v16, 0xf0f0f0f, v16
	v_lshlrev_b32_e32 v141, 4, v141
	v_lshlrev_b32_e32 v17, 4, v17
	;; [unrolled: 3-line block ×3, first 2 shown]
	v_and_or_b32 v2, v5, s6, v2
	v_and_or_b32 v3, v10, s6, v3
	v_and_b32_e32 v135, 0xf0f0f0f, v135
	v_lshlrev_b32_e32 v145, 4, v145
	v_lshlrev_b32_e32 v136, 4, v136
	v_and_or_b32 v5, v13, s6, v11
	v_and_or_b32 v10, v14, s6, v12
	;; [unrolled: 1-line block ×6, first 2 shown]
	ds_write2_b32 v20, v2, v3 offset1:8
	ds_write2_b32 v22, v5, v10 offset1:8
	;; [unrolled: 1-line block ×4, first 2 shown]
	v_lshl_add_u64 v[2:3], v[98:99], 0, s[18:19]
	v_and_or_b32 v5, v145, s6, v144
	global_load_dword v10, v[2:3], off
	v_and_or_b32 v2, v136, s6, v135
	ds_write2_b32 v28, v5, v2 offset1:8
	s_waitcnt vmcnt(9)
	v_lshrrev_b32_e32 v2, 4, v137
	v_and_b32_e32 v11, 0xf0f0f0f, v2
	v_lshl_add_u64 v[2:3], v[104:105], 0, s[18:19]
	global_load_dword v12, v[2:3], off
	v_lshl_add_u64 v[2:3], v[102:103], 0, s[18:19]
	s_waitcnt vmcnt(9)
	v_ashrrev_i32_e32 v13, v39, v138
	global_load_dword v14, v[2:3], off
	v_ashrrev_i32_e32 v3, v158, v138
	v_and_b32_e32 v5, 0xf0f0f0f, v137
	v_lshlrev_b32_e32 v2, 4, v13
	v_lshlrev_b32_e32 v3, 4, v3
	v_and_or_b32 v5, v2, s6, v5
	v_and_or_b32 v11, v3, s6, v11
	v_lshl_add_u64 v[2:3], v[108:109], 0, s[18:19]
	global_load_dword v13, v[2:3], off
	v_lshl_add_u64 v[2:3], v[106:107], 0, s[18:19]
	ds_write2_b32 v30, v5, v11 offset1:8
	global_load_dword v5, v[2:3], off
	s_waitcnt vmcnt(11)
	v_lshrrev_b32_e32 v2, 4, v139
	v_and_b32_e32 v15, 0xf0f0f0f, v2
	s_waitcnt vmcnt(10)
	v_ashrrev_i32_e32 v2, v39, v140
	v_lshlrev_b32_e32 v16, 4, v2
	v_lshl_add_u64 v[2:3], v[112:113], 0, s[18:19]
	global_load_dword v17, v[2:3], off
	v_ashrrev_i32_e32 v19, v158, v140
	v_lshl_add_u64 v[2:3], v[110:111], 0, s[18:19]
	v_and_b32_e32 v11, 0xf0f0f0f, v139
	global_load_dword v134, v[2:3], off
	v_lshlrev_b32_e32 v2, 4, v19
	v_and_or_b32 v3, v16, s6, v11
	v_and_or_b32 v2, v2, s6, v15
	ds_write2_b32 v32, v3, v2 offset1:8
	v_lshl_add_u64 v[2:3], v[116:117], 0, s[18:19]
	global_load_dword v15, v[2:3], off
	v_lshl_add_u64 v[2:3], v[114:115], 0, s[18:19]
	global_load_dword v16, v[2:3], off
	s_waitcnt vmcnt(12)
	v_ashrrev_i32_e32 v2, v39, v7
	v_lshlrev_b32_e32 v19, 4, v2
	v_ashrrev_i32_e32 v2, v158, v7
	v_and_b32_e32 v11, 0xf0f0f0f, v6
	v_lshrrev_b32_e32 v6, 4, v6
	v_lshlrev_b32_e32 v7, 4, v2
	v_lshl_add_u64 v[2:3], v[120:121], 0, s[18:19]
	v_and_b32_e32 v6, 0xf0f0f0f, v6
	global_load_dword v135, v[2:3], off
	v_lshl_add_u64 v[2:3], v[118:119], 0, s[18:19]
	v_and_or_b32 v11, v19, s6, v11
	global_load_dword v19, v[2:3], off
	v_and_or_b32 v2, v7, s6, v6
	ds_write2_b32 v34, v11, v2 offset1:8
	s_waitcnt vmcnt(13)
	v_lshrrev_b32_e32 v2, 4, v8
	v_and_b32_e32 v7, 0xf0f0f0f, v2
	v_lshl_add_u64 v[2:3], v[124:125], 0, s[18:19]
	v_and_b32_e32 v6, 0xf0f0f0f, v8
	global_load_dword v8, v[2:3], off
	s_waitcnt vmcnt(13)
	v_ashrrev_i32_e32 v11, v39, v9
	v_lshl_add_u64 v[2:3], v[122:123], 0, s[18:19]
	global_load_dword v136, v[2:3], off
	v_lshlrev_b32_e32 v2, 4, v11
	v_ashrrev_i32_e32 v3, v158, v9
	v_lshlrev_b32_e32 v9, 4, v3
	v_and_or_b32 v6, v2, s6, v6
	v_lshl_add_u64 v[2:3], v[54:55], 0, s[18:19]
	global_load_dword v11, v[2:3], off
	v_lshl_add_u64 v[2:3], v[128:129], 0, s[18:19]
	global_load_dword v137, v[2:3], off
	;; [unrolled: 2-line block ×3, first 2 shown]
	v_lshl_add_u64 v[2:3], v[132:133], 0, s[18:19]
	v_and_or_b32 v7, v9, s6, v7
	global_load_dword v9, v[2:3], off
	v_lshl_add_u64 v[2:3], v[130:131], 0, s[18:19]
	global_load_dword v2, v[2:3], off
	ds_write2_b32 v36, v6, v7 offset1:8
	s_waitcnt vmcnt(18)
	v_and_b32_e32 v3, 0xf0f0f0f, v4
	v_lshrrev_b32_e32 v4, 4, v4
	v_and_b32_e32 v4, 0xf0f0f0f, v4
	s_waitcnt vmcnt(17)
	v_ashrrev_i32_e32 v6, v39, v10
	v_ashrrev_i32_e32 v7, v158, v10
	v_lshlrev_b32_e32 v6, 4, v6
	v_lshlrev_b32_e32 v7, 4, v7
	v_and_or_b32 v3, v6, s6, v3
	v_and_or_b32 v4, v7, s6, v4
	ds_write2_b32 v38, v3, v4 offset1:8
	s_waitcnt vmcnt(16)
	v_lshrrev_b32_e32 v4, 4, v12
	v_and_b32_e32 v3, 0xf0f0f0f, v12
	s_waitcnt vmcnt(15)
	v_ashrrev_i32_e32 v6, v39, v14
	v_ashrrev_i32_e32 v7, v158, v14
	v_and_b32_e32 v4, 0xf0f0f0f, v4
	v_lshlrev_b32_e32 v6, 4, v6
	v_lshlrev_b32_e32 v7, 4, v7
	v_and_or_b32 v3, v6, s6, v3
	v_and_or_b32 v4, v7, s6, v4
	ds_write2_b32 v40, v3, v4 offset1:8
	s_waitcnt vmcnt(14)
	v_lshrrev_b32_e32 v4, 4, v13
	v_and_b32_e32 v3, 0xf0f0f0f, v13
	v_and_b32_e32 v4, 0xf0f0f0f, v4
	s_waitcnt vmcnt(13)
	v_ashrrev_i32_e32 v6, v39, v5
	v_ashrrev_i32_e32 v5, v158, v5
	v_lshlrev_b32_e32 v6, 4, v6
	v_lshlrev_b32_e32 v5, 4, v5
	v_and_or_b32 v3, v6, s6, v3
	v_and_or_b32 v4, v5, s6, v4
	ds_write2_b32 v42, v3, v4 offset1:8
	s_waitcnt vmcnt(12)
	v_lshrrev_b32_e32 v4, 4, v17
	v_and_b32_e32 v3, 0xf0f0f0f, v17
	v_and_b32_e32 v4, 0xf0f0f0f, v4
	s_waitcnt vmcnt(11)
	v_ashrrev_i32_e32 v5, v39, v134
	v_ashrrev_i32_e32 v6, v158, v134
	v_lshlrev_b32_e32 v5, 4, v5
	v_lshlrev_b32_e32 v6, 4, v6
	v_and_or_b32 v3, v5, s6, v3
	v_and_or_b32 v4, v6, s6, v4
	ds_write2_b32 v44, v3, v4 offset1:8
	s_waitcnt vmcnt(10)
	v_lshrrev_b32_e32 v4, 4, v15
	s_waitcnt vmcnt(9)
	v_ashrrev_i32_e32 v5, v39, v16
	v_ashrrev_i32_e32 v6, v158, v16
	v_and_b32_e32 v3, 0xf0f0f0f, v15
	v_and_b32_e32 v4, 0xf0f0f0f, v4
	v_lshlrev_b32_e32 v5, 4, v5
	v_lshlrev_b32_e32 v6, 4, v6
	v_and_or_b32 v3, v5, s6, v3
	v_and_or_b32 v4, v6, s6, v4
	ds_write2_b32 v46, v3, v4 offset1:8
	s_waitcnt vmcnt(8)
	v_lshrrev_b32_e32 v4, 4, v135
	v_and_b32_e32 v3, 0xf0f0f0f, v135
	v_and_b32_e32 v4, 0xf0f0f0f, v4
	s_waitcnt vmcnt(7)
	v_ashrrev_i32_e32 v5, v39, v19
	v_ashrrev_i32_e32 v6, v158, v19
	v_lshlrev_b32_e32 v5, 4, v5
	v_lshlrev_b32_e32 v6, 4, v6
	v_and_or_b32 v3, v5, s6, v3
	v_and_or_b32 v4, v6, s6, v4
	ds_write2_b32 v48, v3, v4 offset1:8
	s_waitcnt vmcnt(6)
	v_lshrrev_b32_e32 v4, 4, v8
	v_and_b32_e32 v3, 0xf0f0f0f, v8
	v_and_b32_e32 v4, 0xf0f0f0f, v4
	s_waitcnt vmcnt(5)
	v_ashrrev_i32_e32 v5, v39, v136
	v_ashrrev_i32_e32 v6, v158, v136
	v_lshlrev_b32_e32 v5, 4, v5
	v_lshlrev_b32_e32 v6, 4, v6
	v_and_or_b32 v3, v5, s6, v3
	v_and_or_b32 v4, v6, s6, v4
	ds_write2_b32 v50, v3, v4 offset1:8
	s_waitcnt vmcnt(4)
	ds_write_b32 v21, v11
	s_waitcnt vmcnt(3)
	v_ashrrev_i32_e32 v3, v41, v137
	v_and_b32_e32 v3, 0xf0f0f0f, v3
	s_waitcnt vmcnt(2)
	v_ashrrev_i32_e32 v4, v43, v138
	v_and_or_b32 v3, v4, s25, v3
	ds_write_b32 v35, v3
	s_waitcnt vmcnt(1)
	v_ashrrev_i32_e32 v3, v41, v9
	v_and_b32_e32 v3, 0xf0f0f0f, v3
	s_waitcnt vmcnt(0)
	v_ashrrev_i32_e32 v2, v43, v2
	v_and_or_b32 v2, v2, s25, v3
	ds_write_b32 v37, v2
	s_cbranch_scc0 .LBB214_5
; %bb.7:                                ;   in Loop: Header=BB214_6 Depth=1
	v_cmp_gt_i32_e64 s[2:3], s8, v23
	s_and_b64 s[22:23], s[0:1], s[2:3]
	s_and_saveexec_b64 s[2:3], s[22:23]
	s_cbranch_execz .LBB214_9
; %bb.8:                                ;   in Loop: Header=BB214_6 Depth=1
	v_add_u32_e32 v2, v58, v23
	v_mad_i64_i32 v[2:3], s[22:23], v2, 36, v[56:57]
	global_load_dword v2, v[2:3], off offset:4
	s_waitcnt vmcnt(0)
	ds_write_b32 v156, v2
.LBB214_9:                              ;   in Loop: Header=BB214_6 Depth=1
	s_or_b64 exec, exec, s[2:3]
	v_cmp_gt_i32_e64 s[2:3], s8, v18
	s_and_b64 s[22:23], s[20:21], s[2:3]
	s_and_saveexec_b64 s[2:3], s[22:23]
	s_cbranch_execz .LBB214_11
; %bb.10:                               ;   in Loop: Header=BB214_6 Depth=1
	v_add_u32_e32 v2, v58, v18
	v_mad_i64_i32 v[2:3], s[22:23], v2, 36, s[14:15]
	global_load_dword v2, v[2:3], off
	v_add_u32_e32 v3, v154, v157
	s_waitcnt vmcnt(0)
	ds_write_b32 v3, v2
.LBB214_11:                             ;   in Loop: Header=BB214_6 Depth=1
	s_or_b64 exec, exec, s[2:3]
	s_waitcnt lgkmcnt(0)
	s_barrier
	ds_read_b128 v[14:17], v155
	ds_read_b128 v[10:13], v155 offset:16
	ds_read2_b32 v[134:135], v159 offset1:1
	ds_read_b128 v[6:9], v155 offset:32
	ds_read_b128 v[2:5], v155 offset:48
	;; [unrolled: 1-line block ×3, first 2 shown]
	ds_read2_b32 v[136:137], v159 offset0:2 offset1:3
	v_mov_b32_e32 v19, 0
	s_waitcnt lgkmcnt(4)
	v_dot4c_i32_i8_e32 v19, v134, v14
	v_dot4c_i32_i8_e32 v19, v135, v15
	ds_read2_b32 v[134:135], v159 offset0:4 offset1:5
	ds_read2_b32 v[138:139], v159 offset0:6 offset1:7
	;; [unrolled: 1-line block ×3, first 2 shown]
	s_waitcnt lgkmcnt(3)
	v_dot4c_i32_i8_e32 v19, v136, v16
	v_dot4c_i32_i8_e32 v19, v137, v17
	s_waitcnt lgkmcnt(2)
	v_dot4c_i32_i8_e32 v19, v134, v10
	v_dot4c_i32_i8_e32 v19, v135, v11
	ds_read2_b32 v[134:135], v159 offset0:10 offset1:11
	v_mov_b32_e32 v179, 0
	s_waitcnt lgkmcnt(1)
	v_dot4c_i32_i8_e32 v179, v140, v6
	v_dot4c_i32_i8_e32 v179, v141, v7
	;; [unrolled: 1-line block ×3, first 2 shown]
	s_waitcnt lgkmcnt(0)
	v_dot4c_i32_i8_e32 v179, v134, v8
	v_add_u32_e32 v134, 0x2080, v159
	ds_read2_b32 v[136:137], v25 offset1:2
	v_dot4c_i32_i8_e32 v19, v139, v13
	ds_read2_b32 v[138:139], v159 offset0:12 offset1:13
	ds_read2_b32 v[140:141], v159 offset0:14 offset1:15
	;; [unrolled: 1-line block ×3, first 2 shown]
	v_dot4c_i32_i8_e32 v179, v135, v9
	ds_read2_b32 v[134:135], v134 offset1:1
	v_mov_b32_e32 v180, 0
	ds_read_b32 v181, v47 offset:128
	ds_read_b32 v160, v49 offset:256
	;; [unrolled: 1-line block ×3, first 2 shown]
	s_waitcnt lgkmcnt(6)
	v_dot4c_i32_i8_e32 v179, v138, v2
	v_dot4c_i32_i8_e32 v179, v139, v3
	s_waitcnt lgkmcnt(3)
	v_dot4c_i32_i8_e32 v180, v134, v14
	v_add_u32_e32 v134, 0x2088, v159
	v_dot4c_i32_i8_e32 v180, v135, v15
	ds_read2_b32 v[134:135], v134 offset1:1
	v_dot4c_i32_i8_e32 v179, v140, v4
	v_add_u32_e32 v138, 0x2090, v159
	v_add_u32_e32 v140, 0x2098, v159
	v_dot4c_i32_i8_e32 v179, v141, v5
	v_add_u32_e32 v142, 0x20a0, v159
	ds_read2_b32 v[138:139], v138 offset1:1
	ds_read2_b32 v[140:141], v140 offset1:1
	ds_read2_b32 v[146:147], v142 offset1:1
	s_waitcnt lgkmcnt(3)
	v_dot4c_i32_i8_e32 v180, v134, v16
	v_add_u32_e32 v134, 0x20a8, v159
	v_dot4c_i32_i8_e32 v180, v135, v17
	ds_read2_b32 v[134:135], v134 offset1:1
	s_waitcnt lgkmcnt(3)
	v_dot4c_i32_i8_e32 v180, v138, v10
	v_dot4c_i32_i8_e32 v180, v139, v11
	v_mov_b32_e32 v184, 0
	s_waitcnt lgkmcnt(2)
	v_dot4c_i32_i8_e32 v180, v140, v12
	s_waitcnt lgkmcnt(1)
	v_dot4c_i32_i8_e32 v184, v146, v6
	v_add_u32_e32 v138, 0x20b0, v159
	v_add_u32_e32 v140, 0x20b8, v159
	;; [unrolled: 1-line block ×3, first 2 shown]
	ds_read2_b32 v[142:143], v29 offset1:2
	v_dot4c_i32_i8_e32 v180, v141, v13
	v_dot4c_i32_i8_e32 v184, v147, v7
	ds_read2_b32 v[138:139], v138 offset1:1
	ds_read2_b32 v[140:141], v140 offset1:1
	;; [unrolled: 1-line block ×3, first 2 shown]
	s_waitcnt lgkmcnt(4)
	v_dot4c_i32_i8_e32 v184, v134, v8
	v_add_u32_e32 v134, 0x4108, v159
	v_dot4c_i32_i8_e32 v184, v135, v9
	ds_read2_b32 v[134:135], v134 offset1:1
	s_waitcnt lgkmcnt(3)
	v_dot4c_i32_i8_e32 v184, v138, v2
	v_dot4c_i32_i8_e32 v184, v139, v3
	v_mov_b32_e32 v150, 0
	s_waitcnt lgkmcnt(2)
	v_dot4c_i32_i8_e32 v184, v140, v4
	s_waitcnt lgkmcnt(1)
	v_dot4c_i32_i8_e32 v150, v146, v14
	v_add_u32_e32 v138, 0x4110, v159
	v_add_u32_e32 v148, 0x4120, v159
	v_dot4c_i32_i8_e32 v184, v141, v5
	v_dot4c_i32_i8_e32 v150, v147, v15
	v_add_u32_e32 v139, 0x4118, v159
	ds_read2_b32 v[140:141], v138 offset1:1
	ds_read2_b32 v[146:147], v139 offset1:1
	ds_read2_b32 v[148:149], v148 offset1:1
	s_waitcnt lgkmcnt(3)
	v_dot4c_i32_i8_e32 v150, v134, v16
	ds_read2_b32 v[138:139], v31 offset1:2
	v_dot4c_i32_i8_e32 v150, v135, v17
	s_waitcnt lgkmcnt(3)
	v_dot4c_i32_i8_e32 v150, v140, v10
	v_add_u32_e32 v140, 0x4128, v159
	v_dot4c_i32_i8_e32 v150, v141, v11
	ds_read2_b32 v[140:141], v140 offset1:1
	s_waitcnt lgkmcnt(3)
	v_dot4c_i32_i8_e32 v150, v146, v12
	v_dot4c_i32_i8_e32 v150, v147, v13
	s_waitcnt lgkmcnt(1)
	v_and_b32_e32 v134, 0xff, v138
	v_mov_b32_e32 v152, 0
	v_dot4c_i32_i8_e32 v152, v148, v6
	v_mul_lo_u32 v134, v150, v134
	v_add_u32_e32 v146, 0x4130, v159
	v_add_u32_e32 v148, 0x4138, v159
	;; [unrolled: 1-line block ×3, first 2 shown]
	v_dot4c_i32_i8_e32 v152, v149, v7
	ds_read2_b32 v[146:147], v146 offset1:1
	ds_read2_b32 v[148:149], v148 offset1:1
	;; [unrolled: 1-line block ×3, first 2 shown]
	s_waitcnt lgkmcnt(3)
	v_dot4c_i32_i8_e32 v152, v140, v8
	v_dot4c_i32_i8_e32 v152, v141, v9
	s_waitcnt lgkmcnt(2)
	v_dot4c_i32_i8_e32 v152, v146, v2
	v_dot4c_i32_i8_e32 v152, v147, v3
	v_mov_b32_e32 v167, 0
	s_waitcnt lgkmcnt(1)
	v_dot4c_i32_i8_e32 v152, v148, v4
	s_waitcnt lgkmcnt(0)
	v_dot4c_i32_i8_e32 v167, v150, v14
	v_add_u32_e32 v14, 0x6188, v159
	v_add_u32_e32 v146, 0x6190, v159
	;; [unrolled: 1-line block ×4, first 2 shown]
	v_dot4c_i32_i8_e32 v152, v149, v5
	v_dot4c_i32_i8_e32 v167, v151, v15
	ds_read2_b32 v[14:15], v14 offset1:1
	ds_read2_b32 v[146:147], v146 offset1:1
	ds_read2_b32 v[148:149], v148 offset1:1
	ds_read2_b32 v[150:151], v150 offset1:1
	v_mov_b32_e32 v186, 0
	v_mov_b32_e32 v187, 0
	v_bfe_u32 v140, v138, 8, 8
	s_waitcnt lgkmcnt(3)
	v_dot4c_i32_i8_e32 v167, v14, v16
	s_waitcnt lgkmcnt(0)
	v_dot4c_i32_i8_e32 v186, v150, v6
	v_add_u32_e32 v6, 0x61a8, v159
	v_dot4c_i32_i8_e32 v167, v15, v17
	v_dot4c_i32_i8_e32 v186, v151, v7
	ds_read2_b32 v[6:7], v6 offset1:1
	v_dot4c_i32_i8_e32 v167, v146, v10
	v_dot4c_i32_i8_e32 v167, v147, v11
	;; [unrolled: 1-line block ×3, first 2 shown]
	v_add_u32_e32 v10, 0x61b0, v159
	v_add_u32_e32 v12, 0x61b8, v159
	v_dot4c_i32_i8_e32 v167, v149, v13
	v_add_u32_e32 v14, 0x61c0, v159
	ds_read2_b32 v[10:11], v10 offset1:1
	ds_read2_b32 v[12:13], v12 offset1:1
	;; [unrolled: 1-line block ×3, first 2 shown]
	s_waitcnt lgkmcnt(3)
	v_dot4c_i32_i8_e32 v186, v6, v8
	v_dot4c_i32_i8_e32 v186, v7, v9
	s_waitcnt lgkmcnt(2)
	v_dot4c_i32_i8_e32 v186, v10, v2
	v_dot4c_i32_i8_e32 v186, v11, v3
	;; [unrolled: 3-line block ×3, first 2 shown]
	ds_read_b128 v[14:17], v155 offset:64
	ds_read_b128 v[10:13], v155 offset:80
	;; [unrolled: 1-line block ×4, first 2 shown]
	ds_read2_b32 v[146:147], v159 offset0:18 offset1:19
	s_waitcnt lgkmcnt(4)
	v_dot4c_i32_i8_e32 v187, v144, v14
	v_dot4c_i32_i8_e32 v187, v145, v15
	ds_read2_b32 v[144:145], v159 offset0:20 offset1:21
	ds_read2_b32 v[148:149], v159 offset0:22 offset1:23
	;; [unrolled: 1-line block ×3, first 2 shown]
	v_mul_lo_u32 v140, v152, v140
	s_waitcnt lgkmcnt(3)
	v_dot4c_i32_i8_e32 v187, v146, v16
	v_mov_b32_e32 v146, 0
	v_dot4c_i32_i8_e32 v146, v150, v14
	v_add_u32_e32 v150, 0x61c8, v159
	v_dot4c_i32_i8_e32 v187, v147, v17
	v_dot4c_i32_i8_e32 v146, v151, v15
	ds_read2_b32 v[150:151], v150 offset1:1
	s_waitcnt lgkmcnt(3)
	v_dot4c_i32_i8_e32 v187, v144, v10
	v_dot4c_i32_i8_e32 v187, v145, v11
	v_cvt_f32_f16_e32 v152, v153
	v_cvt_f32_f16_sdwa v166, v153 dst_sel:DWORD dst_unused:UNUSED_PAD src0_sel:WORD_1
	s_waitcnt lgkmcnt(2)
	v_dot4c_i32_i8_e32 v187, v148, v12
	v_add_u32_e32 v153, 0x61d0, v159
	v_dot4c_i32_i8_e32 v187, v149, v13
	v_cvt_f32_f16_e32 v149, v164
	v_cvt_f32_f16_e32 v148, v162
	v_cvt_f32_f16_sdwa v145, v164 dst_sel:DWORD dst_unused:UNUSED_PAD src0_sel:WORD_1
	v_cvt_f32_f16_sdwa v144, v162 dst_sel:DWORD dst_unused:UNUSED_PAD src0_sel:WORD_1
	v_add_u32_e32 v162, 0x61d8, v159
	v_add_u32_e32 v164, 0x61e0, v159
	ds_read2_b32 v[170:171], v153 offset1:1
	ds_read2_b32 v[172:173], v162 offset1:1
	;; [unrolled: 1-line block ×3, first 2 shown]
	s_waitcnt lgkmcnt(3)
	v_dot4c_i32_i8_e32 v146, v150, v16
	ds_read2_b32 v[176:177], v33 offset1:2
	v_dot4c_i32_i8_e32 v146, v151, v17
	s_waitcnt lgkmcnt(3)
	v_dot4c_i32_i8_e32 v146, v170, v10
	v_dot4c_i32_i8_e32 v146, v171, v11
	s_waitcnt lgkmcnt(2)
	v_dot4c_i32_i8_e32 v146, v172, v12
	v_dot4c_i32_i8_e32 v146, v173, v13
	s_waitcnt lgkmcnt(0)
	v_and_b32_e32 v150, 0xff, v176
	v_bfe_u32 v151, v176, 16, 8
	v_mul_lo_u32 v150, v167, v150
	v_mul_lo_u32 v146, v146, v151
	v_add_u32_e32 v164, 0x61e8, v159
	v_cvt_f32_f16_e32 v147, v165
	v_cvt_f32_i32_e32 v171, v146
	v_cvt_f32_i32_e32 v170, v150
	v_cvt_f32_f16_sdwa v151, v165 dst_sel:DWORD dst_unused:UNUSED_PAD src0_sel:WORD_1
	ds_read2_b32 v[164:165], v164 offset1:1
	v_mov_b32_e32 v153, 0
	v_mov_b32_e32 v188, 0
	v_dot4c_i32_i8_e32 v153, v174, v6
	v_add_u32_e32 v167, 0x61f0, v159
	v_add_u32_e32 v174, 0x20c0, v159
	v_dot4c_i32_i8_e32 v188, v168, v6
	v_cvt_f32_f16_e32 v146, v163
	v_cvt_f32_f16_sdwa v150, v163 dst_sel:DWORD dst_unused:UNUSED_PAD src0_sel:WORD_1
	v_pk_fma_f32 v[162:163], v[148:149], v[170:171], 0 op_sel_hi:[1,1,0]
	v_dot4c_i32_i8_e32 v153, v175, v7
	v_add_u32_e32 v168, 0x61f8, v159
	ds_read2_b32 v[170:171], v167 offset1:1
	ds_read2_b32 v[172:173], v168 offset1:1
	;; [unrolled: 1-line block ×3, first 2 shown]
	s_waitcnt lgkmcnt(3)
	v_dot4c_i32_i8_e32 v153, v164, v8
	v_dot4c_i32_i8_e32 v153, v165, v9
	s_waitcnt lgkmcnt(2)
	v_dot4c_i32_i8_e32 v153, v170, v2
	v_dot4c_i32_i8_e32 v153, v171, v3
	;; [unrolled: 3-line block ×3, first 2 shown]
	v_lshrrev_b32_e32 v164, 24, v176
	v_bfe_u32 v165, v176, 8, 8
	v_mul_lo_u32 v167, v186, v165
	v_mul_lo_u32 v153, v153, v164
	v_cvt_f32_i32_e32 v165, v153
	v_cvt_f32_i32_e32 v164, v167
	v_cvt_f32_ubyte2_e32 v171, v177
	v_cvt_f32_ubyte0_e32 v170, v177
	v_pk_fma_f32 v[170:171], v[144:145], v[170:171], 0 op_sel_hi:[1,1,0]
	v_pk_fma_f32 v[162:163], v[146:147], v[164:165], v[162:163]
	v_cvt_f32_ubyte3_e32 v165, v177
	v_cvt_f32_ubyte1_e32 v164, v177
	v_pk_fma_f32 v[164:165], v[150:151], v[164:165], v[170:171]
	v_and_b32_e32 v178, 0xff, v136
	v_pk_mul_f32 v[164:165], v[164:165], v[166:167] op_sel_hi:[1,0]
	v_and_b32_e32 v183, 0xff, v142
	v_pk_fma_f32 v[152:153], v[162:163], v[152:153], v[164:165] op_sel_hi:[1,0,1] neg_lo:[0,0,1] neg_hi:[0,0,1]
	ds_read2_b32 v[162:163], v159 offset0:26 offset1:27
	v_dot4c_i32_i8_e32 v188, v169, v7
	ds_read_b32 v186, v45
	ds_read2_b32 v[164:165], v159 offset0:28 offset1:29
	ds_read2_b32 v[166:167], v159 offset0:30 offset1:31
	v_mul_lo_u32 v19, v19, v178
	v_cvt_f32_i32_e32 v168, v19
	s_waitcnt lgkmcnt(3)
	v_dot4c_i32_i8_e32 v188, v162, v8
	v_mul_lo_u32 v162, v180, v183
	v_cvt_f32_i32_e32 v169, v162
	v_bfe_u32 v19, v142, 8, 8
	v_bfe_u32 v162, v136, 8, 8
	v_mul_lo_u32 v162, v179, v162
	v_mul_lo_u32 v19, v184, v19
	v_cvt_f32_i32_e32 v173, v19
	v_cvt_f32_i32_e32 v172, v162
	v_cvt_f32_f16_e32 v179, v181
	v_cvt_f32_f16_sdwa v181, v181 dst_sel:DWORD dst_unused:UNUSED_PAD src0_sel:WORD_1
	s_waitcnt lgkmcnt(2)
	v_cvt_f32_f16_sdwa v180, v186 dst_sel:DWORD dst_unused:UNUSED_PAD src0_sel:WORD_1
	v_cvt_f32_ubyte0_e32 v171, v143
	v_cvt_f32_ubyte0_e32 v170, v137
	v_cvt_f32_f16_e32 v178, v186
	v_cvt_f32_ubyte1_e32 v177, v143
	v_cvt_f32_ubyte1_e32 v176, v137
	v_pk_fma_f32 v[170:171], v[144:145], v[170:171], 0 op_sel_hi:[0,1,0]
	v_add_u32_e32 v162, 0x20c8, v159
	v_pk_fma_f32 v[168:169], v[148:149], v[168:169], 0 op_sel_hi:[0,1,0]
	v_pk_fma_f32 v[170:171], v[150:151], v[176:177], v[170:171] op_sel_hi:[0,1,1]
	v_dot4c_i32_i8_e32 v188, v163, v9
	ds_read2_b32 v[162:163], v162 offset1:1
	v_pk_fma_f32 v[168:169], v[146:147], v[172:173], v[168:169] op_sel_hi:[0,1,1]
	v_pk_mul_f32 v[170:171], v[170:171], v[180:181]
	v_mov_b32_e32 v19, 0
	v_pk_fma_f32 v[168:169], v[168:169], v[178:179], v[170:171] neg_lo:[0,0,1] neg_hi:[0,0,1]
	s_waitcnt lgkmcnt(2)
	v_dot4c_i32_i8_e32 v188, v164, v2
	v_pk_add_f32 v[52:53], v[52:53], v[168:169]
	v_dot4c_i32_i8_e32 v19, v174, v14
	v_add_u32_e32 v164, 0x20d0, v159
	v_add_u32_e32 v168, 0x20d8, v159
	;; [unrolled: 1-line block ×3, first 2 shown]
	v_dot4c_i32_i8_e32 v188, v165, v3
	v_dot4c_i32_i8_e32 v19, v175, v15
	ds_read2_b32 v[164:165], v164 offset1:1
	ds_read2_b32 v[168:169], v168 offset1:1
	;; [unrolled: 1-line block ×3, first 2 shown]
	s_waitcnt lgkmcnt(3)
	v_dot4c_i32_i8_e32 v19, v162, v16
	v_dot4c_i32_i8_e32 v19, v163, v17
	s_waitcnt lgkmcnt(2)
	v_dot4c_i32_i8_e32 v19, v164, v10
	v_dot4c_i32_i8_e32 v19, v165, v11
	s_waitcnt lgkmcnt(1)
	v_dot4c_i32_i8_e32 v19, v168, v12
	v_lshrrev_b32_e32 v161, 24, v136
	v_lshrrev_b32_e32 v182, 24, v142
	v_dot4c_i32_i8_e32 v19, v169, v13
	v_bfe_u32 v142, v142, 16, 8
	v_bfe_u32 v136, v136, 16, 8
	v_mul_lo_u32 v136, v187, v136
	v_mul_lo_u32 v19, v19, v142
	v_cvt_f32_i32_e32 v163, v19
	v_cvt_f32_i32_e32 v162, v136
	v_mov_b32_e32 v136, v149
	v_dot4c_i32_i8_e32 v188, v166, v4
	v_dot4c_i32_i8_e32 v188, v167, v5
	v_pk_fma_f32 v[162:163], v[136:137], v[162:163], 0 op_sel_hi:[0,1,0]
	v_add_u32_e32 v136, 0x20e8, v159
	ds_read2_b32 v[166:167], v136 offset1:1
	v_mov_b32_e32 v19, 0
	s_waitcnt lgkmcnt(1)
	v_dot4c_i32_i8_e32 v19, v170, v6
	v_add_u32_e32 v136, 0x20f0, v159
	v_add_u32_e32 v172, 0x4140, v159
	v_dot4c_i32_i8_e32 v19, v171, v7
	v_add_u32_e32 v142, 0x20f8, v159
	ds_read2_b32 v[168:169], v136 offset1:1
	ds_read2_b32 v[170:171], v142 offset1:1
	ds_read2_b32 v[172:173], v172 offset1:1
	s_waitcnt lgkmcnt(3)
	v_dot4c_i32_i8_e32 v19, v166, v8
	v_dot4c_i32_i8_e32 v19, v167, v9
	s_waitcnt lgkmcnt(2)
	v_dot4c_i32_i8_e32 v19, v168, v2
	v_dot4c_i32_i8_e32 v19, v169, v3
	;; [unrolled: 3-line block ×3, first 2 shown]
	v_mul_lo_u32 v136, v188, v161
	v_cvt_f32_i32_e32 v166, v136
	v_cvt_f32_ubyte2_e32 v165, v143
	v_mul_lo_u32 v19, v19, v182
	v_cvt_f32_i32_e32 v167, v19
	v_cvt_f32_ubyte2_e32 v164, v137
	v_mov_b32_e32 v136, v145
	v_pk_fma_f32 v[164:165], v[136:137], v[164:165], 0 op_sel_hi:[0,1,0]
	v_mov_b32_e32 v136, v147
	v_pk_fma_f32 v[162:163], v[136:137], v[166:167], v[162:163] op_sel_hi:[0,1,1]
	v_cvt_f32_ubyte3_e32 v143, v143
	v_cvt_f32_ubyte3_e32 v142, v137
	v_mov_b32_e32 v136, v151
	v_pk_fma_f32 v[136:137], v[136:137], v[142:143], v[164:165] op_sel_hi:[0,1,1]
	v_mov_b32_e32 v19, 0
	v_pk_mul_f32 v[136:137], v[136:137], v[180:181]
	s_waitcnt lgkmcnt(0)
	v_dot4c_i32_i8_e32 v19, v172, v14
	v_add_u32_e32 v14, 0x4148, v159
	v_pk_fma_f32 v[136:137], v[162:163], v[178:179], v[136:137] neg_lo:[0,0,1] neg_hi:[0,0,1]
	v_dot4c_i32_i8_e32 v19, v173, v15
	ds_read2_b32 v[14:15], v14 offset1:1
	v_pk_add_f32 v[52:53], v[52:53], v[136:137]
	v_add_u32_e32 v136, 0x4150, v159
	v_add_u32_e32 v142, 0x4158, v159
	;; [unrolled: 1-line block ×3, first 2 shown]
	ds_read2_b32 v[136:137], v136 offset1:1
	ds_read2_b32 v[142:143], v142 offset1:1
	ds_read2_b32 v[162:163], v161 offset1:1
	s_waitcnt lgkmcnt(3)
	v_dot4c_i32_i8_e32 v19, v14, v16
	v_dot4c_i32_i8_e32 v19, v15, v17
	v_mov_b32_e32 v16, 0
	s_waitcnt lgkmcnt(2)
	v_dot4c_i32_i8_e32 v19, v136, v10
	s_waitcnt lgkmcnt(0)
	v_dot4c_i32_i8_e32 v16, v162, v6
	v_add_u32_e32 v6, 0x4168, v159
	v_dot4c_i32_i8_e32 v19, v137, v11
	v_dot4c_i32_i8_e32 v16, v163, v7
	ds_read2_b32 v[6:7], v6 offset1:1
	v_dot4c_i32_i8_e32 v19, v142, v12
	v_add_u32_e32 v12, 0x4170, v159
	v_dot4c_i32_i8_e32 v19, v143, v13
	ds_read2_b32 v[12:13], v12 offset1:1
	v_add_u32_e32 v14, 0x4178, v159
	ds_read2_b32 v[14:15], v14 offset1:1
	s_waitcnt lgkmcnt(2)
	v_dot4c_i32_i8_e32 v16, v6, v8
	v_dot4c_i32_i8_e32 v16, v7, v9
	s_waitcnt lgkmcnt(1)
	v_dot4c_i32_i8_e32 v16, v12, v2
	v_cvt_f32_i32_e32 v134, v134
	v_dot4c_i32_i8_e32 v16, v13, v3
	v_cvt_f32_i32_e32 v140, v140
	v_bfe_u32 v10, v138, 16, 8
	s_waitcnt lgkmcnt(0)
	v_dot4c_i32_i8_e32 v16, v14, v4
	v_lshrrev_b32_e32 v185, 24, v138
	v_mul_lo_u32 v10, v19, v10
	v_dot4c_i32_i8_e32 v16, v15, v5
	v_cvt_f32_f16_sdwa v5, v160 dst_sel:DWORD dst_unused:UNUSED_PAD src0_sel:WORD_1
	v_cvt_f32_ubyte0_e32 v135, v139
	v_cvt_f32_i32_e32 v10, v10
	v_mul_lo_u32 v2, v16, v185
	v_cvt_f32_f16_e32 v4, v160
	v_mov_b32_e32 v6, v148
	v_mov_b32_e32 v7, v144
	v_cvt_f32_ubyte1_e32 v141, v139
	v_cvt_f32_i32_e32 v2, v2
	v_pk_fma_f32 v[6:7], v[6:7], v[134:135], 0 op_sel_hi:[1,1,0]
	v_mov_b32_e32 v8, v146
	v_mov_b32_e32 v9, v150
	v_pk_fma_f32 v[6:7], v[8:9], v[140:141], v[6:7]
	v_cvt_f32_ubyte2_e32 v11, v139
	v_mul_f32_e32 v8, v7, v5
	v_mov_b32_e32 v144, v149
	v_cvt_f32_ubyte3_e32 v3, v139
	v_pk_fma_f32 v[6:7], v[6:7], v[4:5], v[8:9] op_sel_hi:[1,1,0] neg_lo:[0,0,1] neg_hi:[0,0,1]
	v_pk_fma_f32 v[8:9], v[144:145], v[10:11], 0 op_sel_hi:[1,1,0]
	v_mov_b32_e32 v150, v147
	v_pk_fma_f32 v[2:3], v[150:151], v[2:3], v[8:9]
	v_mov_b32_e32 v7, v152
	v_mul_f32_e32 v8, v3, v5
	v_pk_fma_f32 v[2:3], v[2:3], v[4:5], v[8:9] op_sel_hi:[1,1,0] neg_lo:[0,0,1] neg_hi:[0,0,1]
	v_pk_add_f32 v[4:5], v[78:79], v[6:7]
	v_mov_b32_e32 v3, v153
	v_pk_add_f32 v[78:79], v[4:5], v[2:3]
	s_cmp_ge_i32 s4, s5
	s_barrier
	s_cbranch_scc1 .LBB214_5
; %bb.12:                               ;   in Loop: Header=BB214_6 Depth=1
	v_cmp_gt_i32_e64 s[2:3], s8, v27
	s_and_b64 s[22:23], s[0:1], s[2:3]
	s_and_saveexec_b64 s[2:3], s[22:23]
	s_cbranch_execz .LBB214_14
; %bb.13:                               ;   in Loop: Header=BB214_6 Depth=1
	v_add_u32_e32 v2, v58, v27
	v_mad_i64_i32 v[2:3], s[22:23], v2, 36, v[56:57]
	global_load_dword v2, v[2:3], off offset:4
	s_waitcnt vmcnt(0)
	ds_write_b32 v156, v2
.LBB214_14:                             ;   in Loop: Header=BB214_6 Depth=1
	s_or_b64 exec, exec, s[2:3]
	s_and_saveexec_b64 s[22:23], vcc
	s_cbranch_execz .LBB214_4
; %bb.15:                               ;   in Loop: Header=BB214_6 Depth=1
	v_add_u32_e32 v2, 4, v18
	v_cmp_gt_i32_e64 s[2:3], s8, v2
	s_and_b64 s[2:3], s[0:1], s[2:3]
	s_and_b64 exec, exec, s[2:3]
	s_cbranch_execz .LBB214_4
; %bb.16:                               ;   in Loop: Header=BB214_6 Depth=1
	v_ashrrev_i32_e32 v19, 31, v18
	v_lshl_add_u64 v[2:3], v[58:59], 0, v[18:19]
	v_mad_u64_u32 v[4:5], s[2:3], v2, 36, s[14:15]
	v_mad_i32_i24 v5, v3, 36, v5
	global_load_dword v2, v[4:5], off offset:144
	v_add_u32_e32 v3, v154, v157
	s_waitcnt vmcnt(0)
	ds_write_b32 v3, v2
	s_branch .LBB214_4
.LBB214_17:
	s_mul_i32 s0, s10, s7
	s_waitcnt vmcnt(0)
	v_cmp_gt_i32_e32 vcc, s0, v1
	s_and_saveexec_b64 s[0:1], vcc
	s_cbranch_execz .LBB214_26
; %bb.18:
	v_and_b32_e32 v0, 0x3ff, v0
	v_add_u32_e32 v2, s11, v0
	v_mul_lo_u32 v0, v1, s9
	v_cmp_gt_u32_e32 vcc, s9, v2
	s_and_saveexec_b64 s[0:1], vcc
	s_cbranch_execz .LBB214_20
; %bb.19:
	v_cvt_f16_f32_e32 v1, v52
	v_add_u32_e32 v4, v0, v2
	v_mov_b32_e32 v5, 0
	v_lshl_add_u64 v[4:5], v[4:5], 1, s[16:17]
	global_store_short v[4:5], v1, off
.LBB214_20:
	s_or_b64 exec, exec, s[0:1]
	v_add_u32_e32 v1, 32, v2
	v_cmp_gt_u32_e32 vcc, s9, v1
	s_and_saveexec_b64 s[0:1], vcc
	s_cbranch_execz .LBB214_22
; %bb.21:
	v_cvt_f16_f32_e32 v3, v53
	v_add_u32_e32 v4, v0, v1
	v_mov_b32_e32 v5, 0
	v_lshl_add_u64 v[4:5], v[4:5], 1, s[16:17]
	global_store_short v[4:5], v3, off
.LBB214_22:
	s_or_b64 exec, exec, s[0:1]
	v_add_u32_e32 v1, 64, v2
	;; [unrolled: 12-line block ×3, first 2 shown]
	v_cmp_gt_u32_e32 vcc, s9, v1
	s_and_b64 exec, exec, vcc
	s_cbranch_execz .LBB214_26
; %bb.25:
	v_cvt_f16_f32_e32 v2, v79
	v_add_u32_e32 v0, v0, v1
	v_mov_b32_e32 v1, 0
	v_lshl_add_u64 v[0:1], v[0:1], 1, s[16:17]
	global_store_short v[0:1], v2, off
.LBB214_26:
	s_endpgm
	.section	.rodata,"a",@progbits
	.p2align	6, 0x0
	.amdhsa_kernel _ZL8moe_q5_KIN3c104HalfELb1EEvPKvS3_PT_PKiS7_S7_iiiiiii
		.amdhsa_group_segment_fixed_size 37072
		.amdhsa_private_segment_fixed_size 0
		.amdhsa_kernarg_size 76
		.amdhsa_user_sgpr_count 2
		.amdhsa_user_sgpr_dispatch_ptr 0
		.amdhsa_user_sgpr_queue_ptr 0
		.amdhsa_user_sgpr_kernarg_segment_ptr 1
		.amdhsa_user_sgpr_dispatch_id 0
		.amdhsa_user_sgpr_kernarg_preload_length 0
		.amdhsa_user_sgpr_kernarg_preload_offset 0
		.amdhsa_user_sgpr_private_segment_size 0
		.amdhsa_uses_dynamic_stack 0
		.amdhsa_enable_private_segment 0
		.amdhsa_system_sgpr_workgroup_id_x 1
		.amdhsa_system_sgpr_workgroup_id_y 1
		.amdhsa_system_sgpr_workgroup_id_z 0
		.amdhsa_system_sgpr_workgroup_info 0
		.amdhsa_system_vgpr_workitem_id 1
		.amdhsa_next_free_vgpr 189
		.amdhsa_next_free_sgpr 96
		.amdhsa_accum_offset 192
		.amdhsa_reserve_vcc 1
		.amdhsa_float_round_mode_32 0
		.amdhsa_float_round_mode_16_64 0
		.amdhsa_float_denorm_mode_32 3
		.amdhsa_float_denorm_mode_16_64 3
		.amdhsa_dx10_clamp 1
		.amdhsa_ieee_mode 1
		.amdhsa_fp16_overflow 0
		.amdhsa_tg_split 0
		.amdhsa_exception_fp_ieee_invalid_op 0
		.amdhsa_exception_fp_denorm_src 0
		.amdhsa_exception_fp_ieee_div_zero 0
		.amdhsa_exception_fp_ieee_overflow 0
		.amdhsa_exception_fp_ieee_underflow 0
		.amdhsa_exception_fp_ieee_inexact 0
		.amdhsa_exception_int_div_zero 0
	.end_amdhsa_kernel
	.section	.text._ZL8moe_q5_KIN3c104HalfELb1EEvPKvS3_PT_PKiS7_S7_iiiiiii,"axG",@progbits,_ZL8moe_q5_KIN3c104HalfELb1EEvPKvS3_PT_PKiS7_S7_iiiiiii,comdat
.Lfunc_end214:
	.size	_ZL8moe_q5_KIN3c104HalfELb1EEvPKvS3_PT_PKiS7_S7_iiiiiii, .Lfunc_end214-_ZL8moe_q5_KIN3c104HalfELb1EEvPKvS3_PT_PKiS7_S7_iiiiiii
                                        ; -- End function
	.set _ZL8moe_q5_KIN3c104HalfELb1EEvPKvS3_PT_PKiS7_S7_iiiiiii.num_vgpr, 189
	.set _ZL8moe_q5_KIN3c104HalfELb1EEvPKvS3_PT_PKiS7_S7_iiiiiii.num_agpr, 0
	.set _ZL8moe_q5_KIN3c104HalfELb1EEvPKvS3_PT_PKiS7_S7_iiiiiii.numbered_sgpr, 26
	.set _ZL8moe_q5_KIN3c104HalfELb1EEvPKvS3_PT_PKiS7_S7_iiiiiii.num_named_barrier, 0
	.set _ZL8moe_q5_KIN3c104HalfELb1EEvPKvS3_PT_PKiS7_S7_iiiiiii.private_seg_size, 0
	.set _ZL8moe_q5_KIN3c104HalfELb1EEvPKvS3_PT_PKiS7_S7_iiiiiii.uses_vcc, 1
	.set _ZL8moe_q5_KIN3c104HalfELb1EEvPKvS3_PT_PKiS7_S7_iiiiiii.uses_flat_scratch, 0
	.set _ZL8moe_q5_KIN3c104HalfELb1EEvPKvS3_PT_PKiS7_S7_iiiiiii.has_dyn_sized_stack, 0
	.set _ZL8moe_q5_KIN3c104HalfELb1EEvPKvS3_PT_PKiS7_S7_iiiiiii.has_recursion, 0
	.set _ZL8moe_q5_KIN3c104HalfELb1EEvPKvS3_PT_PKiS7_S7_iiiiiii.has_indirect_call, 0
	.section	.AMDGPU.csdata,"",@progbits
; Kernel info:
; codeLenInByte = 10320
; TotalNumSgprs: 32
; NumVgprs: 189
; NumAgprs: 0
; TotalNumVgprs: 189
; ScratchSize: 0
; MemoryBound: 0
; FloatMode: 240
; IeeeMode: 1
; LDSByteSize: 37072 bytes/workgroup (compile time only)
; SGPRBlocks: 12
; VGPRBlocks: 23
; NumSGPRsForWavesPerEU: 102
; NumVGPRsForWavesPerEU: 189
; AccumOffset: 192
; Occupancy: 2
; WaveLimiterHint : 1
; COMPUTE_PGM_RSRC2:SCRATCH_EN: 0
; COMPUTE_PGM_RSRC2:USER_SGPR: 2
; COMPUTE_PGM_RSRC2:TRAP_HANDLER: 0
; COMPUTE_PGM_RSRC2:TGID_X_EN: 1
; COMPUTE_PGM_RSRC2:TGID_Y_EN: 1
; COMPUTE_PGM_RSRC2:TGID_Z_EN: 0
; COMPUTE_PGM_RSRC2:TIDIG_COMP_CNT: 1
; COMPUTE_PGM_RSRC3_GFX90A:ACCUM_OFFSET: 47
; COMPUTE_PGM_RSRC3_GFX90A:TG_SPLIT: 0
	.section	.text._ZL8moe_q6_KIN3c104HalfELb0EEvPKvS3_PT_PKiS7_S7_iiiiiii,"axG",@progbits,_ZL8moe_q6_KIN3c104HalfELb0EEvPKvS3_PT_PKiS7_S7_iiiiiii,comdat
	.globl	_ZL8moe_q6_KIN3c104HalfELb0EEvPKvS3_PT_PKiS7_S7_iiiiiii ; -- Begin function _ZL8moe_q6_KIN3c104HalfELb0EEvPKvS3_PT_PKiS7_S7_iiiiiii
	.p2align	8
	.type	_ZL8moe_q6_KIN3c104HalfELb0EEvPKvS3_PT_PKiS7_S7_iiiiiii,@function
_ZL8moe_q6_KIN3c104HalfELb0EEvPKvS3_PT_PKiS7_S7_iiiiiii: ; @_ZL8moe_q6_KIN3c104HalfELb0EEvPKvS3_PT_PKiS7_S7_iiiiiii
; %bb.0:
	s_load_dwordx4 s[4:7], s[0:1], 0x18
	s_mov_b32 s8, s3
	s_mov_b32 s9, 0
	s_lshl_b64 s[10:11], s[8:9], 2
	s_waitcnt lgkmcnt(0)
	s_add_u32 s6, s6, s10
	s_addc_u32 s7, s7, s11
	s_load_dword s3, s[6:7], 0x0
	s_waitcnt lgkmcnt(0)
	s_cmpk_gt_u32 s3, 0xff
	s_cbranch_scc1 .LBB215_26
; %bb.1:
	s_load_dwordx2 s[6:7], s[0:1], 0x28
	s_waitcnt lgkmcnt(0)
	s_load_dword s7, s[6:7], 0x0
	s_lshl_b32 s6, s8, 3
	s_waitcnt lgkmcnt(0)
	s_cmp_gt_u32 s6, s7
	s_cbranch_scc1 .LBB215_26
; %bb.2:
	v_bfe_u32 v2, v0, 10, 10
	v_mov_b32_e32 v4, s4
	v_mov_b32_e32 v5, s5
	v_add_u32_e32 v78, s6, v2
	v_mov_b32_e32 v79, 0
	v_lshl_add_u64 v[4:5], v[78:79], 2, v[4:5]
	global_load_dword v1, v[4:5], off
	s_load_dwordx2 s[14:15], s[0:1], 0x30
	s_load_dwordx2 s[12:13], s[0:1], 0x10
	s_load_dwordx4 s[4:7], s[0:1], 0x3c
	s_lshl_b32 s22, s2, 7
	v_mov_b32_e32 v78, v79
	s_waitcnt lgkmcnt(0)
	s_cmpk_lt_i32 s15, 0x100
	v_mov_b32_e32 v23, v79
	v_mov_b32_e32 v22, v79
	s_cbranch_scc1 .LBB215_17
; %bb.3:
	s_load_dwordx4 s[8:11], s[0:1], 0x0
	s_ashr_i32 s0, s15, 31
	s_lshr_b32 s0, s0, 24
	s_add_i32 s0, s15, s0
	s_ashr_i32 s23, s0, 8
	s_ashr_i32 s0, s5, 31
	v_and_b32_e32 v4, 31, v0
	s_lshr_b32 s0, s0, 27
	v_add_u16_e32 v6, -16, v4
	v_cmp_gt_u32_e32 vcc, 16, v4
	s_add_i32 s0, s5, s0
	v_lshlrev_b32_e32 v5, 1, v4
	v_lshlrev_b32_e32 v22, 2, v4
	v_cndmask_b32_e32 v4, v6, v4, vcc
	s_ashr_i32 s5, s0, 5
	v_cmp_lt_u16_e64 s[0:1], 7, v4
	v_add_u32_e32 v4, 0xe0, v5
	v_cndmask_b32_e32 v4, v4, v5, vcc
	v_and_b32_e32 v4, 0xfe, v4
	v_sub_u32_e32 v4, v5, v4
	v_and_b32_e32 v5, 15, v0
	v_mul_u32_u24_e32 v6, 0x41, v2
	v_cndmask_b32_e64 v105, 0, 2, s[0:1]
	v_lshlrev_b32_e32 v4, 2, v4
	v_lshlrev_b32_e32 v5, 2, v5
	;; [unrolled: 1-line block ×3, first 2 shown]
	s_lshl_b32 s0, s23, 3
	v_add3_u32 v112, v4, v5, v6
	v_mov_b32_e32 v4, s0
	v_mad_i32_i24 v14, s23, v2, v4
	v_add_u32_e32 v15, s0, v14
	v_add_u32_e32 v16, s0, v15
	;; [unrolled: 1-line block ×9, first 2 shown]
	v_and_b32_e32 v24, 0x3ff, v0
	v_add_u32_e32 v74, s0, v70
	v_add_u32_e32 v78, s0, v74
	v_lshl_add_u32 v4, v2, 5, v24
	v_add_u32_e32 v79, s0, v78
	v_and_b32_e32 v5, 0x7f, v4
	v_lshrrev_b32_e32 v4, 3, v4
	v_add_u32_e32 v88, s0, v79
	v_mul_i32_i24_e32 v96, s23, v5
	v_and_b32_e32 v4, 12, v4
	v_lshlrev_b32_e32 v5, 2, v5
	s_mov_b32 s0, 0x8e40
	v_lshlrev_b32_e32 v6, 3, v2
	v_bfe_u32 v7, v0, 2, 8
	v_add3_u32 v114, v5, v4, s0
	v_add_u32_e32 v9, v7, v6
	v_lshlrev_b32_e32 v4, 2, v0
	v_add_u16_e32 v6, v7, v6
	v_and_b32_e32 v4, 12, v4
	v_and_b32_e32 v11, 0x7f, v9
	v_lshrrev_b16_e32 v6, 1, v6
	v_mul_i32_i24_e32 v98, s23, v11
	v_lshl_or_b32 v11, v11, 4, v4
	v_and_b32_e32 v6, 60, v6
	s_mov_b32 s1, 0x8200
	v_add3_u32 v115, v11, v6, s1
	v_mov_b32_e32 v11, 0x8a40
	v_bfe_u32 v121, v0, 3, 7
	v_bfe_u32 v3, v0, 5, 5
	v_mov_b32_e32 v6, 0x7f
	v_lshl_add_u32 v118, v2, 7, v11
	v_lshlrev_b32_e32 v11, 2, v121
	v_lshlrev_b32_e32 v12, 4, v24
	v_bitop3_b32 v6, v9, 64, v6 bitop3:0x6c
	v_lshlrev_b32_e32 v9, 2, v24
	v_add3_u32 v122, v12, v11, s1
	v_lshlrev_b32_e32 v11, 2, v3
	v_add3_u32 v124, v11, v9, s0
	v_add_u32_e32 v11, 32, v24
	v_lshrrev_b32_e32 v125, 3, v11
	v_lshlrev_b32_e32 v12, 2, v125
	v_lshlrev_b32_e32 v11, 4, v11
	v_add3_u32 v126, v12, v11, s1
	v_and_b32_e32 v11, 60, v125
	v_add3_u32 v127, v9, v11, s0
	v_add_u32_e32 v11, 64, v24
	v_lshrrev_b32_e32 v12, 3, v11
	v_lshlrev_b32_e32 v13, 2, v12
	v_lshlrev_b32_e32 v11, 4, v11
	s_abs_i32 s2, s7
	v_add3_u32 v128, v13, v11, s1
	v_and_b32_e32 v11, 60, v12
	v_cvt_f32_u32_e32 v26, s2
	v_add3_u32 v129, v9, v11, s0
	v_add_u32_e32 v11, 0x60, v24
	v_lshrrev_b32_e32 v12, 3, v11
	v_lshlrev_b32_e32 v13, 2, v12
	v_lshlrev_b32_e32 v11, 4, v11
	v_add3_u32 v130, v13, v11, s1
	v_and_b32_e32 v11, 60, v12
	v_rcp_iflag_f32_e32 v12, v26
	v_add3_u32 v131, v9, v11, s0
	s_sub_i32 s0, 0, s2
	v_mul_i32_i24_e32 v100, s23, v6
	v_mul_f32_e32 v11, 0x4f7ffffe, v12
	v_cvt_u32_f32_e32 v11, v11
	s_waitcnt vmcnt(0)
	v_sub_u32_e32 v12, 0, v1
	v_max_i32_e32 v12, v1, v12
	v_lshl_or_b32 v7, v6, 4, v4
	v_mul_lo_u32 v13, s0, v11
	v_mul_hi_u32 v13, v11, v13
	v_add_u32_e32 v11, v11, v13
	v_mul_hi_u32 v11, v12, v11
	v_lshrrev_b32_e32 v6, 1, v6
	v_mul_lo_u32 v13, v11, s2
	v_and_b32_e32 v6, 60, v6
	v_sub_u32_e32 v12, v12, v13
	v_add3_u32 v116, v7, v6, s1
	v_add_u32_e32 v13, 1, v11
	v_cmp_le_u32_e64 s[0:1], s2, v12
	s_mul_i32 s16, s3, s14
	s_mul_i32 s14, s23, s22
	v_cndmask_b32_e64 v11, v11, v13, s[0:1]
	v_subrev_u32_e32 v13, s2, v12
	v_cndmask_b32_e64 v12, v12, v13, s[0:1]
	v_mov_b32_e32 v23, 0
	v_add_u32_e32 v117, 0x9050, v9
	v_and_b32_e32 v6, 28, v9
	v_xor_b32_e32 v9, s7, v1
	v_add_u32_e32 v13, 1, v11
	v_cmp_le_u32_e64 s[0:1], s2, v12
	v_mov_b32_e32 v7, v23
	v_ashrrev_i32_e32 v9, 31, v9
	v_cndmask_b32_e64 v11, v11, v13, s[0:1]
	s_mul_hi_i32 s3, s14, 0xd2
	s_mul_i32 s2, s14, 0xd2
	v_and_b32_e32 v10, 7, v0
	v_xor_b32_e32 v11, v11, v9
	s_waitcnt lgkmcnt(0)
	v_lshl_add_u64 v[26:27], s[10:11], 0, v[6:7]
	s_movk_i32 s26, 0xd2
	v_mov_b64_e32 v[6:7], s[2:3]
	v_mul_i32_i24_e32 v8, s23, v2
	v_sub_u32_e32 v9, v11, v9
	v_mad_u64_u32 v[6:7], s[20:21], v3, s26, v[6:7]
	v_lshlrev_b32_e32 v3, 1, v24
	v_lshlrev_b32_e32 v10, 2, v10
	v_cmp_gt_i32_e64 s[0:1], s4, v9
	v_mul_lo_u32 v28, v9, s5
	v_mad_u64_u32 v[8:9], s[20:21], v8, s26, v[6:7]
	v_and_or_b32 v10, v3, 32, v10
	v_mov_b32_e32 v11, v23
	v_lshl_add_u64 v[12:13], v[8:9], 0, v[10:11]
	v_lshl_add_u64 v[8:9], v[8:9], 0, v[22:23]
	;; [unrolled: 1-line block ×3, first 2 shown]
	s_mov_b64 s[20:21], 0x80
	v_lshl_add_u64 v[32:33], s[8:9], 0, v[8:9]
	v_mad_u64_u32 v[8:9], s[24:25], v14, s26, v[6:7]
	v_lshl_add_u64 v[30:31], v[12:13], 0, s[20:21]
	v_lshl_add_u64 v[12:13], v[8:9], 0, v[10:11]
	v_lshl_add_u64 v[8:9], v[8:9], 0, v[22:23]
	v_lshl_add_u64 v[12:13], s[8:9], 0, v[12:13]
	v_lshl_add_u64 v[36:37], s[8:9], 0, v[8:9]
	v_mad_u64_u32 v[8:9], s[24:25], v15, s26, v[6:7]
	v_lshl_add_u64 v[34:35], v[12:13], 0, s[20:21]
	v_lshl_add_u64 v[12:13], v[8:9], 0, v[10:11]
	v_lshl_add_u64 v[8:9], v[8:9], 0, v[22:23]
	v_lshl_add_u64 v[12:13], s[8:9], 0, v[12:13]
	;; [unrolled: 6-line block ×13, first 2 shown]
	v_mad_u64_u32 v[8:9], s[24:25], v88, s26, v[6:7]
	s_mul_i32 s24, s23, 0x78
	v_cmp_gt_u32_e32 vcc, 4, v24
	v_mov_b32_e32 v3, s24
	s_ashr_i32 s17, s16, 31
	v_lshlrev_b32_e32 v120, 4, v2
	s_and_b64 s[18:19], vcc, s[0:1]
	v_mad_i32_i24 v2, s23, v2, v3
	v_mad_u64_u32 v[2:3], s[24:25], v2, s26, v[6:7]
	s_add_u32 s2, s8, s2
	v_lshl_add_u64 v[6:7], v[2:3], 0, v[10:11]
	v_lshl_add_u64 v[2:3], v[2:3], 0, v[22:23]
	s_addc_u32 s3, s9, s3
	v_lshl_add_u64 v[94:95], s[8:9], 0, v[2:3]
	v_mov_b64_e32 v[2:3], s[2:3]
	v_mad_u64_u32 v[2:3], s[2:3], v96, s26, v[2:3]
	v_lshl_add_u64 v[6:7], s[8:9], 0, v[6:7]
	s_mov_b64 s[2:3], 0xd0
	v_lshl_add_u64 v[92:93], v[6:7], 0, s[20:21]
	v_lshl_add_u64 v[96:97], v[2:3], 0, s[2:3]
	v_mad_u64_u32 v[2:3], s[2:3], v98, s26, 0
	v_mov_b32_e32 v6, 0xd2
	v_mov_b32_e32 v5, v23
	v_lshl_add_u64 v[12:13], s[8:9], 0, v[12:13]
	v_mad_i64_i32 v[2:3], s[2:3], s14, v6, v[2:3]
	v_lshl_add_u64 v[84:85], v[12:13], 0, s[20:21]
	v_lshl_add_u64 v[12:13], v[8:9], 0, v[10:11]
	;; [unrolled: 1-line block ×5, first 2 shown]
	s_mov_b64 s[2:3], 0xc0
	v_lshl_add_u64 v[88:89], v[12:13], 0, s[20:21]
	v_lshl_add_u64 v[98:99], v[2:3], 0, s[2:3]
	v_mad_u64_u32 v[2:3], s[20:21], v100, s26, 0
	v_mad_i64_i32 v[2:3], s[20:21], s14, v6, v[2:3]
	v_lshl_add_u64 v[2:3], v[2:3], 0, v[4:5]
	v_add_u32_e32 v113, 0x30c0, v112
	v_lshl_add_u64 v[8:9], v[8:9], 0, v[22:23]
	v_lshl_add_u64 v[2:3], s[8:9], 0, v[2:3]
	v_add_u32_e32 v119, v118, v22
	v_mul_u32_u24_e32 v123, 0x104, v24
	v_ashrrev_i32_e32 v29, 31, v28
	v_lshl_add_u64 v[90:91], s[8:9], 0, v[8:9]
	v_lshl_add_u64 v[100:101], v[2:3], 0, s[2:3]
	s_movk_i32 s14, 0x80
	s_mov_b32 s24, 0x30303030
	s_movk_i32 s25, 0xe000
	s_movk_i32 s26, 0x3f00
	s_mov_b64 s[8:9], 0xd2
	v_add_u32_e32 v132, 0x2000, v112
	v_add_u32_e32 v133, 0x2800, v112
	;; [unrolled: 1-line block ×5, first 2 shown]
	v_mov_b32_e32 v22, v23
	v_mov_b32_e32 v78, v23
	;; [unrolled: 1-line block ×3, first 2 shown]
	s_branch .LBB215_6
.LBB215_4:                              ;   in Loop: Header=BB215_6 Depth=1
	s_or_b64 exec, exec, s[20:21]
	s_waitcnt lgkmcnt(0)
	s_barrier
	ds_read_b128 v[2:5], v118
	ds_read_b128 v[6:9], v118 offset:16
	ds_read_b128 v[10:13], v118 offset:32
	;; [unrolled: 1-line block ×3, first 2 shown]
	ds_read2_b32 v[18:19], v123 offset0:44 offset1:45
	ds_read2_b32 v[20:21], v123 offset0:38 offset1:39
	;; [unrolled: 1-line block ×7, first 2 shown]
	v_mov_b32_e32 v146, 0
	v_mov_b32_e32 v147, 0
	;; [unrolled: 1-line block ×3, first 2 shown]
	s_waitcnt lgkmcnt(4)
	v_dot4c_i32_i8_e32 v146, v102, v6
	s_waitcnt lgkmcnt(2)
	v_dot4c_i32_i8_e32 v147, v108, v2
	v_dot4c_i32_i8_e32 v25, v18, v14
	ds_read2_b32 v[140:141], v123 offset0:40 offset1:41
	v_dot4c_i32_i8_e32 v146, v103, v7
	v_dot4c_i32_i8_e32 v147, v109, v3
	;; [unrolled: 1-line block ×5, first 2 shown]
	v_add_u32_e32 v18, 0x2118, v123
	v_add_u32_e32 v20, 0x2110, v123
	;; [unrolled: 1-line block ×5, first 2 shown]
	s_waitcnt lgkmcnt(2)
	v_dot4c_i32_i8_e32 v25, v110, v16
	v_dot4c_i32_i8_e32 v146, v21, v9
	;; [unrolled: 1-line block ×3, first 2 shown]
	ds_read2_b32 v[18:19], v18 offset1:1
	ds_read2_b32 v[20:21], v20 offset1:1
	ds_read2_b32 v[102:103], v102 offset1:1
	ds_read2_b32 v[106:107], v104 offset1:1
	ds_read2_b32 v[108:109], v108 offset1:1
	v_add_u32_e32 v104, 0x2130, v123
	v_dot4c_i32_i8_e32 v25, v111, v17
	ds_read2_b32 v[110:111], v104 offset1:1
	v_mov_b32_e32 v137, 0
	s_waitcnt lgkmcnt(6)
	v_dot4c_i32_i8_e32 v137, v140, v10
	v_dot4c_i32_i8_e32 v137, v141, v11
	;; [unrolled: 1-line block ×3, first 2 shown]
	v_mov_b32_e32 v148, 0
	v_add_u32_e32 v104, 0x2128, v123
	v_add_u32_e32 v140, 0x2120, v123
	;; [unrolled: 1-line block ×3, first 2 shown]
	v_mov_b32_e32 v150, 0
	v_mov_b32_e32 v151, 0
	v_dot4c_i32_i8_e32 v137, v139, v13
	ds_read2_b32 v[138:139], v104 offset1:1
	ds_read2_b32 v[140:141], v140 offset1:1
	;; [unrolled: 1-line block ×3, first 2 shown]
	s_waitcnt lgkmcnt(3)
	v_dot4c_i32_i8_e32 v148, v110, v14
	v_dot4c_i32_i8_e32 v150, v20, v6
	;; [unrolled: 1-line block ×9, first 2 shown]
	v_add_u32_e32 v18, 0x4190, v123
	v_add_u32_e32 v20, 0x4188, v123
	;; [unrolled: 1-line block ×4, first 2 shown]
	v_dot4c_i32_i8_e32 v148, v109, v17
	v_mov_b32_e32 v149, 0
	ds_read_b32 v104, v131 offset:384
	v_dot4c_i32_i8_e32 v150, v19, v9
	v_dot4c_i32_i8_e32 v151, v103, v5
	ds_read_b32 v103, v129 offset:256
	ds_read2_b32 v[18:19], v18 offset1:1
	ds_read2_b32 v[20:21], v20 offset1:1
	;; [unrolled: 1-line block ×4, first 2 shown]
	v_add_u32_e32 v102, 0x41b0, v123
	s_waitcnt lgkmcnt(7)
	v_dot4c_i32_i8_e32 v149, v140, v10
	ds_read2_b32 v[110:111], v102 offset1:1
	v_dot4c_i32_i8_e32 v149, v141, v11
	v_dot4c_i32_i8_e32 v149, v138, v12
	v_add_u32_e32 v102, 0x41a8, v123
	v_add_u32_e32 v140, 0x41a0, v123
	;; [unrolled: 1-line block ×3, first 2 shown]
	v_dot4c_i32_i8_e32 v149, v139, v13
	ds_read2_b32 v[138:139], v102 offset1:1
	ds_read2_b32 v[140:141], v140 offset1:1
	;; [unrolled: 1-line block ×3, first 2 shown]
	v_mov_b32_e32 v152, 0
	v_mov_b32_e32 v155, 0
	s_waitcnt lgkmcnt(3)
	v_dot4c_i32_i8_e32 v152, v110, v14
	v_dot4c_i32_i8_e32 v155, v106, v2
	;; [unrolled: 1-line block ×3, first 2 shown]
	v_mov_b32_e32 v153, 0
	v_mov_b32_e32 v154, 0
	v_dot4c_i32_i8_e32 v155, v107, v3
	v_dot4c_i32_i8_e32 v152, v108, v16
	s_waitcnt lgkmcnt(1)
	v_dot4c_i32_i8_e32 v153, v140, v10
	v_dot4c_i32_i8_e32 v154, v18, v6
	;; [unrolled: 1-line block ×3, first 2 shown]
	v_add_u32_e32 v18, 0x6210, v123
	v_add_u32_e32 v20, 0x6208, v123
	;; [unrolled: 1-line block ×4, first 2 shown]
	v_dot4c_i32_i8_e32 v152, v109, v17
	v_dot4c_i32_i8_e32 v153, v141, v11
	;; [unrolled: 1-line block ×4, first 2 shown]
	ds_read2_b32 v[18:19], v18 offset1:1
	ds_read2_b32 v[20:21], v20 offset1:1
	;; [unrolled: 1-line block ×4, first 2 shown]
	v_add_u32_e32 v102, 0x6230, v123
	v_dot4c_i32_i8_e32 v153, v138, v12
	v_dot4c_i32_i8_e32 v154, v142, v8
	ds_read2_b32 v[110:111], v102 offset1:1
	v_add_u32_e32 v102, 0x6228, v123
	v_add_u32_e32 v140, 0x6220, v123
	;; [unrolled: 1-line block ×3, first 2 shown]
	v_dot4c_i32_i8_e32 v153, v139, v13
	v_dot4c_i32_i8_e32 v154, v143, v9
	ds_read2_b32 v[138:139], v102 offset1:1
	ds_read2_b32 v[140:141], v140 offset1:1
	;; [unrolled: 1-line block ×3, first 2 shown]
	v_mov_b32_e32 v162, 0
	v_mov_b32_e32 v163, 0
	;; [unrolled: 1-line block ×4, first 2 shown]
	s_waitcnt lgkmcnt(3)
	v_dot4c_i32_i8_e32 v162, v110, v14
	s_waitcnt lgkmcnt(1)
	v_dot4c_i32_i8_e32 v163, v140, v10
	v_dot4c_i32_i8_e32 v164, v18, v6
	;; [unrolled: 1-line block ×15, first 2 shown]
	ds_read_b128 v[10:13], v118 offset:80
	ds_read_b128 v[6:9], v118 offset:64
	;; [unrolled: 1-line block ×4, first 2 shown]
	ds_read2_b32 v[2:3], v123 offset0:62 offset1:63
	ds_read2_b32 v[4:5], v123 offset0:60 offset1:61
	ds_read2_b32 v[106:107], v123 offset0:54 offset1:55
	ds_read2_b32 v[108:109], v123 offset0:52 offset1:53
	ds_read2_b32 v[110:111], v123 offset0:50 offset1:51
	ds_read2_b32 v[138:139], v123 offset0:48 offset1:49
	v_mov_b32_e32 v166, 0
	s_waitcnt lgkmcnt(4)
	v_dot4c_i32_i8_e32 v166, v4, v18
	v_dot4c_i32_i8_e32 v166, v5, v19
	;; [unrolled: 1-line block ×3, first 2 shown]
	ds_read2_b32 v[140:141], v123 offset0:58 offset1:59
	v_dot4c_i32_i8_e32 v166, v3, v21
	ds_read_b128 v[2:5], v120 offset:36944
	ds_read2_b32 v[144:145], v122 offset0:2 offset1:3
	v_mov_b32_e32 v167, 0
	s_waitcnt lgkmcnt(5)
	v_dot4c_i32_i8_e32 v167, v108, v10
	v_dot4c_i32_i8_e32 v167, v109, v11
	;; [unrolled: 1-line block ×3, first 2 shown]
	s_waitcnt lgkmcnt(0)
	v_ashrrev_i32_e32 v102, 24, v144
	v_bfe_i32 v106, v144, 8, 8
	v_dot4c_i32_i8_e32 v167, v107, v13
	v_mov_b32_e32 v168, 0
	v_bfe_i32 v108, v144, 16, 8
	v_bfe_i32 v107, v144, 0, 8
	v_mul_lo_u32 v102, v25, v102
	v_mul_lo_u32 v106, v146, v106
	v_dot4c_i32_i8_e32 v168, v138, v6
	v_mad_u64_u32 v[106:107], s[2:3], v147, v107, v[106:107]
	v_mad_u64_u32 v[108:109], s[2:3], v137, v108, v[102:103]
	v_dot4c_i32_i8_e32 v168, v139, v7
	v_cvt_f32_i32_e32 v139, v108
	v_cvt_f32_i32_e32 v138, v106
	ds_read_b32 v25, v124
	ds_read_b32 v102, v127 offset:128
	ds_read2_b32 v[106:107], v128 offset0:2 offset1:3
	ds_read2_b32 v[108:109], v126 offset0:2 offset1:3
	v_dot4c_i32_i8_e32 v168, v110, v8
	v_dot4c_i32_i8_e32 v168, v111, v9
	v_pk_mul_f32 v[110:111], v[2:3], v[138:139]
	s_waitcnt lgkmcnt(1)
	v_bfe_i32 v144, v106, 0, 8
	v_add_f32_e32 v137, 0, v110
	v_bfe_i32 v110, v106, 8, 8
	s_waitcnt lgkmcnt(0)
	v_bfe_i32 v138, v108, 8, 8
	v_mul_lo_u32 v110, v154, v110
	v_mul_lo_u32 v138, v150, v138
	v_bfe_i32 v139, v108, 0, 8
	v_mad_u64_u32 v[146:147], s[2:3], v155, v144, v[110:111]
	v_bfe_i32 v110, v106, 16, 8
	v_bfe_i32 v144, v108, 16, 8
	v_ashrrev_i32_e32 v108, 24, v108
	v_ashrrev_i32_e32 v106, 24, v106
	v_mad_u64_u32 v[138:139], s[2:3], v151, v139, v[138:139]
	v_mul_lo_u32 v106, v152, v106
	v_mul_lo_u32 v108, v148, v108
	v_cvt_f32_i32_e32 v139, v146
	v_cvt_f32_i32_e32 v138, v138
	v_mad_u64_u32 v[146:147], s[2:3], v149, v144, v[108:109]
	v_mad_u64_u32 v[148:149], s[2:3], v153, v110, v[106:107]
	v_cvt_f32_i32_e32 v147, v148
	v_cvt_f32_i32_e32 v146, v146
	v_add_f32_e32 v106, v137, v111
	v_pk_fma_f32 v[110:111], v[2:3], v[138:139], 0 op_sel_hi:[0,1,0]
	v_add_u32_e32 v108, 0x6250, v123
	v_add_u32_e32 v152, 0x6278, v123
	v_pk_fma_f32 v[110:111], v[2:3], v[146:147], v[110:111] op_sel:[1,0,0]
	ds_read2_b32 v[138:139], v130 offset0:2 offset1:3
	v_add_u32_e32 v137, 0x6248, v123
	v_add_u32_e32 v144, 0x6240, v123
	ds_read2_b32 v[146:147], v108 offset1:1
	ds_read2_b32 v[148:149], v137 offset1:1
	;; [unrolled: 1-line block ×4, first 2 shown]
	v_add_u32_e32 v108, 0x6270, v123
	ds_read2_b32 v[154:155], v108 offset1:1
	v_add_u32_e32 v108, 0x6268, v123
	v_add_u32_e32 v160, 0x2158, v123
	;; [unrolled: 1-line block ×3, first 2 shown]
	ds_read2_b32 v[156:157], v108 offset1:1
	ds_read2_b32 v[158:159], v144 offset1:1
	;; [unrolled: 1-line block ×3, first 2 shown]
	v_mov_b32_e32 v108, 0
	s_waitcnt lgkmcnt(7)
	v_dot4c_i32_i8_e32 v108, v146, v10
	v_mov_b32_e32 v146, 0
	v_dot4c_i32_i8_e32 v108, v147, v11
	s_waitcnt lgkmcnt(5)
	v_dot4c_i32_i8_e32 v146, v150, v6
	v_dot4c_i32_i8_e32 v108, v142, v12
	;; [unrolled: 1-line block ×4, first 2 shown]
	v_bfe_i32 v142, v138, 8, 8
	v_bfe_i32 v143, v139, 8, 8
	v_dot4c_i32_i8_e32 v146, v148, v8
	v_mul_lo_u32 v108, v108, v143
	v_mul_lo_u32 v142, v164, v142
	v_dot4c_i32_i8_e32 v146, v149, v9
	v_bfe_i32 v147, v139, 0, 8
	v_bfe_i32 v143, v138, 0, 8
	v_mov_b32_e32 v137, 0
	v_mad_u64_u32 v[142:143], s[2:3], v165, v143, v[142:143]
	v_mad_u64_u32 v[146:147], s[2:3], v146, v147, v[108:109]
	s_waitcnt lgkmcnt(3)
	v_dot4c_i32_i8_e32 v137, v154, v18
	v_mov_b32_e32 v144, 0
	v_cvt_f32_i32_e32 v143, v146
	v_cvt_f32_i32_e32 v142, v142
	v_dot4c_i32_i8_e32 v137, v155, v19
	s_waitcnt lgkmcnt(1)
	v_dot4c_i32_i8_e32 v144, v158, v14
	ds_read2_b32 v[148:149], v123 offset0:56 offset1:57
	v_dot4c_i32_i8_e32 v137, v152, v20
	v_dot4c_i32_i8_e32 v144, v159, v15
	;; [unrolled: 1-line block ×4, first 2 shown]
	v_mov_b32_e32 v146, v2
	v_mov_b32_e32 v147, v4
	v_ashrrev_i32_e32 v108, 24, v138
	v_ashrrev_i32_e32 v2, 24, v139
	v_dot4c_i32_i8_e32 v144, v157, v17
	v_pk_fma_f32 v[142:143], v[146:147], v[142:143], 0 op_sel_hi:[1,1,0]
	v_bfe_i32 v146, v139, 16, 8
	v_bfe_i32 v147, v138, 16, 8
	v_mul_lo_u32 v2, v137, v2
	v_mul_lo_u32 v108, v162, v108
	v_mad_u64_u32 v[138:139], s[2:3], v163, v147, v[108:109]
	v_mad_u64_u32 v[146:147], s[2:3], v144, v146, v[2:3]
	v_mov_b32_e32 v2, v3
	v_mov_b32_e32 v3, 0
	s_waitcnt lgkmcnt(0)
	v_dot4c_i32_i8_e32 v3, v148, v14
	v_dot4c_i32_i8_e32 v3, v149, v15
	;; [unrolled: 1-line block ×3, first 2 shown]
	v_ashrrev_i32_e32 v108, 24, v145
	v_bfe_i32 v140, v145, 8, 8
	v_dot4c_i32_i8_e32 v3, v141, v17
	v_bfe_i32 v137, v145, 16, 8
	v_bfe_i32 v141, v145, 0, 8
	v_mul_lo_u32 v108, v166, v108
	v_mul_lo_u32 v140, v167, v140
	v_mad_u64_u32 v[140:141], s[2:3], v168, v141, v[140:141]
	v_mad_u64_u32 v[144:145], s[2:3], v3, v137, v[108:109]
	v_cvt_f32_i32_e32 v139, v146
	v_cvt_f32_i32_e32 v138, v138
	;; [unrolled: 1-line block ×4, first 2 shown]
	v_mov_b32_e32 v3, v5
	v_pk_fma_f32 v[2:3], v[2:3], v[138:139], v[142:143]
	v_add_u32_e32 v108, 0x2150, v123
	v_pk_mul_f32 v[138:139], v[4:5], v[140:141]
	v_pk_mul_f32 v[2:3], v[104:105], v[2:3] op_sel_hi:[0,1]
	v_add_f32_e32 v104, 0, v138
	v_add_u32_e32 v142, 0x2140, v123
	v_add_u32_e32 v144, 0x2178, v123
	v_add_f32_e32 v104, v104, v139
	v_add_u32_e32 v137, 0x2148, v123
	ds_read2_b32 v[138:139], v108 offset1:1
	ds_read2_b32 v[140:141], v137 offset1:1
	;; [unrolled: 1-line block ×4, first 2 shown]
	v_add_u32_e32 v108, 0x2170, v123
	ds_read2_b32 v[146:147], v108 offset1:1
	v_add_u32_e32 v137, 0x2168, v123
	v_add_u32_e32 v150, 0x2160, v123
	;; [unrolled: 1-line block ×3, first 2 shown]
	ds_read2_b32 v[148:149], v137 offset1:1
	ds_read2_b32 v[150:151], v150 offset1:1
	;; [unrolled: 1-line block ×3, first 2 shown]
	v_mov_b32_e32 v108, 0
	v_mov_b32_e32 v155, 0
	s_waitcnt lgkmcnt(3)
	v_dot4c_i32_i8_e32 v108, v146, v18
	v_mov_b32_e32 v137, 0
	v_dot4c_i32_i8_e32 v155, v142, v6
	v_dot4c_i32_i8_e32 v108, v147, v19
	s_waitcnt lgkmcnt(1)
	v_dot4c_i32_i8_e32 v137, v150, v14
	v_mov_b32_e32 v154, 0
	v_dot4c_i32_i8_e32 v155, v143, v7
	v_dot4c_i32_i8_e32 v108, v144, v20
	v_dot4c_i32_i8_e32 v137, v151, v15
	v_dot4c_i32_i8_e32 v154, v138, v10
	v_dot4c_i32_i8_e32 v155, v140, v8
	v_add_u32_e32 v138, 0x41d0, v123
	v_add_u32_e32 v140, 0x41c8, v123
	;; [unrolled: 1-line block ×5, first 2 shown]
	v_dot4c_i32_i8_e32 v108, v145, v21
	v_dot4c_i32_i8_e32 v137, v148, v16
	v_dot4c_i32_i8_e32 v154, v139, v11
	v_dot4c_i32_i8_e32 v155, v141, v9
	ds_read2_b32 v[138:139], v138 offset1:1
	ds_read2_b32 v[140:141], v140 offset1:1
	ds_read2_b32 v[142:143], v142 offset1:1
	ds_read2_b32 v[144:145], v144 offset1:1
	ds_read2_b32 v[146:147], v146 offset1:1
	v_add_u32_e32 v148, 0x41e8, v123
	v_add_u32_e32 v150, 0x41e0, v123
	v_dot4c_i32_i8_e32 v137, v149, v17
	ds_read2_b32 v[148:149], v148 offset1:1
	ds_read2_b32 v[150:151], v150 offset1:1
	v_mov_b32_e32 v156, 0
	s_waitcnt lgkmcnt(2)
	v_dot4c_i32_i8_e32 v156, v146, v18
	v_mov_b32_e32 v18, 0
	v_dot4c_i32_i8_e32 v154, v160, v12
	s_waitcnt lgkmcnt(0)
	v_dot4c_i32_i8_e32 v18, v150, v14
	v_mov_b32_e32 v14, 0
	v_dot4c_i32_i8_e32 v14, v138, v10
	v_mov_b32_e32 v10, 0
	v_dot4c_i32_i8_e32 v14, v139, v11
	v_dot4c_i32_i8_e32 v10, v142, v6
	;; [unrolled: 1-line block ×7, first 2 shown]
	v_bfe_i32 v7, v109, 8, 8
	v_bfe_i32 v6, v107, 8, 8
	v_dot4c_i32_i8_e32 v156, v147, v19
	v_dot4c_i32_i8_e32 v10, v141, v9
	v_mul_lo_u32 v6, v14, v6
	v_mul_lo_u32 v8, v154, v7
	v_bfe_i32 v7, v107, 0, 8
	v_bfe_i32 v9, v109, 0, 8
	v_dot4c_i32_i8_e32 v156, v144, v20
	v_dot4c_i32_i8_e32 v18, v151, v15
	v_mad_u64_u32 v[8:9], s[2:3], v155, v9, v[8:9]
	v_mad_u64_u32 v[6:7], s[2:3], v10, v7, v[6:7]
	v_dot4c_i32_i8_e32 v156, v145, v21
	v_dot4c_i32_i8_e32 v18, v148, v16
	v_cvt_f32_i32_e32 v7, v6
	v_cvt_f32_i32_e32 v6, v8
	v_ashrrev_i32_e32 v10, 24, v109
	v_ashrrev_i32_e32 v8, 24, v107
	v_dot4c_i32_i8_e32 v18, v149, v17
	v_bfe_i32 v9, v107, 16, 8
	v_bfe_i32 v11, v109, 16, 8
	v_mul_lo_u32 v8, v156, v8
	v_mul_lo_u32 v10, v108, v10
	v_mad_u64_u32 v[10:11], s[2:3], v137, v11, v[10:11]
	v_mad_u64_u32 v[8:9], s[2:3], v18, v9, v[8:9]
	v_cvt_f32_i32_e32 v9, v8
	v_cvt_f32_i32_e32 v8, v10
	v_pk_fma_f32 v[6:7], v[4:5], v[6:7], 0 op_sel_hi:[0,1,0]
	v_mov_b32_e32 v4, v5
	v_pk_mul_f32 v[110:111], v[102:103], v[110:111]
	v_pk_fma_f32 v[4:5], v[4:5], v[8:9], v[6:7] op_sel_hi:[0,1,1]
	v_mul_f32_e32 v106, v25, v106
	v_pk_mul_f32 v[4:5], v[102:103], v[4:5]
	v_mov_b32_e32 v107, v110
	v_pk_mov_b32 v[8:9], v[110:111], v[2:3] op_sel:[1,0]
	v_mul_f32_e32 v10, v25, v104
	v_pk_add_f32 v[6:7], v[22:23], v[106:107]
	v_pk_add_f32 v[8:9], v[78:79], v[8:9]
	v_mov_b32_e32 v2, v5
	v_mov_b32_e32 v11, v4
	v_pk_add_f32 v[78:79], v[8:9], v[2:3]
	v_pk_add_f32 v[22:23], v[6:7], v[10:11]
	s_barrier
.LBB215_5:                              ;   in Loop: Header=BB215_6 Depth=1
	s_add_i32 s23, s23, -1
	s_addk_i32 s14, 0x100
	v_add_u32_e32 v125, 8, v125
	v_add_u32_e32 v121, 8, v121
	;; [unrolled: 1-line block ×3, first 2 shown]
	v_lshl_add_u64 v[30:31], v[30:31], 0, s[8:9]
	v_lshl_add_u64 v[32:33], v[32:33], 0, s[8:9]
	;; [unrolled: 1-line block ×34, first 2 shown]
	s_cmp_eq_u32 s23, 0
	v_lshl_add_u64 v[100:101], v[100:101], 0, s[8:9]
	s_cbranch_scc1 .LBB215_17
.LBB215_6:                              ; =>This Inner Loop Header: Depth=1
	v_lshl_add_u64 v[2:3], v[32:33], 0, s[16:17]
	global_load_dword v2, v[2:3], off
	s_add_i32 s2, s14, 0xffffff80
	s_cmp_lt_i32 s2, s15
	s_waitcnt vmcnt(0)
	v_and_b32_e32 v4, 0xf0f0f0f, v2
	v_lshrrev_b32_e32 v2, 4, v2
	v_and_b32_e32 v5, 0xf0f0f0f, v2
	v_lshl_add_u64 v[2:3], v[30:31], 0, s[16:17]
	global_load_dword v2, v[2:3], off
	s_waitcnt vmcnt(0)
	v_ashrrev_i32_e32 v2, v105, v2
	v_lshlrev_b32_e32 v3, 4, v2
	v_and_or_b32 v3, v3, s24, v4
	v_lshlrev_b16_e32 v6, 8, v3
	v_add_u16_e32 v6, 0xe000, v6
	v_lshrrev_b32_e32 v4, 16, v3
	v_lshrrev_b16_e32 v6, 8, v6
	v_bitop3_b16 v3, v3, v6, s26 bitop3:0xec
	v_lshlrev_b16_e32 v6, 8, v4
	v_add_u16_e32 v6, 0xe000, v6
	v_lshrrev_b16_e32 v6, 8, v6
	v_and_or_b32 v2, v2, s24, v5
	v_bitop3_b16 v4, v4, v6, s26 bitop3:0xec
	v_lshlrev_b16_e32 v5, 8, v2
	v_add_u16_e32 v3, 0xe000, v3
	v_add_u16_sdwa v4, v4, s25 dst_sel:WORD_1 dst_unused:UNUSED_PAD src0_sel:DWORD src1_sel:DWORD
	v_add_u16_e32 v5, 0xe000, v5
	v_or_b32_e32 v3, v3, v4
	v_lshrrev_b32_e32 v4, 16, v2
	v_lshrrev_b16_e32 v5, 8, v5
	v_bitop3_b16 v2, v2, v5, s26 bitop3:0xec
	v_lshlrev_b16_e32 v5, 8, v4
	v_add_u16_e32 v5, 0xe000, v5
	v_lshrrev_b16_e32 v5, 8, v5
	v_bitop3_b16 v4, v4, v5, s26 bitop3:0xec
	v_add_u16_e32 v2, 0xe000, v2
	v_add_u16_sdwa v4, v4, s25 dst_sel:WORD_1 dst_unused:UNUSED_PAD src0_sel:DWORD src1_sel:DWORD
	s_nop 0
	v_or_b32_e32 v2, v2, v4
	ds_write2_b32 v112, v3, v2 offset1:16
	v_lshl_add_u64 v[2:3], v[36:37], 0, s[16:17]
	global_load_dword v2, v[2:3], off
	s_waitcnt vmcnt(0)
	v_and_b32_e32 v4, 0xf0f0f0f, v2
	v_lshrrev_b32_e32 v2, 4, v2
	v_and_b32_e32 v5, 0xf0f0f0f, v2
	v_lshl_add_u64 v[2:3], v[34:35], 0, s[16:17]
	global_load_dword v2, v[2:3], off
	s_waitcnt vmcnt(0)
	v_ashrrev_i32_e32 v2, v105, v2
	v_lshlrev_b32_e32 v3, 4, v2
	v_and_or_b32 v3, v3, s24, v4
	v_lshlrev_b16_e32 v6, 8, v3
	v_add_u16_e32 v6, 0xe000, v6
	v_lshrrev_b32_e32 v4, 16, v3
	v_lshrrev_b16_e32 v6, 8, v6
	v_bitop3_b16 v3, v3, v6, s26 bitop3:0xec
	v_lshlrev_b16_e32 v6, 8, v4
	v_add_u16_e32 v6, 0xe000, v6
	v_lshrrev_b16_e32 v6, 8, v6
	v_and_or_b32 v2, v2, s24, v5
	v_bitop3_b16 v4, v4, v6, s26 bitop3:0xec
	v_lshlrev_b16_e32 v5, 8, v2
	v_add_u16_e32 v3, 0xe000, v3
	v_add_u16_sdwa v4, v4, s25 dst_sel:WORD_1 dst_unused:UNUSED_PAD src0_sel:DWORD src1_sel:DWORD
	v_add_u16_e32 v5, 0xe000, v5
	v_or_b32_e32 v3, v3, v4
	v_lshrrev_b32_e32 v4, 16, v2
	v_lshrrev_b16_e32 v5, 8, v5
	v_bitop3_b16 v2, v2, v5, s26 bitop3:0xec
	v_lshlrev_b16_e32 v5, 8, v4
	v_add_u16_e32 v5, 0xe000, v5
	v_lshrrev_b16_e32 v5, 8, v5
	v_bitop3_b16 v4, v4, v5, s26 bitop3:0xec
	v_add_u16_e32 v2, 0xe000, v2
	v_add_u16_sdwa v4, v4, s25 dst_sel:WORD_1 dst_unused:UNUSED_PAD src0_sel:DWORD src1_sel:DWORD
	s_nop 0
	v_or_b32_e32 v2, v2, v4
	v_add_u32_e32 v4, 0x800, v112
	ds_write2_b32 v4, v3, v2 offset0:8 offset1:24
	v_lshl_add_u64 v[2:3], v[40:41], 0, s[16:17]
	global_load_dword v2, v[2:3], off
	s_waitcnt vmcnt(0)
	v_and_b32_e32 v4, 0xf0f0f0f, v2
	v_lshrrev_b32_e32 v2, 4, v2
	v_and_b32_e32 v5, 0xf0f0f0f, v2
	v_lshl_add_u64 v[2:3], v[38:39], 0, s[16:17]
	global_load_dword v2, v[2:3], off
	s_waitcnt vmcnt(0)
	v_ashrrev_i32_e32 v2, v105, v2
	v_lshlrev_b32_e32 v3, 4, v2
	v_and_or_b32 v3, v3, s24, v4
	v_lshlrev_b16_e32 v6, 8, v3
	v_add_u16_e32 v6, 0xe000, v6
	v_lshrrev_b32_e32 v4, 16, v3
	v_lshrrev_b16_e32 v6, 8, v6
	v_bitop3_b16 v3, v3, v6, s26 bitop3:0xec
	v_lshlrev_b16_e32 v6, 8, v4
	v_add_u16_e32 v6, 0xe000, v6
	v_lshrrev_b16_e32 v6, 8, v6
	v_and_or_b32 v2, v2, s24, v5
	v_bitop3_b16 v4, v4, v6, s26 bitop3:0xec
	v_lshlrev_b16_e32 v5, 8, v2
	v_add_u16_e32 v3, 0xe000, v3
	v_add_u16_sdwa v4, v4, s25 dst_sel:WORD_1 dst_unused:UNUSED_PAD src0_sel:DWORD src1_sel:DWORD
	v_add_u16_e32 v5, 0xe000, v5
	v_or_b32_e32 v3, v3, v4
	v_lshrrev_b32_e32 v4, 16, v2
	v_lshrrev_b16_e32 v5, 8, v5
	v_bitop3_b16 v2, v2, v5, s26 bitop3:0xec
	v_lshlrev_b16_e32 v5, 8, v4
	v_add_u16_e32 v5, 0xe000, v5
	v_lshrrev_b16_e32 v5, 8, v5
	v_bitop3_b16 v4, v4, v5, s26 bitop3:0xec
	v_add_u16_e32 v2, 0xe000, v2
	v_add_u16_sdwa v4, v4, s25 dst_sel:WORD_1 dst_unused:UNUSED_PAD src0_sel:DWORD src1_sel:DWORD
	s_nop 0
	v_or_b32_e32 v2, v2, v4
	v_add_u32_e32 v4, 0x1000, v112
	ds_write2_b32 v4, v3, v2 offset0:16 offset1:32
	;; [unrolled: 40-line block ×3, first 2 shown]
	v_lshl_add_u64 v[2:3], v[48:49], 0, s[16:17]
	global_load_dword v2, v[2:3], off
	s_waitcnt vmcnt(0)
	v_and_b32_e32 v4, 0xf0f0f0f, v2
	v_lshrrev_b32_e32 v2, 4, v2
	v_and_b32_e32 v5, 0xf0f0f0f, v2
	v_lshl_add_u64 v[2:3], v[46:47], 0, s[16:17]
	global_load_dword v2, v[2:3], off
	s_waitcnt vmcnt(0)
	v_ashrrev_i32_e32 v2, v105, v2
	v_lshlrev_b32_e32 v3, 4, v2
	v_and_or_b32 v3, v3, s24, v4
	v_lshlrev_b16_e32 v6, 8, v3
	v_add_u16_e32 v6, 0xe000, v6
	v_lshrrev_b32_e32 v4, 16, v3
	v_lshrrev_b16_e32 v6, 8, v6
	v_bitop3_b16 v3, v3, v6, s26 bitop3:0xec
	v_lshlrev_b16_e32 v6, 8, v4
	v_add_u16_e32 v6, 0xe000, v6
	v_lshrrev_b16_e32 v6, 8, v6
	v_and_or_b32 v2, v2, s24, v5
	v_bitop3_b16 v4, v4, v6, s26 bitop3:0xec
	v_lshlrev_b16_e32 v5, 8, v2
	v_add_u16_e32 v3, 0xe000, v3
	v_add_u16_sdwa v4, v4, s25 dst_sel:WORD_1 dst_unused:UNUSED_PAD src0_sel:DWORD src1_sel:DWORD
	v_add_u16_e32 v5, 0xe000, v5
	v_or_b32_e32 v3, v3, v4
	v_lshrrev_b32_e32 v4, 16, v2
	v_lshrrev_b16_e32 v5, 8, v5
	v_bitop3_b16 v2, v2, v5, s26 bitop3:0xec
	v_lshlrev_b16_e32 v5, 8, v4
	v_add_u16_e32 v5, 0xe000, v5
	v_lshrrev_b16_e32 v5, 8, v5
	v_bitop3_b16 v4, v4, v5, s26 bitop3:0xec
	v_add_u16_e32 v2, 0xe000, v2
	v_add_u16_sdwa v4, v4, s25 dst_sel:WORD_1 dst_unused:UNUSED_PAD src0_sel:DWORD src1_sel:DWORD
	s_nop 0
	v_or_b32_e32 v2, v2, v4
	ds_write2_b32 v132, v3, v2 offset0:32 offset1:48
	v_lshl_add_u64 v[2:3], v[52:53], 0, s[16:17]
	global_load_dword v2, v[2:3], off
	s_waitcnt vmcnt(0)
	v_and_b32_e32 v4, 0xf0f0f0f, v2
	v_lshrrev_b32_e32 v2, 4, v2
	v_and_b32_e32 v5, 0xf0f0f0f, v2
	v_lshl_add_u64 v[2:3], v[50:51], 0, s[16:17]
	global_load_dword v2, v[2:3], off
	s_waitcnt vmcnt(0)
	v_ashrrev_i32_e32 v2, v105, v2
	v_lshlrev_b32_e32 v3, 4, v2
	v_and_or_b32 v3, v3, s24, v4
	v_lshlrev_b16_e32 v6, 8, v3
	v_add_u16_e32 v6, 0xe000, v6
	v_lshrrev_b32_e32 v4, 16, v3
	v_lshrrev_b16_e32 v6, 8, v6
	v_bitop3_b16 v3, v3, v6, s26 bitop3:0xec
	v_lshlrev_b16_e32 v6, 8, v4
	v_add_u16_e32 v6, 0xe000, v6
	v_lshrrev_b16_e32 v6, 8, v6
	v_and_or_b32 v2, v2, s24, v5
	v_bitop3_b16 v4, v4, v6, s26 bitop3:0xec
	v_lshlrev_b16_e32 v5, 8, v2
	v_add_u16_e32 v3, 0xe000, v3
	v_add_u16_sdwa v4, v4, s25 dst_sel:WORD_1 dst_unused:UNUSED_PAD src0_sel:DWORD src1_sel:DWORD
	v_add_u16_e32 v5, 0xe000, v5
	v_or_b32_e32 v3, v3, v4
	v_lshrrev_b32_e32 v4, 16, v2
	v_lshrrev_b16_e32 v5, 8, v5
	v_bitop3_b16 v2, v2, v5, s26 bitop3:0xec
	v_lshlrev_b16_e32 v5, 8, v4
	v_add_u16_e32 v5, 0xe000, v5
	v_lshrrev_b16_e32 v5, 8, v5
	v_bitop3_b16 v4, v4, v5, s26 bitop3:0xec
	v_add_u16_e32 v2, 0xe000, v2
	v_add_u16_sdwa v4, v4, s25 dst_sel:WORD_1 dst_unused:UNUSED_PAD src0_sel:DWORD src1_sel:DWORD
	s_nop 0
	v_or_b32_e32 v2, v2, v4
	ds_write2_b32 v133, v3, v2 offset0:40 offset1:56
	v_lshl_add_u64 v[2:3], v[56:57], 0, s[16:17]
	global_load_dword v2, v[2:3], off
	s_waitcnt vmcnt(0)
	v_and_b32_e32 v4, 0xf0f0f0f, v2
	v_lshrrev_b32_e32 v2, 4, v2
	v_and_b32_e32 v5, 0xf0f0f0f, v2
	v_lshl_add_u64 v[2:3], v[54:55], 0, s[16:17]
	global_load_dword v2, v[2:3], off
	s_waitcnt vmcnt(0)
	v_ashrrev_i32_e32 v2, v105, v2
	v_lshlrev_b32_e32 v3, 4, v2
	v_and_or_b32 v3, v3, s24, v4
	v_lshlrev_b16_e32 v6, 8, v3
	v_add_u16_e32 v6, 0xe000, v6
	v_lshrrev_b32_e32 v4, 16, v3
	v_lshrrev_b16_e32 v6, 8, v6
	v_bitop3_b16 v3, v3, v6, s26 bitop3:0xec
	v_lshlrev_b16_e32 v6, 8, v4
	v_add_u16_e32 v6, 0xe000, v6
	v_lshrrev_b16_e32 v6, 8, v6
	v_and_or_b32 v2, v2, s24, v5
	v_bitop3_b16 v4, v4, v6, s26 bitop3:0xec
	v_lshlrev_b16_e32 v5, 8, v2
	v_add_u16_e32 v3, 0xe000, v3
	v_add_u16_sdwa v4, v4, s25 dst_sel:WORD_1 dst_unused:UNUSED_PAD src0_sel:DWORD src1_sel:DWORD
	v_add_u16_e32 v5, 0xe000, v5
	v_or_b32_e32 v3, v3, v4
	v_lshrrev_b32_e32 v4, 16, v2
	v_lshrrev_b16_e32 v5, 8, v5
	v_bitop3_b16 v2, v2, v5, s26 bitop3:0xec
	v_lshlrev_b16_e32 v5, 8, v4
	v_add_u16_e32 v5, 0xe000, v5
	v_lshrrev_b16_e32 v5, 8, v5
	v_bitop3_b16 v4, v4, v5, s26 bitop3:0xec
	v_add_u16_e32 v2, 0xe000, v2
	v_add_u16_sdwa v4, v4, s25 dst_sel:WORD_1 dst_unused:UNUSED_PAD src0_sel:DWORD src1_sel:DWORD
	s_nop 0
	v_or_b32_e32 v2, v2, v4
	ds_write2_b32 v113, v3, v2 offset1:16
	v_lshl_add_u64 v[2:3], v[60:61], 0, s[16:17]
	global_load_dword v2, v[2:3], off
	s_waitcnt vmcnt(0)
	v_and_b32_e32 v4, 0xf0f0f0f, v2
	v_lshrrev_b32_e32 v2, 4, v2
	v_and_b32_e32 v5, 0xf0f0f0f, v2
	v_lshl_add_u64 v[2:3], v[58:59], 0, s[16:17]
	global_load_dword v2, v[2:3], off
	s_waitcnt vmcnt(0)
	v_ashrrev_i32_e32 v2, v105, v2
	v_lshlrev_b32_e32 v3, 4, v2
	v_and_or_b32 v3, v3, s24, v4
	v_lshlrev_b16_e32 v6, 8, v3
	v_add_u16_e32 v6, 0xe000, v6
	v_lshrrev_b32_e32 v4, 16, v3
	v_lshrrev_b16_e32 v6, 8, v6
	v_bitop3_b16 v3, v3, v6, s26 bitop3:0xec
	v_lshlrev_b16_e32 v6, 8, v4
	v_add_u16_e32 v6, 0xe000, v6
	v_lshrrev_b16_e32 v6, 8, v6
	v_and_or_b32 v2, v2, s24, v5
	v_bitop3_b16 v4, v4, v6, s26 bitop3:0xec
	v_lshlrev_b16_e32 v5, 8, v2
	v_add_u16_e32 v3, 0xe000, v3
	v_add_u16_sdwa v4, v4, s25 dst_sel:WORD_1 dst_unused:UNUSED_PAD src0_sel:DWORD src1_sel:DWORD
	v_add_u16_e32 v5, 0xe000, v5
	v_or_b32_e32 v3, v3, v4
	v_lshrrev_b32_e32 v4, 16, v2
	v_lshrrev_b16_e32 v5, 8, v5
	v_bitop3_b16 v2, v2, v5, s26 bitop3:0xec
	v_lshlrev_b16_e32 v5, 8, v4
	v_add_u16_e32 v5, 0xe000, v5
	v_lshrrev_b16_e32 v5, 8, v5
	v_bitop3_b16 v4, v4, v5, s26 bitop3:0xec
	v_add_u16_e32 v2, 0xe000, v2
	v_add_u16_sdwa v4, v4, s25 dst_sel:WORD_1 dst_unused:UNUSED_PAD src0_sel:DWORD src1_sel:DWORD
	s_nop 0
	v_or_b32_e32 v2, v2, v4
	ds_write2_b32 v134, v3, v2 offset0:8 offset1:24
	v_lshl_add_u64 v[2:3], v[64:65], 0, s[16:17]
	global_load_dword v2, v[2:3], off
	s_waitcnt vmcnt(0)
	v_and_b32_e32 v4, 0xf0f0f0f, v2
	v_lshrrev_b32_e32 v2, 4, v2
	v_and_b32_e32 v5, 0xf0f0f0f, v2
	v_lshl_add_u64 v[2:3], v[62:63], 0, s[16:17]
	global_load_dword v2, v[2:3], off
	s_waitcnt vmcnt(0)
	v_ashrrev_i32_e32 v2, v105, v2
	v_lshlrev_b32_e32 v3, 4, v2
	v_and_or_b32 v3, v3, s24, v4
	v_lshlrev_b16_e32 v6, 8, v3
	v_add_u16_e32 v6, 0xe000, v6
	v_lshrrev_b32_e32 v4, 16, v3
	v_lshrrev_b16_e32 v6, 8, v6
	v_bitop3_b16 v3, v3, v6, s26 bitop3:0xec
	v_lshlrev_b16_e32 v6, 8, v4
	v_add_u16_e32 v6, 0xe000, v6
	v_lshrrev_b16_e32 v6, 8, v6
	v_and_or_b32 v2, v2, s24, v5
	v_bitop3_b16 v4, v4, v6, s26 bitop3:0xec
	v_lshlrev_b16_e32 v5, 8, v2
	v_add_u16_e32 v3, 0xe000, v3
	v_add_u16_sdwa v4, v4, s25 dst_sel:WORD_1 dst_unused:UNUSED_PAD src0_sel:DWORD src1_sel:DWORD
	v_add_u16_e32 v5, 0xe000, v5
	v_or_b32_e32 v3, v3, v4
	v_lshrrev_b32_e32 v4, 16, v2
	v_lshrrev_b16_e32 v5, 8, v5
	v_bitop3_b16 v2, v2, v5, s26 bitop3:0xec
	v_lshlrev_b16_e32 v5, 8, v4
	v_add_u16_e32 v5, 0xe000, v5
	v_lshrrev_b16_e32 v5, 8, v5
	v_bitop3_b16 v4, v4, v5, s26 bitop3:0xec
	v_add_u16_e32 v2, 0xe000, v2
	v_add_u16_sdwa v4, v4, s25 dst_sel:WORD_1 dst_unused:UNUSED_PAD src0_sel:DWORD src1_sel:DWORD
	s_nop 0
	v_or_b32_e32 v2, v2, v4
	ds_write2_b32 v135, v3, v2 offset0:16 offset1:32
	;; [unrolled: 39-line block ×3, first 2 shown]
	v_lshl_add_u64 v[2:3], v[72:73], 0, s[16:17]
	global_load_dword v2, v[2:3], off
	s_waitcnt vmcnt(0)
	v_and_b32_e32 v4, 0xf0f0f0f, v2
	v_lshrrev_b32_e32 v2, 4, v2
	v_and_b32_e32 v5, 0xf0f0f0f, v2
	v_lshl_add_u64 v[2:3], v[70:71], 0, s[16:17]
	global_load_dword v2, v[2:3], off
	s_waitcnt vmcnt(0)
	v_ashrrev_i32_e32 v2, v105, v2
	v_lshlrev_b32_e32 v3, 4, v2
	v_and_or_b32 v3, v3, s24, v4
	v_lshlrev_b16_e32 v6, 8, v3
	v_add_u16_e32 v6, 0xe000, v6
	v_lshrrev_b32_e32 v4, 16, v3
	v_lshrrev_b16_e32 v6, 8, v6
	v_bitop3_b16 v3, v3, v6, s26 bitop3:0xec
	v_lshlrev_b16_e32 v6, 8, v4
	v_add_u16_e32 v6, 0xe000, v6
	v_lshrrev_b16_e32 v6, 8, v6
	v_and_or_b32 v2, v2, s24, v5
	v_bitop3_b16 v4, v4, v6, s26 bitop3:0xec
	v_lshlrev_b16_e32 v5, 8, v2
	v_add_u16_e32 v3, 0xe000, v3
	v_add_u16_sdwa v4, v4, s25 dst_sel:WORD_1 dst_unused:UNUSED_PAD src0_sel:DWORD src1_sel:DWORD
	v_add_u16_e32 v5, 0xe000, v5
	v_or_b32_e32 v3, v3, v4
	v_lshrrev_b32_e32 v4, 16, v2
	v_lshrrev_b16_e32 v5, 8, v5
	v_bitop3_b16 v2, v2, v5, s26 bitop3:0xec
	v_lshlrev_b16_e32 v5, 8, v4
	v_add_u16_e32 v5, 0xe000, v5
	v_lshrrev_b16_e32 v5, 8, v5
	v_bitop3_b16 v4, v4, v5, s26 bitop3:0xec
	v_add_u16_e32 v2, 0xe000, v2
	v_add_u16_sdwa v4, v4, s25 dst_sel:WORD_1 dst_unused:UNUSED_PAD src0_sel:DWORD src1_sel:DWORD
	s_nop 0
	v_or_b32_e32 v2, v2, v4
	v_add_u32_e32 v4, 0x5140, v112
	ds_write2_b32 v4, v3, v2 offset1:16
	v_lshl_add_u64 v[2:3], v[76:77], 0, s[16:17]
	global_load_dword v2, v[2:3], off
	s_waitcnt vmcnt(0)
	v_and_b32_e32 v4, 0xf0f0f0f, v2
	v_lshrrev_b32_e32 v2, 4, v2
	v_and_b32_e32 v5, 0xf0f0f0f, v2
	v_lshl_add_u64 v[2:3], v[74:75], 0, s[16:17]
	global_load_dword v2, v[2:3], off
	s_waitcnt vmcnt(0)
	v_ashrrev_i32_e32 v2, v105, v2
	v_lshlrev_b32_e32 v3, 4, v2
	v_and_or_b32 v3, v3, s24, v4
	v_lshlrev_b16_e32 v6, 8, v3
	v_add_u16_e32 v6, 0xe000, v6
	v_lshrrev_b32_e32 v4, 16, v3
	v_lshrrev_b16_e32 v6, 8, v6
	v_bitop3_b16 v3, v3, v6, s26 bitop3:0xec
	v_lshlrev_b16_e32 v6, 8, v4
	v_add_u16_e32 v6, 0xe000, v6
	v_lshrrev_b16_e32 v6, 8, v6
	v_and_or_b32 v2, v2, s24, v5
	v_bitop3_b16 v4, v4, v6, s26 bitop3:0xec
	v_lshlrev_b16_e32 v5, 8, v2
	v_add_u16_e32 v3, 0xe000, v3
	v_add_u16_sdwa v4, v4, s25 dst_sel:WORD_1 dst_unused:UNUSED_PAD src0_sel:DWORD src1_sel:DWORD
	v_add_u16_e32 v5, 0xe000, v5
	v_or_b32_e32 v3, v3, v4
	v_lshrrev_b32_e32 v4, 16, v2
	v_lshrrev_b16_e32 v5, 8, v5
	v_bitop3_b16 v2, v2, v5, s26 bitop3:0xec
	v_lshlrev_b16_e32 v5, 8, v4
	v_add_u16_e32 v5, 0xe000, v5
	v_lshrrev_b16_e32 v5, 8, v5
	v_bitop3_b16 v4, v4, v5, s26 bitop3:0xec
	v_add_u16_e32 v2, 0xe000, v2
	v_add_u16_sdwa v4, v4, s25 dst_sel:WORD_1 dst_unused:UNUSED_PAD src0_sel:DWORD src1_sel:DWORD
	s_nop 0
	v_or_b32_e32 v2, v2, v4
	v_add_u32_e32 v4, 0x5960, v112
	ds_write2_b32 v4, v3, v2 offset1:16
	;; [unrolled: 40-line block ×6, first 2 shown]
	v_lshl_add_u64 v[2:3], v[96:97], 0, s[16:17]
	global_load_ushort v2, v[2:3], off
	s_waitcnt vmcnt(0)
	v_cvt_f32_f16_e32 v2, v2
	ds_write_b32 v114, v2
	v_lshl_add_u64 v[2:3], v[98:99], 0, s[16:17]
	global_load_dword v2, v[2:3], off
	s_waitcnt vmcnt(0)
	ds_write_b32 v115, v2
	v_lshl_add_u64 v[2:3], v[100:101], 0, s[16:17]
	global_load_dword v2, v[2:3], off
	s_waitcnt vmcnt(0)
	ds_write_b32 v116, v2
	s_cbranch_scc0 .LBB215_5
; %bb.7:                                ;   in Loop: Header=BB215_6 Depth=1
	v_cmp_gt_i32_e64 s[2:3], s5, v121
	s_and_b64 s[20:21], s[0:1], s[2:3]
	s_and_saveexec_b64 s[2:3], s[20:21]
	s_cbranch_execz .LBB215_9
; %bb.8:                                ;   in Loop: Header=BB215_6 Depth=1
	v_add_u32_e32 v2, v28, v121
	v_mad_i64_i32 v[2:3], s[20:21], v2, 36, v[26:27]
	global_load_dword v2, v[2:3], off offset:4
	s_waitcnt vmcnt(0)
	ds_write_b32 v119, v2
.LBB215_9:                              ;   in Loop: Header=BB215_6 Depth=1
	s_or_b64 exec, exec, s[2:3]
	v_cmp_gt_i32_e64 s[2:3], s5, v24
	s_and_b64 s[20:21], s[18:19], s[2:3]
	s_and_saveexec_b64 s[2:3], s[20:21]
	s_cbranch_execz .LBB215_11
; %bb.10:                               ;   in Loop: Header=BB215_6 Depth=1
	v_add_u32_e32 v2, v28, v24
	v_mad_i64_i32 v[2:3], s[20:21], v2, 36, s[10:11]
	global_load_dword v2, v[2:3], off
	v_add_u32_e32 v3, v117, v120
	s_waitcnt vmcnt(0)
	v_cvt_f32_f16_e32 v2, v2
	ds_write_b32 v3, v2
.LBB215_11:                             ;   in Loop: Header=BB215_6 Depth=1
	s_or_b64 exec, exec, s[2:3]
	s_waitcnt lgkmcnt(0)
	s_barrier
	ds_read_b128 v[2:5], v118
	ds_read_b128 v[6:9], v118 offset:16
	ds_read_b128 v[10:13], v118 offset:32
	;; [unrolled: 1-line block ×3, first 2 shown]
	ds_read2_b32 v[18:19], v123 offset0:12 offset1:13
	ds_read2_b32 v[20:21], v123 offset0:6 offset1:7
	;; [unrolled: 1-line block ×4, first 2 shown]
	ds_read2_b32 v[108:109], v123 offset1:1
	ds_read2_b32 v[110:111], v123 offset0:14 offset1:15
	ds_read2_b32 v[138:139], v123 offset0:10 offset1:11
	v_mov_b32_e32 v146, 0
	v_mov_b32_e32 v147, 0
	;; [unrolled: 1-line block ×3, first 2 shown]
	s_waitcnt lgkmcnt(4)
	v_dot4c_i32_i8_e32 v146, v102, v6
	s_waitcnt lgkmcnt(2)
	v_dot4c_i32_i8_e32 v147, v108, v2
	v_dot4c_i32_i8_e32 v25, v18, v14
	ds_read2_b32 v[140:141], v123 offset0:8 offset1:9
	v_dot4c_i32_i8_e32 v146, v103, v7
	v_dot4c_i32_i8_e32 v147, v109, v3
	;; [unrolled: 1-line block ×5, first 2 shown]
	v_add_u32_e32 v18, 0x2098, v123
	v_add_u32_e32 v20, 0x2090, v123
	;; [unrolled: 1-line block ×5, first 2 shown]
	s_waitcnt lgkmcnt(2)
	v_dot4c_i32_i8_e32 v25, v110, v16
	v_dot4c_i32_i8_e32 v146, v21, v9
	;; [unrolled: 1-line block ×3, first 2 shown]
	ds_read2_b32 v[18:19], v18 offset1:1
	ds_read2_b32 v[20:21], v20 offset1:1
	;; [unrolled: 1-line block ×5, first 2 shown]
	v_add_u32_e32 v104, 0x20b0, v123
	v_dot4c_i32_i8_e32 v25, v111, v17
	ds_read2_b32 v[110:111], v104 offset1:1
	v_mov_b32_e32 v137, 0
	s_waitcnt lgkmcnt(6)
	v_dot4c_i32_i8_e32 v137, v140, v10
	v_dot4c_i32_i8_e32 v137, v141, v11
	;; [unrolled: 1-line block ×3, first 2 shown]
	v_mov_b32_e32 v148, 0
	v_add_u32_e32 v104, 0x20a8, v123
	v_add_u32_e32 v140, 0x20a0, v123
	;; [unrolled: 1-line block ×3, first 2 shown]
	v_mov_b32_e32 v150, 0
	v_mov_b32_e32 v151, 0
	v_dot4c_i32_i8_e32 v137, v139, v13
	ds_read2_b32 v[138:139], v104 offset1:1
	ds_read2_b32 v[140:141], v140 offset1:1
	;; [unrolled: 1-line block ×3, first 2 shown]
	s_waitcnt lgkmcnt(3)
	v_dot4c_i32_i8_e32 v148, v110, v14
	v_dot4c_i32_i8_e32 v150, v20, v6
	;; [unrolled: 1-line block ×9, first 2 shown]
	v_add_u32_e32 v18, 0x4110, v123
	v_add_u32_e32 v20, 0x4108, v123
	;; [unrolled: 1-line block ×4, first 2 shown]
	v_dot4c_i32_i8_e32 v148, v109, v17
	v_mov_b32_e32 v149, 0
	ds_read_b32 v104, v131 offset:384
	v_dot4c_i32_i8_e32 v150, v19, v9
	v_dot4c_i32_i8_e32 v151, v103, v5
	ds_read_b32 v103, v129 offset:256
	ds_read2_b32 v[18:19], v18 offset1:1
	ds_read2_b32 v[20:21], v20 offset1:1
	;; [unrolled: 1-line block ×4, first 2 shown]
	v_add_u32_e32 v102, 0x4130, v123
	s_waitcnt lgkmcnt(7)
	v_dot4c_i32_i8_e32 v149, v140, v10
	ds_read2_b32 v[110:111], v102 offset1:1
	v_dot4c_i32_i8_e32 v149, v141, v11
	v_dot4c_i32_i8_e32 v149, v138, v12
	v_add_u32_e32 v102, 0x4128, v123
	v_add_u32_e32 v140, 0x4120, v123
	;; [unrolled: 1-line block ×3, first 2 shown]
	v_dot4c_i32_i8_e32 v149, v139, v13
	ds_read2_b32 v[138:139], v102 offset1:1
	ds_read2_b32 v[140:141], v140 offset1:1
	;; [unrolled: 1-line block ×3, first 2 shown]
	v_mov_b32_e32 v152, 0
	v_mov_b32_e32 v155, 0
	s_waitcnt lgkmcnt(3)
	v_dot4c_i32_i8_e32 v152, v110, v14
	v_dot4c_i32_i8_e32 v155, v106, v2
	;; [unrolled: 1-line block ×3, first 2 shown]
	v_mov_b32_e32 v153, 0
	v_mov_b32_e32 v154, 0
	v_dot4c_i32_i8_e32 v155, v107, v3
	v_dot4c_i32_i8_e32 v152, v108, v16
	s_waitcnt lgkmcnt(1)
	v_dot4c_i32_i8_e32 v153, v140, v10
	v_dot4c_i32_i8_e32 v154, v18, v6
	;; [unrolled: 1-line block ×3, first 2 shown]
	v_add_u32_e32 v18, 0x6190, v123
	v_add_u32_e32 v20, 0x6188, v123
	;; [unrolled: 1-line block ×4, first 2 shown]
	v_dot4c_i32_i8_e32 v152, v109, v17
	v_dot4c_i32_i8_e32 v153, v141, v11
	;; [unrolled: 1-line block ×4, first 2 shown]
	ds_read2_b32 v[18:19], v18 offset1:1
	ds_read2_b32 v[20:21], v20 offset1:1
	;; [unrolled: 1-line block ×4, first 2 shown]
	v_add_u32_e32 v102, 0x61b0, v123
	v_dot4c_i32_i8_e32 v153, v138, v12
	v_dot4c_i32_i8_e32 v154, v142, v8
	ds_read2_b32 v[110:111], v102 offset1:1
	v_add_u32_e32 v102, 0x61a8, v123
	v_add_u32_e32 v140, 0x61a0, v123
	;; [unrolled: 1-line block ×3, first 2 shown]
	v_dot4c_i32_i8_e32 v153, v139, v13
	v_dot4c_i32_i8_e32 v154, v143, v9
	ds_read2_b32 v[138:139], v102 offset1:1
	ds_read2_b32 v[140:141], v140 offset1:1
	;; [unrolled: 1-line block ×3, first 2 shown]
	v_mov_b32_e32 v162, 0
	v_mov_b32_e32 v163, 0
	v_mov_b32_e32 v164, 0
	v_mov_b32_e32 v165, 0
	s_waitcnt lgkmcnt(3)
	v_dot4c_i32_i8_e32 v162, v110, v14
	s_waitcnt lgkmcnt(1)
	v_dot4c_i32_i8_e32 v163, v140, v10
	v_dot4c_i32_i8_e32 v164, v18, v6
	;; [unrolled: 1-line block ×15, first 2 shown]
	ds_read_b128 v[10:13], v118 offset:80
	ds_read_b128 v[6:9], v118 offset:64
	ds_read_b128 v[18:21], v118 offset:112
	ds_read_b128 v[14:17], v118 offset:96
	ds_read2_b32 v[2:3], v123 offset0:30 offset1:31
	ds_read2_b32 v[4:5], v123 offset0:28 offset1:29
	;; [unrolled: 1-line block ×6, first 2 shown]
	v_mov_b32_e32 v166, 0
	s_waitcnt lgkmcnt(4)
	v_dot4c_i32_i8_e32 v166, v4, v18
	v_dot4c_i32_i8_e32 v166, v5, v19
	;; [unrolled: 1-line block ×3, first 2 shown]
	ds_read2_b32 v[140:141], v123 offset0:26 offset1:27
	v_dot4c_i32_i8_e32 v166, v3, v21
	ds_read_b128 v[2:5], v120 offset:36944
	ds_read2_b32 v[144:145], v122 offset1:1
	v_mov_b32_e32 v167, 0
	s_waitcnt lgkmcnt(5)
	v_dot4c_i32_i8_e32 v167, v108, v10
	v_dot4c_i32_i8_e32 v167, v109, v11
	;; [unrolled: 1-line block ×3, first 2 shown]
	s_waitcnt lgkmcnt(0)
	v_ashrrev_i32_e32 v102, 24, v144
	v_bfe_i32 v106, v144, 8, 8
	v_dot4c_i32_i8_e32 v167, v107, v13
	v_mov_b32_e32 v168, 0
	v_bfe_i32 v108, v144, 16, 8
	v_bfe_i32 v107, v144, 0, 8
	v_mul_lo_u32 v102, v25, v102
	v_mul_lo_u32 v106, v146, v106
	v_dot4c_i32_i8_e32 v168, v138, v6
	v_mad_u64_u32 v[106:107], s[2:3], v147, v107, v[106:107]
	v_mad_u64_u32 v[108:109], s[2:3], v137, v108, v[102:103]
	v_dot4c_i32_i8_e32 v168, v139, v7
	v_cvt_f32_i32_e32 v139, v108
	v_cvt_f32_i32_e32 v138, v106
	ds_read_b32 v25, v124
	ds_read_b32 v102, v127 offset:128
	ds_read2_b32 v[106:107], v128 offset1:1
	ds_read2_b32 v[108:109], v126 offset1:1
	v_dot4c_i32_i8_e32 v168, v110, v8
	v_dot4c_i32_i8_e32 v168, v111, v9
	v_pk_mul_f32 v[110:111], v[2:3], v[138:139]
	s_waitcnt lgkmcnt(1)
	v_bfe_i32 v144, v106, 0, 8
	v_add_f32_e32 v137, 0, v110
	v_bfe_i32 v110, v106, 8, 8
	s_waitcnt lgkmcnt(0)
	v_bfe_i32 v138, v108, 8, 8
	v_mul_lo_u32 v110, v154, v110
	v_mul_lo_u32 v138, v150, v138
	v_bfe_i32 v139, v108, 0, 8
	v_mad_u64_u32 v[146:147], s[2:3], v155, v144, v[110:111]
	v_bfe_i32 v110, v106, 16, 8
	v_bfe_i32 v144, v108, 16, 8
	v_ashrrev_i32_e32 v108, 24, v108
	v_ashrrev_i32_e32 v106, 24, v106
	v_mad_u64_u32 v[138:139], s[2:3], v151, v139, v[138:139]
	v_mul_lo_u32 v106, v152, v106
	v_mul_lo_u32 v108, v148, v108
	v_cvt_f32_i32_e32 v139, v146
	v_cvt_f32_i32_e32 v138, v138
	v_mad_u64_u32 v[146:147], s[2:3], v149, v144, v[108:109]
	v_mad_u64_u32 v[148:149], s[2:3], v153, v110, v[106:107]
	v_cvt_f32_i32_e32 v147, v148
	v_cvt_f32_i32_e32 v146, v146
	v_add_f32_e32 v106, v137, v111
	v_pk_fma_f32 v[110:111], v[2:3], v[138:139], 0 op_sel_hi:[0,1,0]
	v_add_u32_e32 v108, 0x61d0, v123
	v_add_u32_e32 v152, 0x61f8, v123
	v_pk_fma_f32 v[110:111], v[2:3], v[146:147], v[110:111] op_sel:[1,0,0]
	ds_read2_b32 v[138:139], v130 offset1:1
	v_add_u32_e32 v137, 0x61c8, v123
	v_add_u32_e32 v144, 0x61c0, v123
	ds_read2_b32 v[146:147], v108 offset1:1
	ds_read2_b32 v[148:149], v137 offset1:1
	;; [unrolled: 1-line block ×4, first 2 shown]
	v_add_u32_e32 v108, 0x61f0, v123
	ds_read2_b32 v[154:155], v108 offset1:1
	v_add_u32_e32 v108, 0x61e8, v123
	v_add_u32_e32 v160, 0x20d8, v123
	;; [unrolled: 1-line block ×3, first 2 shown]
	ds_read2_b32 v[156:157], v108 offset1:1
	ds_read2_b32 v[158:159], v144 offset1:1
	;; [unrolled: 1-line block ×3, first 2 shown]
	v_mov_b32_e32 v108, 0
	s_waitcnt lgkmcnt(7)
	v_dot4c_i32_i8_e32 v108, v146, v10
	v_mov_b32_e32 v146, 0
	v_dot4c_i32_i8_e32 v108, v147, v11
	s_waitcnt lgkmcnt(5)
	v_dot4c_i32_i8_e32 v146, v150, v6
	v_dot4c_i32_i8_e32 v108, v142, v12
	;; [unrolled: 1-line block ×4, first 2 shown]
	v_bfe_i32 v142, v138, 8, 8
	v_bfe_i32 v143, v139, 8, 8
	v_dot4c_i32_i8_e32 v146, v148, v8
	v_mul_lo_u32 v108, v108, v143
	v_mul_lo_u32 v142, v164, v142
	v_dot4c_i32_i8_e32 v146, v149, v9
	v_bfe_i32 v147, v139, 0, 8
	v_bfe_i32 v143, v138, 0, 8
	v_mov_b32_e32 v137, 0
	v_mad_u64_u32 v[142:143], s[2:3], v165, v143, v[142:143]
	v_mad_u64_u32 v[146:147], s[2:3], v146, v147, v[108:109]
	s_waitcnt lgkmcnt(3)
	v_dot4c_i32_i8_e32 v137, v154, v18
	v_mov_b32_e32 v144, 0
	v_cvt_f32_i32_e32 v143, v146
	v_cvt_f32_i32_e32 v142, v142
	v_dot4c_i32_i8_e32 v137, v155, v19
	s_waitcnt lgkmcnt(1)
	v_dot4c_i32_i8_e32 v144, v158, v14
	ds_read2_b32 v[148:149], v123 offset0:24 offset1:25
	v_dot4c_i32_i8_e32 v137, v152, v20
	v_dot4c_i32_i8_e32 v144, v159, v15
	;; [unrolled: 1-line block ×4, first 2 shown]
	v_mov_b32_e32 v146, v2
	v_mov_b32_e32 v147, v4
	v_ashrrev_i32_e32 v108, 24, v138
	v_ashrrev_i32_e32 v2, 24, v139
	v_dot4c_i32_i8_e32 v144, v157, v17
	v_pk_fma_f32 v[142:143], v[146:147], v[142:143], 0 op_sel_hi:[1,1,0]
	v_bfe_i32 v146, v139, 16, 8
	v_bfe_i32 v147, v138, 16, 8
	v_mul_lo_u32 v2, v137, v2
	v_mul_lo_u32 v108, v162, v108
	v_mad_u64_u32 v[138:139], s[2:3], v163, v147, v[108:109]
	v_mad_u64_u32 v[146:147], s[2:3], v144, v146, v[2:3]
	v_mov_b32_e32 v2, v3
	v_mov_b32_e32 v3, 0
	s_waitcnt lgkmcnt(0)
	v_dot4c_i32_i8_e32 v3, v148, v14
	v_dot4c_i32_i8_e32 v3, v149, v15
	v_dot4c_i32_i8_e32 v3, v140, v16
	v_ashrrev_i32_e32 v108, 24, v145
	v_bfe_i32 v140, v145, 8, 8
	v_dot4c_i32_i8_e32 v3, v141, v17
	v_bfe_i32 v137, v145, 16, 8
	v_bfe_i32 v141, v145, 0, 8
	v_mul_lo_u32 v108, v166, v108
	v_mul_lo_u32 v140, v167, v140
	v_mad_u64_u32 v[140:141], s[2:3], v168, v141, v[140:141]
	v_mad_u64_u32 v[144:145], s[2:3], v3, v137, v[108:109]
	v_cvt_f32_i32_e32 v139, v146
	v_cvt_f32_i32_e32 v138, v138
	;; [unrolled: 1-line block ×4, first 2 shown]
	v_mov_b32_e32 v3, v5
	v_pk_fma_f32 v[2:3], v[2:3], v[138:139], v[142:143]
	v_add_u32_e32 v108, 0x20d0, v123
	v_pk_mul_f32 v[138:139], v[4:5], v[140:141]
	v_pk_mul_f32 v[2:3], v[104:105], v[2:3] op_sel_hi:[0,1]
	v_add_f32_e32 v104, 0, v138
	v_add_u32_e32 v142, 0x20c0, v123
	v_add_u32_e32 v144, 0x20f8, v123
	v_add_f32_e32 v104, v104, v139
	v_add_u32_e32 v137, 0x20c8, v123
	ds_read2_b32 v[138:139], v108 offset1:1
	ds_read2_b32 v[140:141], v137 offset1:1
	;; [unrolled: 1-line block ×4, first 2 shown]
	v_add_u32_e32 v108, 0x20f0, v123
	ds_read2_b32 v[146:147], v108 offset1:1
	v_add_u32_e32 v137, 0x20e8, v123
	v_add_u32_e32 v150, 0x20e0, v123
	;; [unrolled: 1-line block ×3, first 2 shown]
	ds_read2_b32 v[148:149], v137 offset1:1
	ds_read2_b32 v[150:151], v150 offset1:1
	ds_read2_b32 v[152:153], v152 offset1:1
	v_mov_b32_e32 v108, 0
	v_mov_b32_e32 v155, 0
	s_waitcnt lgkmcnt(3)
	v_dot4c_i32_i8_e32 v108, v146, v18
	v_mov_b32_e32 v137, 0
	v_dot4c_i32_i8_e32 v155, v142, v6
	v_dot4c_i32_i8_e32 v108, v147, v19
	s_waitcnt lgkmcnt(1)
	v_dot4c_i32_i8_e32 v137, v150, v14
	v_mov_b32_e32 v154, 0
	v_dot4c_i32_i8_e32 v155, v143, v7
	v_dot4c_i32_i8_e32 v108, v144, v20
	;; [unrolled: 1-line block ×5, first 2 shown]
	v_add_u32_e32 v138, 0x4150, v123
	v_add_u32_e32 v140, 0x4148, v123
	;; [unrolled: 1-line block ×5, first 2 shown]
	v_dot4c_i32_i8_e32 v108, v145, v21
	v_dot4c_i32_i8_e32 v137, v148, v16
	;; [unrolled: 1-line block ×4, first 2 shown]
	ds_read2_b32 v[138:139], v138 offset1:1
	ds_read2_b32 v[140:141], v140 offset1:1
	;; [unrolled: 1-line block ×5, first 2 shown]
	v_add_u32_e32 v148, 0x4168, v123
	v_add_u32_e32 v150, 0x4160, v123
	v_dot4c_i32_i8_e32 v137, v149, v17
	ds_read2_b32 v[148:149], v148 offset1:1
	ds_read2_b32 v[150:151], v150 offset1:1
	v_mov_b32_e32 v156, 0
	s_waitcnt lgkmcnt(2)
	v_dot4c_i32_i8_e32 v156, v146, v18
	v_mov_b32_e32 v18, 0
	v_dot4c_i32_i8_e32 v154, v160, v12
	s_waitcnt lgkmcnt(0)
	v_dot4c_i32_i8_e32 v18, v150, v14
	v_mov_b32_e32 v14, 0
	v_dot4c_i32_i8_e32 v14, v138, v10
	v_mov_b32_e32 v10, 0
	v_dot4c_i32_i8_e32 v14, v139, v11
	v_dot4c_i32_i8_e32 v10, v142, v6
	;; [unrolled: 1-line block ×7, first 2 shown]
	v_bfe_i32 v7, v109, 8, 8
	v_bfe_i32 v6, v107, 8, 8
	v_dot4c_i32_i8_e32 v156, v147, v19
	v_dot4c_i32_i8_e32 v10, v141, v9
	v_mul_lo_u32 v6, v14, v6
	v_mul_lo_u32 v8, v154, v7
	v_bfe_i32 v7, v107, 0, 8
	v_bfe_i32 v9, v109, 0, 8
	v_dot4c_i32_i8_e32 v156, v144, v20
	v_dot4c_i32_i8_e32 v18, v151, v15
	v_mad_u64_u32 v[8:9], s[2:3], v155, v9, v[8:9]
	v_mad_u64_u32 v[6:7], s[2:3], v10, v7, v[6:7]
	v_dot4c_i32_i8_e32 v156, v145, v21
	v_dot4c_i32_i8_e32 v18, v148, v16
	v_cvt_f32_i32_e32 v7, v6
	v_cvt_f32_i32_e32 v6, v8
	v_ashrrev_i32_e32 v10, 24, v109
	v_ashrrev_i32_e32 v8, 24, v107
	v_dot4c_i32_i8_e32 v18, v149, v17
	v_bfe_i32 v9, v107, 16, 8
	v_bfe_i32 v11, v109, 16, 8
	v_mul_lo_u32 v8, v156, v8
	v_mul_lo_u32 v10, v108, v10
	v_mad_u64_u32 v[10:11], s[2:3], v137, v11, v[10:11]
	v_mad_u64_u32 v[8:9], s[2:3], v18, v9, v[8:9]
	v_cvt_f32_i32_e32 v9, v8
	v_cvt_f32_i32_e32 v8, v10
	v_pk_fma_f32 v[6:7], v[4:5], v[6:7], 0 op_sel_hi:[0,1,0]
	v_mov_b32_e32 v4, v5
	v_pk_mul_f32 v[110:111], v[102:103], v[110:111]
	v_pk_fma_f32 v[4:5], v[4:5], v[8:9], v[6:7] op_sel_hi:[0,1,1]
	v_mul_f32_e32 v106, v25, v106
	v_pk_mul_f32 v[4:5], v[102:103], v[4:5]
	v_mov_b32_e32 v107, v110
	v_pk_mov_b32 v[8:9], v[110:111], v[2:3] op_sel:[1,0]
	v_mul_f32_e32 v10, v25, v104
	v_pk_add_f32 v[6:7], v[22:23], v[106:107]
	v_pk_add_f32 v[8:9], v[78:79], v[8:9]
	v_mov_b32_e32 v2, v5
	v_mov_b32_e32 v11, v4
	v_pk_add_f32 v[78:79], v[8:9], v[2:3]
	v_pk_add_f32 v[22:23], v[6:7], v[10:11]
	s_cmp_ge_i32 s14, s15
	s_barrier
	s_cbranch_scc1 .LBB215_5
; %bb.12:                               ;   in Loop: Header=BB215_6 Depth=1
	v_cmp_gt_i32_e64 s[2:3], s5, v125
	s_and_b64 s[20:21], s[0:1], s[2:3]
	s_and_saveexec_b64 s[2:3], s[20:21]
	s_cbranch_execz .LBB215_14
; %bb.13:                               ;   in Loop: Header=BB215_6 Depth=1
	v_add_u32_e32 v2, v28, v125
	v_mad_i64_i32 v[2:3], s[20:21], v2, 36, v[26:27]
	global_load_dword v2, v[2:3], off offset:4
	s_waitcnt vmcnt(0)
	ds_write_b32 v119, v2
.LBB215_14:                             ;   in Loop: Header=BB215_6 Depth=1
	s_or_b64 exec, exec, s[2:3]
	s_and_saveexec_b64 s[20:21], vcc
	s_cbranch_execz .LBB215_4
; %bb.15:                               ;   in Loop: Header=BB215_6 Depth=1
	v_add_u32_e32 v2, 4, v24
	v_cmp_gt_i32_e64 s[2:3], s5, v2
	s_and_b64 s[2:3], s[0:1], s[2:3]
	s_and_b64 exec, exec, s[2:3]
	s_cbranch_execz .LBB215_4
; %bb.16:                               ;   in Loop: Header=BB215_6 Depth=1
	v_ashrrev_i32_e32 v25, 31, v24
	v_lshl_add_u64 v[2:3], v[28:29], 0, v[24:25]
	v_mad_u64_u32 v[4:5], s[2:3], v2, 36, s[10:11]
	v_mad_i32_i24 v5, v3, 36, v5
	global_load_dword v2, v[4:5], off offset:144
	v_add_u32_e32 v3, v117, v120
	s_waitcnt vmcnt(0)
	v_cvt_f32_f16_e32 v2, v2
	ds_write_b32 v3, v2
	s_branch .LBB215_4
.LBB215_17:
	s_mul_i32 s0, s7, s4
	s_waitcnt vmcnt(0)
	v_cmp_gt_i32_e32 vcc, s0, v1
	s_and_saveexec_b64 s[0:1], vcc
	s_cbranch_execz .LBB215_26
; %bb.18:
	v_and_b32_e32 v0, 0x3ff, v0
	v_add_u32_e32 v2, s22, v0
	v_mul_lo_u32 v0, v1, s6
	v_cmp_gt_u32_e32 vcc, s6, v2
	s_and_saveexec_b64 s[0:1], vcc
	s_cbranch_execz .LBB215_20
; %bb.19:
	v_cvt_f16_f32_e32 v1, v22
	v_add_u32_e32 v4, v0, v2
	v_mov_b32_e32 v5, 0
	v_lshl_add_u64 v[4:5], v[4:5], 1, s[12:13]
	global_store_short v[4:5], v1, off
.LBB215_20:
	s_or_b64 exec, exec, s[0:1]
	v_add_u32_e32 v1, 32, v2
	v_cmp_gt_u32_e32 vcc, s6, v1
	s_and_saveexec_b64 s[0:1], vcc
	s_cbranch_execz .LBB215_22
; %bb.21:
	v_cvt_f16_f32_e32 v3, v23
	v_add_u32_e32 v4, v0, v1
	v_mov_b32_e32 v5, 0
	v_lshl_add_u64 v[4:5], v[4:5], 1, s[12:13]
	global_store_short v[4:5], v3, off
.LBB215_22:
	s_or_b64 exec, exec, s[0:1]
	v_add_u32_e32 v1, 64, v2
	v_cmp_gt_u32_e32 vcc, s6, v1
	s_and_saveexec_b64 s[0:1], vcc
	s_cbranch_execz .LBB215_24
; %bb.23:
	v_cvt_f16_f32_e32 v3, v78
	v_add_u32_e32 v4, v0, v1
	v_mov_b32_e32 v5, 0
	v_lshl_add_u64 v[4:5], v[4:5], 1, s[12:13]
	global_store_short v[4:5], v3, off
.LBB215_24:
	s_or_b64 exec, exec, s[0:1]
	v_add_u32_e32 v1, 0x60, v2
	v_cmp_gt_u32_e32 vcc, s6, v1
	s_and_b64 exec, exec, vcc
	s_cbranch_execz .LBB215_26
; %bb.25:
	v_cvt_f16_f32_e32 v2, v79
	v_add_u32_e32 v0, v0, v1
	v_mov_b32_e32 v1, 0
	v_lshl_add_u64 v[0:1], v[0:1], 1, s[12:13]
	global_store_short v[0:1], v2, off
.LBB215_26:
	s_endpgm
	.section	.rodata,"a",@progbits
	.p2align	6, 0x0
	.amdhsa_kernel _ZL8moe_q6_KIN3c104HalfELb0EEvPKvS3_PT_PKiS7_S7_iiiiiii
		.amdhsa_group_segment_fixed_size 37072
		.amdhsa_private_segment_fixed_size 0
		.amdhsa_kernarg_size 76
		.amdhsa_user_sgpr_count 2
		.amdhsa_user_sgpr_dispatch_ptr 0
		.amdhsa_user_sgpr_queue_ptr 0
		.amdhsa_user_sgpr_kernarg_segment_ptr 1
		.amdhsa_user_sgpr_dispatch_id 0
		.amdhsa_user_sgpr_kernarg_preload_length 0
		.amdhsa_user_sgpr_kernarg_preload_offset 0
		.amdhsa_user_sgpr_private_segment_size 0
		.amdhsa_uses_dynamic_stack 0
		.amdhsa_enable_private_segment 0
		.amdhsa_system_sgpr_workgroup_id_x 1
		.amdhsa_system_sgpr_workgroup_id_y 1
		.amdhsa_system_sgpr_workgroup_id_z 0
		.amdhsa_system_sgpr_workgroup_info 0
		.amdhsa_system_vgpr_workitem_id 1
		.amdhsa_next_free_vgpr 169
		.amdhsa_next_free_sgpr 96
		.amdhsa_accum_offset 172
		.amdhsa_reserve_vcc 1
		.amdhsa_float_round_mode_32 0
		.amdhsa_float_round_mode_16_64 0
		.amdhsa_float_denorm_mode_32 3
		.amdhsa_float_denorm_mode_16_64 3
		.amdhsa_dx10_clamp 1
		.amdhsa_ieee_mode 1
		.amdhsa_fp16_overflow 0
		.amdhsa_tg_split 0
		.amdhsa_exception_fp_ieee_invalid_op 0
		.amdhsa_exception_fp_denorm_src 0
		.amdhsa_exception_fp_ieee_div_zero 0
		.amdhsa_exception_fp_ieee_overflow 0
		.amdhsa_exception_fp_ieee_underflow 0
		.amdhsa_exception_fp_ieee_inexact 0
		.amdhsa_exception_int_div_zero 0
	.end_amdhsa_kernel
	.section	.text._ZL8moe_q6_KIN3c104HalfELb0EEvPKvS3_PT_PKiS7_S7_iiiiiii,"axG",@progbits,_ZL8moe_q6_KIN3c104HalfELb0EEvPKvS3_PT_PKiS7_S7_iiiiiii,comdat
.Lfunc_end215:
	.size	_ZL8moe_q6_KIN3c104HalfELb0EEvPKvS3_PT_PKiS7_S7_iiiiiii, .Lfunc_end215-_ZL8moe_q6_KIN3c104HalfELb0EEvPKvS3_PT_PKiS7_S7_iiiiiii
                                        ; -- End function
	.set _ZL8moe_q6_KIN3c104HalfELb0EEvPKvS3_PT_PKiS7_S7_iiiiiii.num_vgpr, 169
	.set _ZL8moe_q6_KIN3c104HalfELb0EEvPKvS3_PT_PKiS7_S7_iiiiiii.num_agpr, 0
	.set _ZL8moe_q6_KIN3c104HalfELb0EEvPKvS3_PT_PKiS7_S7_iiiiiii.numbered_sgpr, 27
	.set _ZL8moe_q6_KIN3c104HalfELb0EEvPKvS3_PT_PKiS7_S7_iiiiiii.num_named_barrier, 0
	.set _ZL8moe_q6_KIN3c104HalfELb0EEvPKvS3_PT_PKiS7_S7_iiiiiii.private_seg_size, 0
	.set _ZL8moe_q6_KIN3c104HalfELb0EEvPKvS3_PT_PKiS7_S7_iiiiiii.uses_vcc, 1
	.set _ZL8moe_q6_KIN3c104HalfELb0EEvPKvS3_PT_PKiS7_S7_iiiiiii.uses_flat_scratch, 0
	.set _ZL8moe_q6_KIN3c104HalfELb0EEvPKvS3_PT_PKiS7_S7_iiiiiii.has_dyn_sized_stack, 0
	.set _ZL8moe_q6_KIN3c104HalfELb0EEvPKvS3_PT_PKiS7_S7_iiiiiii.has_recursion, 0
	.set _ZL8moe_q6_KIN3c104HalfELb0EEvPKvS3_PT_PKiS7_S7_iiiiiii.has_indirect_call, 0
	.section	.AMDGPU.csdata,"",@progbits
; Kernel info:
; codeLenInByte = 11904
; TotalNumSgprs: 33
; NumVgprs: 169
; NumAgprs: 0
; TotalNumVgprs: 169
; ScratchSize: 0
; MemoryBound: 0
; FloatMode: 240
; IeeeMode: 1
; LDSByteSize: 37072 bytes/workgroup (compile time only)
; SGPRBlocks: 12
; VGPRBlocks: 21
; NumSGPRsForWavesPerEU: 102
; NumVGPRsForWavesPerEU: 169
; AccumOffset: 172
; Occupancy: 2
; WaveLimiterHint : 1
; COMPUTE_PGM_RSRC2:SCRATCH_EN: 0
; COMPUTE_PGM_RSRC2:USER_SGPR: 2
; COMPUTE_PGM_RSRC2:TRAP_HANDLER: 0
; COMPUTE_PGM_RSRC2:TGID_X_EN: 1
; COMPUTE_PGM_RSRC2:TGID_Y_EN: 1
; COMPUTE_PGM_RSRC2:TGID_Z_EN: 0
; COMPUTE_PGM_RSRC2:TIDIG_COMP_CNT: 1
; COMPUTE_PGM_RSRC3_GFX90A:ACCUM_OFFSET: 42
; COMPUTE_PGM_RSRC3_GFX90A:TG_SPLIT: 0
	.section	.text._ZL8moe_q6_KIN3c104HalfELb1EEvPKvS3_PT_PKiS7_S7_iiiiiii,"axG",@progbits,_ZL8moe_q6_KIN3c104HalfELb1EEvPKvS3_PT_PKiS7_S7_iiiiiii,comdat
	.globl	_ZL8moe_q6_KIN3c104HalfELb1EEvPKvS3_PT_PKiS7_S7_iiiiiii ; -- Begin function _ZL8moe_q6_KIN3c104HalfELb1EEvPKvS3_PT_PKiS7_S7_iiiiiii
	.p2align	8
	.type	_ZL8moe_q6_KIN3c104HalfELb1EEvPKvS3_PT_PKiS7_S7_iiiiiii,@function
_ZL8moe_q6_KIN3c104HalfELb1EEvPKvS3_PT_PKiS7_S7_iiiiiii: ; @_ZL8moe_q6_KIN3c104HalfELb1EEvPKvS3_PT_PKiS7_S7_iiiiiii
; %bb.0:
	s_load_dwordx4 s[4:7], s[0:1], 0x18
	s_mov_b32 s8, s3
	s_mov_b32 s9, 0
	s_lshl_b64 s[10:11], s[8:9], 2
	s_waitcnt lgkmcnt(0)
	s_add_u32 s6, s6, s10
	s_addc_u32 s7, s7, s11
	s_load_dword s3, s[6:7], 0x0
	s_waitcnt lgkmcnt(0)
	s_cmpk_gt_u32 s3, 0xff
	s_cbranch_scc1 .LBB216_26
; %bb.1:
	s_load_dwordx2 s[6:7], s[0:1], 0x28
	s_waitcnt lgkmcnt(0)
	s_load_dword s7, s[6:7], 0x0
	s_lshl_b32 s6, s8, 3
	s_waitcnt lgkmcnt(0)
	s_cmp_gt_u32 s6, s7
	s_cbranch_scc1 .LBB216_26
; %bb.2:
	v_bfe_u32 v2, v0, 10, 10
	v_mov_b32_e32 v4, s4
	v_mov_b32_e32 v5, s5
	v_add_u32_e32 v102, s6, v2
	v_mov_b32_e32 v103, 0
	v_lshl_add_u64 v[4:5], v[102:103], 2, v[4:5]
	global_load_dword v1, v[4:5], off
	s_load_dwordx8 s[4:11], s[0:1], 0x30
	s_load_dwordx2 s[16:17], s[0:1], 0x10
	s_waitcnt lgkmcnt(0)
	s_lshl_b32 s11, s2, 7
	v_mov_b32_e32 v102, v103
	v_mov_b32_e32 v23, v103
	s_cmpk_lt_i32 s5, 0x100
	v_mov_b32_e32 v22, v103
	s_cbranch_scc1 .LBB216_17
; %bb.3:
	s_load_dwordx4 s[12:15], s[0:1], 0x0
	s_ashr_i32 s0, s5, 31
	s_lshr_b32 s0, s0, 24
	v_and_b32_e32 v3, 31, v0
	s_add_i32 s0, s5, s0
	v_lshlrev_b32_e32 v4, 1, v3
	v_add_u16_e32 v5, -16, v3
	v_cmp_gt_u32_e32 vcc, 16, v3
	s_ashr_i32 s24, s0, 8
	s_ashr_i32 s0, s8, 31
	v_lshlrev_b32_e32 v22, 2, v3
	v_cndmask_b32_e32 v25, v5, v3, vcc
	v_add_u32_e32 v3, 0xe0, v4
	s_lshr_b32 s0, s0, 27
	v_cndmask_b32_e32 v3, v3, v4, vcc
	s_add_i32 s0, s8, s0
	v_and_b32_e32 v3, 0xfe, v3
	s_ashr_i32 s8, s0, 5
	s_not_b32 s0, s11
	v_sub_u32_e32 v3, v4, v3
	v_and_b32_e32 v4, 15, v0
	s_add_i32 s2, s6, s0
	v_add_lshl_u32 v4, v3, v4, 2
	v_add_u32_e32 v3, 8, v2
	s_mul_i32 s18, s3, s4
	v_min_i32_e32 v5, s2, v2
	s_movk_i32 s3, 0x104
	v_min_i32_e32 v3, s2, v3
	v_mul_lo_u32 v12, v3, s24
	v_mad_u64_u32 v[28:29], s[0:1], v3, s3, v[4:5]
	v_add_u32_e32 v3, 16, v2
	v_min_i32_e32 v3, s2, v3
	v_mul_lo_u32 v13, v3, s24
	v_mad_u64_u32 v[30:31], s[0:1], v3, s3, v[4:5]
	v_add_u32_e32 v3, 24, v2
	;; [unrolled: 4-line block ×14, first 2 shown]
	v_and_b32_e32 v24, 0x3ff, v0
	v_min_i32_e32 v3, s2, v3
	v_mul_lo_u32 v55, v3, s24
	v_mad_u64_u32 v[56:57], s[0:1], v3, s3, v[4:5]
	v_lshl_add_u32 v3, v2, 5, v24
	v_and_b32_e32 v3, 0x7f, v3
	v_min_i32_e32 v3, s2, v3
	v_mad_u64_u32 v[26:27], s[0:1], v5, s3, v[4:5]
	v_ashrrev_i32_e32 v4, 31, v3
	v_lshrrev_b32_e32 v4, 27, v4
	v_add_u32_e32 v4, v3, v4
	v_ashrrev_i32_e32 v4, 5, v4
	v_mul_lo_u32 v57, v3, s24
	v_lshlrev_b32_e32 v4, 2, v4
	v_lshlrev_b32_e32 v3, 2, v3
	s_mov_b32 s0, 0x8e40
	v_add3_u32 v27, v4, v3, s0
	v_bfe_u32 v3, v0, 2, 8
	v_lshl_add_u32 v3, v2, 3, v3
	v_and_b32_e32 v6, 0x7f, v3
	v_min_i32_e32 v6, s2, v6
	v_ashrrev_i32_e32 v7, 31, v6
	v_lshrrev_b32_e32 v7, 29, v7
	v_mul_lo_u32 v106, v6, s24
	v_add_u32_e32 v7, v6, v7
	v_lshlrev_b32_e32 v113, 4, v6
	v_mov_b32_e32 v6, 0x7f
	v_bitop3_b32 v3, v3, 64, v6 bitop3:0x6c
	v_min_i32_e32 v3, s2, v3
	v_ashrrev_i32_e32 v6, 31, v3
	v_mov_b32_e32 v11, 0x8a40
	v_bfe_u32 v35, v0, 3, 7
	v_bfe_u32 v8, v0, 5, 5
	s_mov_b32 s1, 0x8200
	v_lshrrev_b32_e32 v6, 29, v6
	v_lshl_add_u32 v31, v2, 7, v11
	v_lshlrev_b32_e32 v33, 4, v2
	v_lshlrev_b32_e32 v2, 2, v35
	;; [unrolled: 1-line block ×3, first 2 shown]
	v_mul_lo_u32 v107, v3, s24
	v_add_u32_e32 v6, v3, v6
	v_lshlrev_b32_e32 v115, 4, v3
	v_lshlrev_b32_e32 v3, 2, v24
	v_add3_u32 v37, v11, v2, s1
	v_lshlrev_b32_e32 v2, 2, v8
	v_add3_u32 v39, v2, v3, s0
	v_add_u32_e32 v2, 32, v24
	v_lshrrev_b32_e32 v41, 3, v2
	v_lshlrev_b32_e32 v11, 2, v41
	v_lshlrev_b32_e32 v2, 4, v2
	v_add3_u32 v43, v11, v2, s1
	v_and_b32_e32 v2, 60, v41
	v_add3_u32 v45, v3, v2, s0
	v_add_u32_e32 v2, 64, v24
	v_lshrrev_b32_e32 v11, 3, v2
	v_lshlrev_b32_e32 v47, 2, v11
	v_lshlrev_b32_e32 v2, 4, v2
	s_abs_i32 s2, s10
	v_add3_u32 v47, v47, v2, s1
	v_and_b32_e32 v2, 60, v11
	v_cvt_f32_u32_e32 v53, s2
	v_add3_u32 v49, v3, v2, s0
	v_add_u32_e32 v2, 0x60, v24
	v_lshrrev_b32_e32 v11, 3, v2
	v_lshlrev_b32_e32 v51, 2, v11
	v_lshlrev_b32_e32 v2, 4, v2
	v_add3_u32 v51, v51, v2, s1
	v_and_b32_e32 v2, 60, v11
	v_rcp_iflag_f32_e32 v11, v53
	v_lshlrev_b32_e32 v4, 2, v0
	v_ashrrev_i32_e32 v6, 3, v6
	v_and_b32_e32 v4, 12, v4
	v_lshlrev_b32_e32 v6, 2, v6
	v_add3_u32 v114, v6, v4, s1
	v_add_u32_e32 v29, 0x9050, v3
	v_and_b32_e32 v6, 28, v3
	v_add3_u32 v53, v3, v2, s0
	v_mul_f32_e32 v3, 0x4f7ffffe, v11
	v_cvt_u32_f32_e32 v3, v3
	s_sub_i32 s0, 0, s2
	s_waitcnt vmcnt(0)
	v_sub_u32_e32 v11, 0, v1
	v_max_i32_e32 v11, v1, v11
	v_mul_lo_u32 v58, s0, v3
	v_mul_hi_u32 v58, v3, v58
	v_add_u32_e32 v3, v3, v58
	v_mul_hi_u32 v3, v11, v3
	v_ashrrev_i32_e32 v7, 3, v7
	v_mul_lo_u32 v58, v3, s2
	v_lshlrev_b32_e32 v7, 2, v7
	v_sub_u32_e32 v11, v11, v58
	v_add3_u32 v112, v7, v4, s1
	v_add_u32_e32 v58, 1, v3
	v_cmp_le_u32_e64 s[0:1], s2, v11
	v_xor_b32_e32 v2, s10, v1
	v_ashrrev_i32_e32 v2, 31, v2
	v_cndmask_b32_e64 v3, v3, v58, s[0:1]
	v_subrev_u32_e32 v58, s2, v11
	v_cndmask_b32_e64 v11, v11, v58, s[0:1]
	v_add_u32_e32 v58, 1, v3
	v_cmp_le_u32_e64 s[0:1], s2, v11
	s_mul_i32 s4, s24, s11
	s_mul_hi_i32 s23, s4, 0xd2
	v_cndmask_b32_e64 v3, v3, v58, s[0:1]
	v_xor_b32_e32 v3, v3, v2
	v_sub_u32_e32 v2, v3, v2
	s_mul_i32 s22, s4, 0xd2
	v_mov_b32_e32 v23, 0
	v_and_b32_e32 v9, 7, v0
	v_cmp_gt_i32_e64 s[0:1], s7, v2
	v_mul_lo_u32 v60, v2, s8
	s_movk_i32 s6, 0xd2
	v_mov_b64_e32 v[2:3], s[22:23]
	v_mul_lo_u32 v10, v5, s24
	v_mov_b32_e32 v7, v23
	v_mad_u64_u32 v[2:3], s[2:3], v8, s6, v[2:3]
	v_lshlrev_b32_e32 v8, 1, v24
	v_lshlrev_b32_e32 v9, 2, v9
	s_waitcnt lgkmcnt(0)
	v_lshl_add_u64 v[58:59], s[14:15], 0, v[6:7]
	v_mad_i64_i32 v[6:7], s[2:3], v10, s6, v[2:3]
	v_and_or_b32 v8, v8, 32, v9
	v_mov_b32_e32 v9, v23
	v_lshl_add_u64 v[10:11], v[6:7], 0, v[8:9]
	v_lshl_add_u64 v[6:7], v[6:7], 0, v[22:23]
	;; [unrolled: 1-line block ×3, first 2 shown]
	s_mov_b64 s[2:3], 0x80
	v_lshl_add_u64 v[64:65], s[12:13], 0, v[6:7]
	v_mad_i64_i32 v[6:7], s[26:27], v12, s6, v[2:3]
	v_lshl_add_u64 v[62:63], v[10:11], 0, s[2:3]
	v_lshl_add_u64 v[10:11], v[6:7], 0, v[8:9]
	v_lshl_add_u64 v[6:7], v[6:7], 0, v[22:23]
	v_lshl_add_u64 v[10:11], s[12:13], 0, v[10:11]
	v_lshl_add_u64 v[68:69], s[12:13], 0, v[6:7]
	v_mad_i64_i32 v[6:7], s[26:27], v13, s6, v[2:3]
	v_lshl_add_u64 v[66:67], v[10:11], 0, s[2:3]
	v_lshl_add_u64 v[10:11], v[6:7], 0, v[8:9]
	v_lshl_add_u64 v[6:7], v[6:7], 0, v[22:23]
	v_lshl_add_u64 v[10:11], s[12:13], 0, v[10:11]
	;; [unrolled: 6-line block ×7, first 2 shown]
	v_lshl_add_u64 v[92:93], s[12:13], 0, v[6:7]
	v_mad_i64_i32 v[6:7], s[26:27], v19, s6, v[2:3]
	v_cmp_gt_u32_e32 vcc, 4, v24
	v_lshl_add_u64 v[90:91], v[10:11], 0, s[2:3]
	v_lshl_add_u64 v[10:11], v[6:7], 0, v[8:9]
	;; [unrolled: 1-line block ×3, first 2 shown]
	s_ashr_i32 s19, s18, 31
	s_and_b64 s[20:21], vcc, s[0:1]
	v_lshl_add_u64 v[10:11], s[12:13], 0, v[10:11]
	v_lshl_add_u64 v[96:97], s[12:13], 0, v[6:7]
	v_mad_i64_i32 v[6:7], s[26:27], v20, s6, v[2:3]
	v_lshl_add_u64 v[94:95], v[10:11], 0, s[2:3]
	v_lshl_add_u64 v[10:11], v[6:7], 0, v[8:9]
	s_add_u32 s22, s12, s22
	v_lshl_add_u64 v[10:11], s[12:13], 0, v[10:11]
	v_lshl_add_u64 v[6:7], v[6:7], 0, v[22:23]
	s_addc_u32 s23, s13, s23
	v_lshl_add_u64 v[98:99], v[10:11], 0, s[2:3]
	v_lshl_add_u64 v[100:101], s[12:13], 0, v[6:7]
	v_mad_i64_i32 v[6:7], s[26:27], v21, s6, v[2:3]
	v_mad_i64_i32 v[10:11], s[26:27], v102, s6, v[2:3]
	;; [unrolled: 1-line block ×6, first 2 shown]
	v_mov_b64_e32 v[18:19], s[22:23]
	v_mad_i64_i32 v[20:21], s[22:23], v106, s6, 0
	v_mov_b32_e32 v55, 0xd2
	v_mov_b32_e32 v5, v23
	v_mad_i64_i32 v[20:21], s[22:23], s4, v55, v[20:21]
	v_lshl_add_u64 v[104:105], v[6:7], 0, v[8:9]
	v_lshl_add_u64 v[6:7], v[6:7], 0, v[22:23]
	v_mad_i64_i32 v[102:103], s[22:23], v107, s6, 0
	v_lshl_add_u64 v[106:107], s[12:13], 0, v[6:7]
	v_lshl_add_u64 v[6:7], v[20:21], 0, v[4:5]
	v_lshl_add_u64 v[20:21], v[10:11], 0, v[8:9]
	v_lshl_add_u64 v[10:11], v[10:11], 0, v[22:23]
	v_lshl_add_u64 v[110:111], s[12:13], 0, v[10:11]
	v_lshl_add_u64 v[10:11], v[12:13], 0, v[8:9]
	v_lshl_add_u64 v[10:11], s[12:13], 0, v[10:11]
	v_mad_i64_i32 v[102:103], s[22:23], s4, v55, v[102:103]
	v_add_u32_e32 v55, v112, v113
	v_lshl_add_u64 v[112:113], v[10:11], 0, s[2:3]
	v_lshl_add_u64 v[10:11], v[12:13], 0, v[22:23]
	v_mad_i64_i32 v[18:19], s[22:23], v57, s6, v[18:19]
	v_add_u32_e32 v57, v114, v115
	v_lshl_add_u64 v[114:115], s[12:13], 0, v[10:11]
	v_lshl_add_u64 v[10:11], v[14:15], 0, v[8:9]
	;; [unrolled: 1-line block ×17, first 2 shown]
	s_mov_b64 s[2:3], 0xd0
	v_lshl_add_u64 v[4:5], v[102:103], 0, v[4:5]
	v_lshl_add_u64 v[126:127], s[12:13], 0, v[2:3]
	;; [unrolled: 1-line block ×4, first 2 shown]
	s_mov_b64 s[2:3], 0xc0
	v_lshl_add_u64 v[130:131], v[2:3], 0, s[2:3]
	v_lshl_add_u64 v[2:3], s[12:13], 0, v[4:5]
	;; [unrolled: 1-line block ×4, first 2 shown]
	v_cmp_lt_u16_e64 s[2:3], 7, v25
	v_ashrrev_i32_e32 v61, 31, v60
	v_lshl_add_u64 v[122:123], s[12:13], 0, v[10:11]
	s_movk_i32 s4, 0x80
	s_mov_b32 s6, 0x30303030
	s_movk_i32 s25, 0xe000
	s_movk_i32 s26, 0x3f00
	s_mov_b64 s[12:13], 0xd2
	v_add_u32_e32 v137, v31, v22
	v_mov_b32_e32 v22, v23
	v_mov_b32_e32 v102, v23
	;; [unrolled: 1-line block ×3, first 2 shown]
	v_cndmask_b32_e64 v144, 0, 2, s[2:3]
	v_mul_u32_u24_e32 v145, 0x104, v24
	s_branch .LBB216_6
.LBB216_4:                              ;   in Loop: Header=BB216_6 Depth=1
	s_or_b64 exec, exec, s[22:23]
	s_waitcnt lgkmcnt(0)
	s_barrier
	ds_read_b128 v[2:5], v31
	ds_read_b128 v[6:9], v31 offset:16
	ds_read_b128 v[10:13], v31 offset:32
	ds_read_b128 v[14:17], v31 offset:48
	ds_read2_b32 v[18:19], v145 offset0:44 offset1:45
	ds_read2_b32 v[20:21], v145 offset0:38 offset1:39
	;; [unrolled: 1-line block ×7, first 2 shown]
	v_mov_b32_e32 v155, 0
	v_mov_b32_e32 v156, 0
	;; [unrolled: 1-line block ×3, first 2 shown]
	s_waitcnt lgkmcnt(4)
	v_dot4c_i32_i8_e32 v155, v134, v6
	s_waitcnt lgkmcnt(2)
	v_dot4c_i32_i8_e32 v156, v140, v2
	v_dot4c_i32_i8_e32 v25, v18, v14
	ds_read2_b32 v[148:149], v145 offset0:40 offset1:41
	v_dot4c_i32_i8_e32 v155, v135, v7
	v_dot4c_i32_i8_e32 v156, v141, v3
	;; [unrolled: 1-line block ×5, first 2 shown]
	v_add_u32_e32 v18, 0x2118, v145
	v_add_u32_e32 v20, 0x2110, v145
	;; [unrolled: 1-line block ×5, first 2 shown]
	s_waitcnt lgkmcnt(2)
	v_dot4c_i32_i8_e32 v25, v142, v16
	v_dot4c_i32_i8_e32 v155, v21, v9
	;; [unrolled: 1-line block ×3, first 2 shown]
	ds_read2_b32 v[18:19], v18 offset1:1
	ds_read2_b32 v[20:21], v20 offset1:1
	;; [unrolled: 1-line block ×5, first 2 shown]
	v_add_u32_e32 v136, 0x2130, v145
	v_dot4c_i32_i8_e32 v25, v143, v17
	ds_read2_b32 v[142:143], v136 offset1:1
	v_mov_b32_e32 v154, 0
	s_waitcnt lgkmcnt(6)
	v_dot4c_i32_i8_e32 v154, v148, v10
	v_dot4c_i32_i8_e32 v154, v149, v11
	;; [unrolled: 1-line block ×3, first 2 shown]
	v_mov_b32_e32 v157, 0
	v_add_u32_e32 v136, 0x2128, v145
	v_add_u32_e32 v148, 0x2120, v145
	v_add_u32_e32 v150, 0x4198, v145
	v_mov_b32_e32 v159, 0
	v_mov_b32_e32 v160, 0
	v_dot4c_i32_i8_e32 v154, v147, v13
	ds_read2_b32 v[146:147], v136 offset1:1
	ds_read2_b32 v[148:149], v148 offset1:1
	;; [unrolled: 1-line block ×3, first 2 shown]
	s_waitcnt lgkmcnt(3)
	v_dot4c_i32_i8_e32 v157, v142, v14
	v_dot4c_i32_i8_e32 v159, v20, v6
	;; [unrolled: 1-line block ×9, first 2 shown]
	v_add_u32_e32 v18, 0x4190, v145
	v_add_u32_e32 v20, 0x4188, v145
	v_add_u32_e32 v134, 0x4180, v145
	v_add_u32_e32 v140, 0x41b8, v145
	v_dot4c_i32_i8_e32 v157, v141, v17
	v_mov_b32_e32 v158, 0
	ds_read_b32 v136, v53 offset:384
	v_dot4c_i32_i8_e32 v159, v19, v9
	v_dot4c_i32_i8_e32 v160, v135, v5
	ds_read_b32 v135, v49 offset:256
	ds_read2_b32 v[18:19], v18 offset1:1
	ds_read2_b32 v[20:21], v20 offset1:1
	;; [unrolled: 1-line block ×4, first 2 shown]
	v_add_u32_e32 v134, 0x41b0, v145
	s_waitcnt lgkmcnt(7)
	v_dot4c_i32_i8_e32 v158, v148, v10
	ds_read2_b32 v[142:143], v134 offset1:1
	v_dot4c_i32_i8_e32 v158, v149, v11
	v_dot4c_i32_i8_e32 v158, v146, v12
	v_add_u32_e32 v134, 0x41a8, v145
	v_add_u32_e32 v148, 0x41a0, v145
	;; [unrolled: 1-line block ×3, first 2 shown]
	v_dot4c_i32_i8_e32 v158, v147, v13
	ds_read2_b32 v[146:147], v134 offset1:1
	ds_read2_b32 v[148:149], v148 offset1:1
	;; [unrolled: 1-line block ×3, first 2 shown]
	v_mov_b32_e32 v161, 0
	v_mov_b32_e32 v164, 0
	s_waitcnt lgkmcnt(3)
	v_dot4c_i32_i8_e32 v161, v142, v14
	v_dot4c_i32_i8_e32 v164, v138, v2
	;; [unrolled: 1-line block ×3, first 2 shown]
	v_mov_b32_e32 v162, 0
	v_mov_b32_e32 v163, 0
	v_dot4c_i32_i8_e32 v164, v139, v3
	v_dot4c_i32_i8_e32 v161, v140, v16
	s_waitcnt lgkmcnt(1)
	v_dot4c_i32_i8_e32 v162, v148, v10
	v_dot4c_i32_i8_e32 v163, v18, v6
	v_dot4c_i32_i8_e32 v164, v20, v4
	v_add_u32_e32 v18, 0x6210, v145
	v_add_u32_e32 v20, 0x6208, v145
	;; [unrolled: 1-line block ×4, first 2 shown]
	v_dot4c_i32_i8_e32 v161, v141, v17
	v_dot4c_i32_i8_e32 v162, v149, v11
	;; [unrolled: 1-line block ×4, first 2 shown]
	ds_read2_b32 v[18:19], v18 offset1:1
	ds_read2_b32 v[20:21], v20 offset1:1
	;; [unrolled: 1-line block ×4, first 2 shown]
	v_add_u32_e32 v134, 0x6230, v145
	v_dot4c_i32_i8_e32 v162, v146, v12
	v_dot4c_i32_i8_e32 v163, v150, v8
	ds_read2_b32 v[142:143], v134 offset1:1
	v_add_u32_e32 v134, 0x6228, v145
	v_add_u32_e32 v148, 0x6220, v145
	;; [unrolled: 1-line block ×3, first 2 shown]
	v_dot4c_i32_i8_e32 v162, v147, v13
	v_dot4c_i32_i8_e32 v163, v151, v9
	ds_read2_b32 v[146:147], v134 offset1:1
	ds_read2_b32 v[148:149], v148 offset1:1
	;; [unrolled: 1-line block ×3, first 2 shown]
	v_mov_b32_e32 v170, 0
	v_mov_b32_e32 v171, 0
	;; [unrolled: 1-line block ×4, first 2 shown]
	s_waitcnt lgkmcnt(3)
	v_dot4c_i32_i8_e32 v170, v142, v14
	s_waitcnt lgkmcnt(1)
	v_dot4c_i32_i8_e32 v171, v148, v10
	v_dot4c_i32_i8_e32 v172, v18, v6
	v_dot4c_i32_i8_e32 v173, v138, v2
	v_dot4c_i32_i8_e32 v170, v143, v15
	v_dot4c_i32_i8_e32 v171, v149, v11
	v_dot4c_i32_i8_e32 v172, v19, v7
	v_dot4c_i32_i8_e32 v173, v139, v3
	v_dot4c_i32_i8_e32 v170, v140, v16
	v_dot4c_i32_i8_e32 v171, v146, v12
	v_dot4c_i32_i8_e32 v172, v152, v8
	v_dot4c_i32_i8_e32 v173, v20, v4
	v_dot4c_i32_i8_e32 v170, v141, v17
	v_dot4c_i32_i8_e32 v171, v147, v13
	v_dot4c_i32_i8_e32 v172, v153, v9
	v_dot4c_i32_i8_e32 v173, v21, v5
	ds_read_b128 v[10:13], v31 offset:80
	ds_read_b128 v[6:9], v31 offset:64
	;; [unrolled: 1-line block ×4, first 2 shown]
	ds_read2_b32 v[2:3], v145 offset0:62 offset1:63
	ds_read2_b32 v[4:5], v145 offset0:60 offset1:61
	;; [unrolled: 1-line block ×6, first 2 shown]
	v_mov_b32_e32 v174, 0
	s_waitcnt lgkmcnt(4)
	v_dot4c_i32_i8_e32 v174, v4, v18
	v_dot4c_i32_i8_e32 v174, v5, v19
	;; [unrolled: 1-line block ×3, first 2 shown]
	ds_read2_b32 v[148:149], v145 offset0:58 offset1:59
	v_dot4c_i32_i8_e32 v174, v3, v21
	ds_read_b128 v[2:5], v33 offset:36944
	ds_read2_b32 v[152:153], v37 offset0:2 offset1:3
	v_mov_b32_e32 v175, 0
	s_waitcnt lgkmcnt(5)
	v_dot4c_i32_i8_e32 v175, v140, v10
	v_dot4c_i32_i8_e32 v175, v141, v11
	;; [unrolled: 1-line block ×3, first 2 shown]
	s_waitcnt lgkmcnt(0)
	v_ashrrev_i32_e32 v134, 24, v152
	v_bfe_i32 v138, v152, 8, 8
	v_dot4c_i32_i8_e32 v175, v139, v13
	v_mov_b32_e32 v176, 0
	v_bfe_i32 v140, v152, 16, 8
	v_bfe_i32 v139, v152, 0, 8
	v_mul_lo_u32 v134, v25, v134
	v_mul_lo_u32 v138, v155, v138
	v_dot4c_i32_i8_e32 v176, v146, v6
	v_mad_u64_u32 v[138:139], s[2:3], v156, v139, v[138:139]
	v_mad_u64_u32 v[140:141], s[2:3], v154, v140, v[134:135]
	v_dot4c_i32_i8_e32 v176, v147, v7
	v_cvt_f32_i32_e32 v147, v140
	v_cvt_f32_i32_e32 v146, v138
	ds_read_b32 v25, v39
	ds_read_b32 v134, v45 offset:128
	ds_read2_b32 v[138:139], v47 offset0:2 offset1:3
	ds_read2_b32 v[140:141], v43 offset0:2 offset1:3
	v_dot4c_i32_i8_e32 v176, v142, v8
	v_dot4c_i32_i8_e32 v176, v143, v9
	v_pk_mul_f32 v[142:143], v[2:3], v[146:147]
	s_waitcnt lgkmcnt(1)
	v_bfe_i32 v154, v138, 0, 8
	v_add_f32_e32 v152, 0, v142
	s_waitcnt lgkmcnt(0)
	v_bfe_i32 v146, v140, 8, 8
	v_bfe_i32 v142, v138, 8, 8
	v_mul_lo_u32 v142, v163, v142
	v_mul_lo_u32 v146, v159, v146
	v_bfe_i32 v147, v140, 0, 8
	v_mad_u64_u32 v[146:147], s[2:3], v160, v147, v[146:147]
	v_mad_u64_u32 v[154:155], s[2:3], v164, v154, v[142:143]
	v_cvt_f32_i32_e32 v147, v154
	v_bfe_i32 v142, v138, 16, 8
	v_bfe_i32 v154, v140, 16, 8
	v_ashrrev_i32_e32 v140, 24, v140
	v_ashrrev_i32_e32 v138, 24, v138
	v_mul_lo_u32 v138, v161, v138
	v_mul_lo_u32 v140, v157, v140
	v_cvt_f32_i32_e32 v146, v146
	v_mad_u64_u32 v[154:155], s[2:3], v158, v154, v[140:141]
	v_mad_u64_u32 v[156:157], s[2:3], v162, v142, v[138:139]
	v_cvt_f32_i32_e32 v155, v156
	v_cvt_f32_i32_e32 v154, v154
	v_add_f32_e32 v138, v152, v143
	v_pk_fma_f32 v[142:143], v[2:3], v[146:147], 0 op_sel_hi:[0,1,0]
	v_add_u32_e32 v140, 0x6250, v145
	v_add_u32_e32 v158, 0x6240, v145
	;; [unrolled: 1-line block ×3, first 2 shown]
	v_pk_fma_f32 v[142:143], v[2:3], v[154:155], v[142:143] op_sel:[1,0,0]
	ds_read2_b32 v[146:147], v51 offset0:2 offset1:3
	v_add_u32_e32 v152, 0x6248, v145
	ds_read2_b32 v[154:155], v140 offset1:1
	ds_read2_b32 v[156:157], v152 offset1:1
	;; [unrolled: 1-line block ×4, first 2 shown]
	v_add_u32_e32 v140, 0x6270, v145
	ds_read2_b32 v[162:163], v140 offset1:1
	v_add_u32_e32 v140, 0x6268, v145
	v_add_u32_e32 v166, 0x6260, v145
	;; [unrolled: 1-line block ×3, first 2 shown]
	ds_read2_b32 v[164:165], v140 offset1:1
	ds_read2_b32 v[166:167], v166 offset1:1
	;; [unrolled: 1-line block ×3, first 2 shown]
	v_mov_b32_e32 v140, 0
	s_waitcnt lgkmcnt(7)
	v_dot4c_i32_i8_e32 v140, v154, v10
	v_mov_b32_e32 v154, 0
	v_dot4c_i32_i8_e32 v140, v155, v11
	s_waitcnt lgkmcnt(5)
	v_dot4c_i32_i8_e32 v154, v158, v6
	v_dot4c_i32_i8_e32 v140, v150, v12
	;; [unrolled: 1-line block ×3, first 2 shown]
	v_mov_b32_e32 v152, 0
	v_dot4c_i32_i8_e32 v140, v151, v13
	v_bfe_i32 v150, v146, 8, 8
	v_bfe_i32 v151, v147, 8, 8
	v_dot4c_i32_i8_e32 v154, v156, v8
	s_waitcnt lgkmcnt(3)
	v_dot4c_i32_i8_e32 v152, v162, v18
	v_mul_lo_u32 v140, v140, v151
	v_mul_lo_u32 v150, v172, v150
	v_dot4c_i32_i8_e32 v154, v157, v9
	v_bfe_i32 v155, v147, 0, 8
	v_bfe_i32 v151, v146, 0, 8
	v_dot4c_i32_i8_e32 v152, v163, v19
	v_mad_u64_u32 v[150:151], s[2:3], v173, v151, v[150:151]
	v_mad_u64_u32 v[154:155], s[2:3], v154, v155, v[140:141]
	v_dot4c_i32_i8_e32 v152, v160, v20
	v_mov_b32_e32 v160, 0
	v_cvt_f32_i32_e32 v151, v154
	v_cvt_f32_i32_e32 v150, v150
	s_waitcnt lgkmcnt(1)
	v_dot4c_i32_i8_e32 v160, v166, v14
	ds_read2_b32 v[156:157], v145 offset0:56 offset1:57
	v_dot4c_i32_i8_e32 v160, v167, v15
	v_dot4c_i32_i8_e32 v152, v161, v21
	;; [unrolled: 1-line block ×3, first 2 shown]
	v_mov_b32_e32 v154, v2
	v_mov_b32_e32 v155, v4
	v_ashrrev_i32_e32 v140, 24, v146
	v_ashrrev_i32_e32 v2, 24, v147
	v_dot4c_i32_i8_e32 v160, v165, v17
	v_pk_fma_f32 v[150:151], v[154:155], v[150:151], 0 op_sel_hi:[1,1,0]
	v_bfe_i32 v154, v147, 16, 8
	v_bfe_i32 v155, v146, 16, 8
	v_mul_lo_u32 v2, v152, v2
	v_mul_lo_u32 v140, v170, v140
	v_mad_u64_u32 v[146:147], s[2:3], v171, v155, v[140:141]
	v_mad_u64_u32 v[154:155], s[2:3], v160, v154, v[2:3]
	v_mov_b32_e32 v2, v3
	v_mov_b32_e32 v3, 0
	s_waitcnt lgkmcnt(0)
	v_dot4c_i32_i8_e32 v3, v156, v14
	v_dot4c_i32_i8_e32 v3, v157, v15
	;; [unrolled: 1-line block ×3, first 2 shown]
	v_ashrrev_i32_e32 v140, 24, v153
	v_bfe_i32 v148, v153, 8, 8
	v_dot4c_i32_i8_e32 v3, v149, v17
	v_bfe_i32 v152, v153, 16, 8
	v_bfe_i32 v149, v153, 0, 8
	v_mul_lo_u32 v140, v174, v140
	v_mul_lo_u32 v148, v175, v148
	v_mad_u64_u32 v[148:149], s[2:3], v176, v149, v[148:149]
	v_mad_u64_u32 v[152:153], s[2:3], v3, v152, v[140:141]
	v_cvt_f32_i32_e32 v147, v154
	v_cvt_f32_i32_e32 v146, v146
	;; [unrolled: 1-line block ×4, first 2 shown]
	v_mov_b32_e32 v3, v5
	v_pk_fma_f32 v[2:3], v[2:3], v[146:147], v[150:151]
	v_add_u32_e32 v140, 0x2150, v145
	v_pk_mul_f32 v[146:147], v[4:5], v[148:149]
	v_pk_mul_f32 v[2:3], v[136:137], v[2:3] op_sel_hi:[0,1]
	v_add_f32_e32 v136, 0, v146
	v_add_u32_e32 v148, 0x2148, v145
	v_add_u32_e32 v150, 0x2140, v145
	;; [unrolled: 1-line block ×3, first 2 shown]
	v_add_f32_e32 v136, v136, v147
	ds_read2_b32 v[146:147], v140 offset1:1
	ds_read2_b32 v[148:149], v148 offset1:1
	;; [unrolled: 1-line block ×4, first 2 shown]
	v_add_u32_e32 v140, 0x2170, v145
	ds_read2_b32 v[154:155], v140 offset1:1
	v_add_u32_e32 v156, 0x2168, v145
	v_add_u32_e32 v158, 0x2160, v145
	;; [unrolled: 1-line block ×3, first 2 shown]
	ds_read2_b32 v[156:157], v156 offset1:1
	ds_read2_b32 v[158:159], v158 offset1:1
	;; [unrolled: 1-line block ×3, first 2 shown]
	v_mov_b32_e32 v140, 0
	v_mov_b32_e32 v164, 0
	s_waitcnt lgkmcnt(3)
	v_dot4c_i32_i8_e32 v140, v154, v18
	v_mov_b32_e32 v162, 0
	v_dot4c_i32_i8_e32 v164, v150, v6
	v_dot4c_i32_i8_e32 v140, v155, v19
	s_waitcnt lgkmcnt(1)
	v_dot4c_i32_i8_e32 v162, v158, v14
	v_mov_b32_e32 v163, 0
	v_dot4c_i32_i8_e32 v164, v151, v7
	v_dot4c_i32_i8_e32 v140, v152, v20
	;; [unrolled: 1-line block ×5, first 2 shown]
	v_add_u32_e32 v146, 0x41d0, v145
	v_add_u32_e32 v148, 0x41c8, v145
	;; [unrolled: 1-line block ×5, first 2 shown]
	v_dot4c_i32_i8_e32 v140, v153, v21
	v_dot4c_i32_i8_e32 v162, v156, v16
	;; [unrolled: 1-line block ×4, first 2 shown]
	ds_read2_b32 v[146:147], v146 offset1:1
	ds_read2_b32 v[148:149], v148 offset1:1
	;; [unrolled: 1-line block ×5, first 2 shown]
	v_add_u32_e32 v156, 0x41e8, v145
	v_add_u32_e32 v158, 0x41e0, v145
	v_dot4c_i32_i8_e32 v162, v157, v17
	ds_read2_b32 v[156:157], v156 offset1:1
	ds_read2_b32 v[158:159], v158 offset1:1
	v_mov_b32_e32 v165, 0
	s_waitcnt lgkmcnt(2)
	v_dot4c_i32_i8_e32 v165, v154, v18
	v_mov_b32_e32 v18, 0
	v_dot4c_i32_i8_e32 v163, v168, v12
	s_waitcnt lgkmcnt(0)
	v_dot4c_i32_i8_e32 v18, v158, v14
	v_mov_b32_e32 v14, 0
	v_dot4c_i32_i8_e32 v14, v146, v10
	v_mov_b32_e32 v10, 0
	v_dot4c_i32_i8_e32 v14, v147, v11
	v_dot4c_i32_i8_e32 v10, v150, v6
	;; [unrolled: 1-line block ×7, first 2 shown]
	v_bfe_i32 v7, v141, 8, 8
	v_bfe_i32 v6, v139, 8, 8
	v_dot4c_i32_i8_e32 v165, v155, v19
	v_dot4c_i32_i8_e32 v10, v149, v9
	v_mul_lo_u32 v6, v14, v6
	v_mul_lo_u32 v8, v163, v7
	v_bfe_i32 v7, v139, 0, 8
	v_bfe_i32 v9, v141, 0, 8
	v_dot4c_i32_i8_e32 v165, v152, v20
	v_dot4c_i32_i8_e32 v18, v159, v15
	v_mad_u64_u32 v[8:9], s[2:3], v164, v9, v[8:9]
	v_mad_u64_u32 v[6:7], s[2:3], v10, v7, v[6:7]
	v_dot4c_i32_i8_e32 v165, v153, v21
	v_dot4c_i32_i8_e32 v18, v156, v16
	v_cvt_f32_i32_e32 v7, v6
	v_cvt_f32_i32_e32 v6, v8
	v_ashrrev_i32_e32 v10, 24, v141
	v_ashrrev_i32_e32 v8, 24, v139
	v_dot4c_i32_i8_e32 v18, v157, v17
	v_bfe_i32 v9, v139, 16, 8
	v_bfe_i32 v11, v141, 16, 8
	v_mul_lo_u32 v8, v165, v8
	v_mul_lo_u32 v10, v140, v10
	v_mad_u64_u32 v[10:11], s[2:3], v162, v11, v[10:11]
	v_mad_u64_u32 v[8:9], s[2:3], v18, v9, v[8:9]
	v_cvt_f32_i32_e32 v9, v8
	v_cvt_f32_i32_e32 v8, v10
	v_pk_fma_f32 v[6:7], v[4:5], v[6:7], 0 op_sel_hi:[0,1,0]
	v_mov_b32_e32 v4, v5
	v_pk_mul_f32 v[142:143], v[134:135], v[142:143]
	v_pk_fma_f32 v[4:5], v[4:5], v[8:9], v[6:7] op_sel_hi:[0,1,1]
	v_mul_f32_e32 v138, v25, v138
	v_pk_mul_f32 v[4:5], v[134:135], v[4:5]
	v_mov_b32_e32 v139, v142
	v_pk_mov_b32 v[8:9], v[142:143], v[2:3] op_sel:[1,0]
	v_mul_f32_e32 v10, v25, v136
	v_pk_add_f32 v[6:7], v[22:23], v[138:139]
	v_pk_add_f32 v[8:9], v[102:103], v[8:9]
	v_mov_b32_e32 v2, v5
	v_mov_b32_e32 v11, v4
	v_pk_add_f32 v[102:103], v[8:9], v[2:3]
	v_pk_add_f32 v[22:23], v[6:7], v[10:11]
	s_barrier
.LBB216_5:                              ;   in Loop: Header=BB216_6 Depth=1
	s_add_i32 s24, s24, -1
	s_addk_i32 s4, 0x100
	v_add_u32_e32 v41, 8, v41
	v_add_u32_e32 v35, 8, v35
	;; [unrolled: 1-line block ×3, first 2 shown]
	v_lshl_add_u64 v[62:63], v[62:63], 0, s[12:13]
	v_lshl_add_u64 v[64:65], v[64:65], 0, s[12:13]
	;; [unrolled: 1-line block ×34, first 2 shown]
	s_cmp_eq_u32 s24, 0
	v_lshl_add_u64 v[132:133], v[132:133], 0, s[12:13]
	s_cbranch_scc1 .LBB216_17
.LBB216_6:                              ; =>This Inner Loop Header: Depth=1
	v_lshl_add_u64 v[2:3], v[64:65], 0, s[18:19]
	global_load_dword v10, v[2:3], off
	v_lshl_add_u64 v[2:3], v[62:63], 0, s[18:19]
	global_load_dword v11, v[2:3], off
	v_lshl_add_u64 v[2:3], v[68:69], 0, s[18:19]
	global_load_dword v12, v[2:3], off
	v_lshl_add_u64 v[2:3], v[66:67], 0, s[18:19]
	global_load_dword v13, v[2:3], off
	v_lshl_add_u64 v[2:3], v[72:73], 0, s[18:19]
	global_load_dword v14, v[2:3], off
	v_lshl_add_u64 v[2:3], v[70:71], 0, s[18:19]
	global_load_dword v15, v[2:3], off
	v_lshl_add_u64 v[2:3], v[76:77], 0, s[18:19]
	v_lshl_add_u64 v[4:5], v[74:75], 0, s[18:19]
	;; [unrolled: 1-line block ×4, first 2 shown]
	global_load_dword v16, v[2:3], off
	s_nop 0
	global_load_dword v4, v[4:5], off
	s_nop 0
	;; [unrolled: 2-line block ×3, first 2 shown]
	global_load_dword v6, v[8:9], off
	s_add_i32 s2, s4, 0xffffff80
	s_cmp_lt_i32 s2, s5
	s_waitcnt vmcnt(9)
	v_lshrrev_b32_e32 v3, 4, v10
	v_and_b32_e32 v2, 0xf0f0f0f, v10
	s_waitcnt vmcnt(8)
	v_ashrrev_i32_e32 v7, v144, v11
	v_and_b32_e32 v3, 0xf0f0f0f, v3
	s_waitcnt vmcnt(7)
	v_and_b32_e32 v8, 0xf0f0f0f, v12
	v_lshrrev_b32_e32 v9, 4, v12
	s_waitcnt vmcnt(6)
	v_ashrrev_i32_e32 v10, v144, v13
	v_and_b32_e32 v9, 0xf0f0f0f, v9
	s_waitcnt vmcnt(5)
	v_and_b32_e32 v11, 0xf0f0f0f, v14
	v_lshrrev_b32_e32 v12, 4, v14
	s_waitcnt vmcnt(4)
	v_ashrrev_i32_e32 v13, v144, v15
	v_lshlrev_b32_e32 v14, 4, v7
	v_lshlrev_b32_e32 v15, 4, v10
	;; [unrolled: 1-line block ×3, first 2 shown]
	v_and_or_b32 v2, v14, s6, v2
	v_and_or_b32 v3, v7, s6, v3
	;; [unrolled: 1-line block ×5, first 2 shown]
	v_lshrrev_b32_e32 v10, 16, v2
	v_lshlrev_b16_e32 v11, 8, v2
	v_lshrrev_b32_e32 v14, 16, v3
	v_lshlrev_b16_e32 v15, 8, v3
	v_lshrrev_b32_e32 v17, 16, v7
	v_lshlrev_b16_e32 v18, 8, v7
	v_lshrrev_b32_e32 v19, 16, v8
	v_lshlrev_b16_e32 v20, 8, v8
	v_add_u16_e32 v11, 0xe000, v11
	v_lshlrev_b16_e32 v134, 8, v10
	v_add_u16_e32 v15, 0xe000, v15
	v_lshlrev_b16_e32 v135, 8, v14
	;; [unrolled: 2-line block ×4, first 2 shown]
	v_lshrrev_b16_e32 v11, 8, v11
	v_add_u16_e32 v134, 0xe000, v134
	v_lshrrev_b16_e32 v15, 8, v15
	v_add_u16_e32 v135, 0xe000, v135
	;; [unrolled: 2-line block ×4, first 2 shown]
	v_bitop3_b16 v2, v2, v11, s26 bitop3:0xec
	v_lshrrev_b16_e32 v11, 8, v134
	v_bitop3_b16 v3, v3, v15, s26 bitop3:0xec
	v_lshrrev_b16_e32 v15, 8, v135
	;; [unrolled: 2-line block ×4, first 2 shown]
	v_bitop3_b16 v10, v10, v11, s26 bitop3:0xec
	v_bitop3_b16 v11, v14, v15, s26 bitop3:0xec
	v_add_u16_e32 v2, 0xe000, v2
	v_add_u16_e32 v3, 0xe000, v3
	v_bitop3_b16 v14, v17, v18, s26 bitop3:0xec
	v_bitop3_b16 v15, v19, v20, s26 bitop3:0xec
	v_add_u16_sdwa v10, v10, s25 dst_sel:WORD_1 dst_unused:UNUSED_PAD src0_sel:DWORD src1_sel:DWORD
	v_add_u16_sdwa v11, v11, s25 dst_sel:WORD_1 dst_unused:UNUSED_PAD src0_sel:DWORD src1_sel:DWORD
	v_lshrrev_b32_e32 v21, 16, v9
	v_add_u16_e32 v7, 0xe000, v7
	v_add_u16_e32 v8, 0xe000, v8
	v_add_u16_sdwa v14, v14, s25 dst_sel:WORD_1 dst_unused:UNUSED_PAD src0_sel:DWORD src1_sel:DWORD
	v_add_u16_sdwa v15, v15, s25 dst_sel:WORD_1 dst_unused:UNUSED_PAD src0_sel:DWORD src1_sel:DWORD
	v_or_b32_e32 v2, v2, v10
	v_or_b32_e32 v3, v3, v11
	v_lshlrev_b16_e32 v25, 8, v9
	v_or_b32_e32 v7, v7, v14
	v_or_b32_e32 v8, v8, v15
	ds_write2_b32 v26, v2, v3 offset1:16
	ds_write2_b32 v28, v7, v8 offset1:16
	v_lshlrev_b16_e32 v3, 8, v21
	v_add_u16_e32 v2, 0xe000, v25
	v_add_u16_e32 v3, 0xe000, v3
	v_lshrrev_b16_e32 v2, 8, v2
	v_lshrrev_b16_e32 v3, 8, v3
	v_bitop3_b16 v2, v9, v2, s26 bitop3:0xec
	v_bitop3_b16 v3, v21, v3, s26 bitop3:0xec
	v_and_b32_e32 v12, 0xf0f0f0f, v12
	v_add_u16_e32 v2, 0xe000, v2
	v_add_u16_sdwa v3, v3, s25 dst_sel:WORD_1 dst_unused:UNUSED_PAD src0_sel:DWORD src1_sel:DWORD
	s_waitcnt vmcnt(2)
	v_ashrrev_i32_e32 v4, v144, v4
	v_or_b32_e32 v7, v2, v3
	v_and_or_b32 v2, v13, s6, v12
	v_lshlrev_b16_e32 v3, 8, v2
	v_add_u16_e32 v3, 0xe000, v3
	v_lshrrev_b16_e32 v3, 8, v3
	v_lshrrev_b32_e32 v8, 16, v2
	v_bitop3_b16 v2, v2, v3, s26 bitop3:0xec
	v_add_u16_e32 v9, 0xe000, v2
	v_lshlrev_b16_e32 v2, 8, v8
	v_add_u16_e32 v10, 0xe000, v2
	v_lshl_add_u64 v[2:3], v[84:85], 0, s[18:19]
	global_load_dword v11, v[2:3], off
	v_lshl_add_u64 v[2:3], v[82:83], 0, s[18:19]
	v_lshrrev_b16_e32 v10, 8, v10
	global_load_dword v12, v[2:3], off
	v_bitop3_b16 v2, v8, v10, s26 bitop3:0xec
	v_add_u16_sdwa v2, v2, s25 dst_sel:WORD_1 dst_unused:UNUSED_PAD src0_sel:DWORD src1_sel:DWORD
	v_lshrrev_b32_e32 v3, 4, v16
	v_or_b32_e32 v2, v9, v2
	ds_write2_b32 v30, v7, v2 offset1:16
	v_and_b32_e32 v2, 0xf0f0f0f, v16
	v_lshlrev_b32_e32 v7, 4, v4
	v_and_or_b32 v2, v7, s6, v2
	v_lshlrev_b16_e32 v8, 8, v2
	v_add_u16_e32 v8, 0xe000, v8
	v_lshrrev_b32_e32 v7, 16, v2
	v_lshrrev_b16_e32 v8, 8, v8
	v_bitop3_b16 v2, v2, v8, s26 bitop3:0xec
	v_lshlrev_b16_e32 v8, 8, v7
	v_add_u16_e32 v8, 0xe000, v8
	v_lshrrev_b16_e32 v8, 8, v8
	v_bitop3_b16 v7, v7, v8, s26 bitop3:0xec
	v_and_b32_e32 v3, 0xf0f0f0f, v3
	v_add_u16_e32 v2, 0xe000, v2
	v_add_u16_sdwa v7, v7, s25 dst_sel:WORD_1 dst_unused:UNUSED_PAD src0_sel:DWORD src1_sel:DWORD
	s_nop 0
	v_or_b32_e32 v7, v2, v7
	v_and_or_b32 v2, v4, s6, v3
	v_lshlrev_b16_e32 v3, 8, v2
	v_add_u16_e32 v3, 0xe000, v3
	v_lshrrev_b16_e32 v3, 8, v3
	v_lshrrev_b32_e32 v4, 16, v2
	v_bitop3_b16 v2, v2, v3, s26 bitop3:0xec
	v_add_u16_e32 v8, 0xe000, v2
	v_lshlrev_b16_e32 v2, 8, v4
	v_add_u16_e32 v9, 0xe000, v2
	v_lshl_add_u64 v[2:3], v[88:89], 0, s[18:19]
	global_load_dword v10, v[2:3], off
	v_lshl_add_u64 v[2:3], v[86:87], 0, s[18:19]
	global_load_dword v13, v[2:3], off
	v_lshrrev_b16_e32 v9, 8, v9
	v_bitop3_b16 v2, v4, v9, s26 bitop3:0xec
	v_add_u16_sdwa v2, v2, s25 dst_sel:WORD_1 dst_unused:UNUSED_PAD src0_sel:DWORD src1_sel:DWORD
	s_waitcnt vmcnt(4)
	v_ashrrev_i32_e32 v4, v144, v6
	v_or_b32_e32 v2, v8, v2
	ds_write2_b32 v32, v7, v2 offset1:16
	v_and_b32_e32 v2, 0xf0f0f0f, v5
	v_lshrrev_b32_e32 v3, 4, v5
	v_lshlrev_b32_e32 v5, 4, v4
	v_and_or_b32 v2, v5, s6, v2
	v_lshlrev_b16_e32 v6, 8, v2
	v_add_u16_e32 v6, 0xe000, v6
	v_lshrrev_b32_e32 v5, 16, v2
	v_lshrrev_b16_e32 v6, 8, v6
	v_bitop3_b16 v2, v2, v6, s26 bitop3:0xec
	v_lshlrev_b16_e32 v6, 8, v5
	v_add_u16_e32 v6, 0xe000, v6
	v_lshrrev_b16_e32 v6, 8, v6
	v_bitop3_b16 v5, v5, v6, s26 bitop3:0xec
	v_and_b32_e32 v3, 0xf0f0f0f, v3
	v_add_u16_e32 v2, 0xe000, v2
	v_add_u16_sdwa v5, v5, s25 dst_sel:WORD_1 dst_unused:UNUSED_PAD src0_sel:DWORD src1_sel:DWORD
	s_nop 0
	v_or_b32_e32 v5, v2, v5
	v_and_or_b32 v2, v4, s6, v3
	v_lshlrev_b16_e32 v3, 8, v2
	v_add_u16_e32 v3, 0xe000, v3
	v_lshrrev_b16_e32 v3, 8, v3
	v_lshrrev_b32_e32 v4, 16, v2
	v_bitop3_b16 v2, v2, v3, s26 bitop3:0xec
	v_add_u16_e32 v6, 0xe000, v2
	v_lshlrev_b16_e32 v2, 8, v4
	v_add_u16_e32 v7, 0xe000, v2
	v_lshl_add_u64 v[2:3], v[92:93], 0, s[18:19]
	global_load_dword v8, v[2:3], off
	v_lshl_add_u64 v[2:3], v[90:91], 0, s[18:19]
	global_load_dword v9, v[2:3], off
	v_lshrrev_b16_e32 v7, 8, v7
	v_bitop3_b16 v2, v4, v7, s26 bitop3:0xec
	v_add_u16_sdwa v2, v2, s25 dst_sel:WORD_1 dst_unused:UNUSED_PAD src0_sel:DWORD src1_sel:DWORD
	s_waitcnt vmcnt(5)
	v_lshrrev_b32_e32 v3, 4, v11
	v_or_b32_e32 v2, v6, v2
	ds_write2_b32 v34, v5, v2 offset1:16
	s_waitcnt vmcnt(4)
	v_ashrrev_i32_e32 v4, v144, v12
	v_and_b32_e32 v2, 0xf0f0f0f, v11
	v_lshlrev_b32_e32 v5, 4, v4
	v_and_or_b32 v2, v5, s6, v2
	v_lshlrev_b16_e32 v6, 8, v2
	v_add_u16_e32 v6, 0xe000, v6
	v_lshrrev_b32_e32 v5, 16, v2
	v_lshrrev_b16_e32 v6, 8, v6
	v_bitop3_b16 v2, v2, v6, s26 bitop3:0xec
	v_lshlrev_b16_e32 v6, 8, v5
	v_add_u16_e32 v6, 0xe000, v6
	v_lshrrev_b16_e32 v6, 8, v6
	v_bitop3_b16 v5, v5, v6, s26 bitop3:0xec
	v_and_b32_e32 v3, 0xf0f0f0f, v3
	v_add_u16_e32 v2, 0xe000, v2
	v_add_u16_sdwa v5, v5, s25 dst_sel:WORD_1 dst_unused:UNUSED_PAD src0_sel:DWORD src1_sel:DWORD
	s_nop 0
	v_or_b32_e32 v5, v2, v5
	v_and_or_b32 v2, v4, s6, v3
	v_lshlrev_b16_e32 v3, 8, v2
	v_add_u16_e32 v3, 0xe000, v3
	v_lshrrev_b16_e32 v3, 8, v3
	v_lshrrev_b32_e32 v4, 16, v2
	v_bitop3_b16 v2, v2, v3, s26 bitop3:0xec
	v_add_u16_e32 v6, 0xe000, v2
	v_lshlrev_b16_e32 v2, 8, v4
	v_add_u16_e32 v7, 0xe000, v2
	v_lshl_add_u64 v[2:3], v[96:97], 0, s[18:19]
	global_load_dword v11, v[2:3], off
	v_lshl_add_u64 v[2:3], v[94:95], 0, s[18:19]
	v_lshrrev_b16_e32 v7, 8, v7
	global_load_dword v12, v[2:3], off
	v_bitop3_b16 v2, v4, v7, s26 bitop3:0xec
	v_add_u16_sdwa v2, v2, s25 dst_sel:WORD_1 dst_unused:UNUSED_PAD src0_sel:DWORD src1_sel:DWORD
	s_waitcnt vmcnt(5)
	v_lshrrev_b32_e32 v3, 4, v10
	v_or_b32_e32 v2, v6, v2
	s_waitcnt vmcnt(4)
	v_ashrrev_i32_e32 v4, v144, v13
	ds_write2_b32 v36, v5, v2 offset1:16
	v_and_b32_e32 v2, 0xf0f0f0f, v10
	v_lshlrev_b32_e32 v5, 4, v4
	v_and_or_b32 v2, v5, s6, v2
	v_lshlrev_b16_e32 v6, 8, v2
	v_add_u16_e32 v6, 0xe000, v6
	v_lshrrev_b32_e32 v5, 16, v2
	v_lshrrev_b16_e32 v6, 8, v6
	v_bitop3_b16 v2, v2, v6, s26 bitop3:0xec
	v_lshlrev_b16_e32 v6, 8, v5
	v_add_u16_e32 v6, 0xe000, v6
	v_lshrrev_b16_e32 v6, 8, v6
	v_bitop3_b16 v5, v5, v6, s26 bitop3:0xec
	v_and_b32_e32 v3, 0xf0f0f0f, v3
	v_add_u16_e32 v2, 0xe000, v2
	v_add_u16_sdwa v5, v5, s25 dst_sel:WORD_1 dst_unused:UNUSED_PAD src0_sel:DWORD src1_sel:DWORD
	s_nop 0
	v_or_b32_e32 v5, v2, v5
	v_and_or_b32 v2, v4, s6, v3
	v_lshlrev_b16_e32 v3, 8, v2
	v_add_u16_e32 v3, 0xe000, v3
	v_lshrrev_b16_e32 v3, 8, v3
	v_lshrrev_b32_e32 v4, 16, v2
	v_bitop3_b16 v2, v2, v3, s26 bitop3:0xec
	v_add_u16_e32 v6, 0xe000, v2
	v_lshlrev_b16_e32 v2, 8, v4
	v_add_u16_e32 v7, 0xe000, v2
	v_lshl_add_u64 v[2:3], v[100:101], 0, s[18:19]
	global_load_dword v10, v[2:3], off
	v_lshl_add_u64 v[2:3], v[98:99], 0, s[18:19]
	global_load_dword v13, v[2:3], off
	v_lshrrev_b16_e32 v7, 8, v7
	v_bitop3_b16 v2, v4, v7, s26 bitop3:0xec
	v_add_u16_sdwa v2, v2, s25 dst_sel:WORD_1 dst_unused:UNUSED_PAD src0_sel:DWORD src1_sel:DWORD
	s_waitcnt vmcnt(5)
	v_lshrrev_b32_e32 v3, 4, v8
	v_or_b32_e32 v2, v6, v2
	s_waitcnt vmcnt(4)
	v_ashrrev_i32_e32 v4, v144, v9
	ds_write2_b32 v38, v5, v2 offset1:16
	v_and_b32_e32 v2, 0xf0f0f0f, v8
	v_lshlrev_b32_e32 v5, 4, v4
	v_and_or_b32 v2, v5, s6, v2
	v_lshlrev_b16_e32 v6, 8, v2
	v_add_u16_e32 v6, 0xe000, v6
	v_lshrrev_b32_e32 v5, 16, v2
	v_lshrrev_b16_e32 v6, 8, v6
	v_bitop3_b16 v2, v2, v6, s26 bitop3:0xec
	v_lshlrev_b16_e32 v6, 8, v5
	v_add_u16_e32 v6, 0xe000, v6
	v_lshrrev_b16_e32 v6, 8, v6
	v_bitop3_b16 v5, v5, v6, s26 bitop3:0xec
	v_and_b32_e32 v3, 0xf0f0f0f, v3
	v_add_u16_e32 v2, 0xe000, v2
	v_add_u16_sdwa v5, v5, s25 dst_sel:WORD_1 dst_unused:UNUSED_PAD src0_sel:DWORD src1_sel:DWORD
	s_nop 0
	v_or_b32_e32 v5, v2, v5
	v_and_or_b32 v2, v4, s6, v3
	v_lshlrev_b16_e32 v3, 8, v2
	v_add_u16_e32 v3, 0xe000, v3
	v_lshrrev_b16_e32 v3, 8, v3
	v_lshrrev_b32_e32 v4, 16, v2
	v_bitop3_b16 v2, v2, v3, s26 bitop3:0xec
	v_add_u16_e32 v6, 0xe000, v2
	v_lshlrev_b16_e32 v2, 8, v4
	v_add_u16_e32 v7, 0xe000, v2
	v_lshl_add_u64 v[2:3], v[106:107], 0, s[18:19]
	global_load_dword v8, v[2:3], off
	v_lshl_add_u64 v[2:3], v[104:105], 0, s[18:19]
	global_load_dword v9, v[2:3], off
	v_lshrrev_b16_e32 v7, 8, v7
	v_bitop3_b16 v2, v4, v7, s26 bitop3:0xec
	v_add_u16_sdwa v2, v2, s25 dst_sel:WORD_1 dst_unused:UNUSED_PAD src0_sel:DWORD src1_sel:DWORD
	s_waitcnt vmcnt(5)
	v_lshrrev_b32_e32 v3, 4, v11
	v_or_b32_e32 v2, v6, v2
	ds_write2_b32 v40, v5, v2 offset1:16
	s_waitcnt vmcnt(4)
	v_ashrrev_i32_e32 v4, v144, v12
	v_and_b32_e32 v2, 0xf0f0f0f, v11
	v_lshlrev_b32_e32 v5, 4, v4
	v_and_or_b32 v2, v5, s6, v2
	v_lshlrev_b16_e32 v6, 8, v2
	v_add_u16_e32 v6, 0xe000, v6
	v_lshrrev_b32_e32 v5, 16, v2
	v_lshrrev_b16_e32 v6, 8, v6
	v_bitop3_b16 v2, v2, v6, s26 bitop3:0xec
	v_lshlrev_b16_e32 v6, 8, v5
	v_add_u16_e32 v6, 0xe000, v6
	v_lshrrev_b16_e32 v6, 8, v6
	v_bitop3_b16 v5, v5, v6, s26 bitop3:0xec
	v_and_b32_e32 v3, 0xf0f0f0f, v3
	v_add_u16_e32 v2, 0xe000, v2
	v_add_u16_sdwa v5, v5, s25 dst_sel:WORD_1 dst_unused:UNUSED_PAD src0_sel:DWORD src1_sel:DWORD
	s_nop 0
	v_or_b32_e32 v5, v2, v5
	v_and_or_b32 v2, v4, s6, v3
	v_lshlrev_b16_e32 v3, 8, v2
	v_add_u16_e32 v3, 0xe000, v3
	v_lshrrev_b16_e32 v3, 8, v3
	v_lshrrev_b32_e32 v4, 16, v2
	v_bitop3_b16 v2, v2, v3, s26 bitop3:0xec
	v_add_u16_e32 v6, 0xe000, v2
	v_lshlrev_b16_e32 v2, 8, v4
	v_add_u16_e32 v7, 0xe000, v2
	v_lshl_add_u64 v[2:3], v[110:111], 0, s[18:19]
	global_load_dword v11, v[2:3], off
	v_lshl_add_u64 v[2:3], v[108:109], 0, s[18:19]
	v_lshrrev_b16_e32 v7, 8, v7
	global_load_dword v12, v[2:3], off
	v_bitop3_b16 v2, v4, v7, s26 bitop3:0xec
	v_add_u16_sdwa v2, v2, s25 dst_sel:WORD_1 dst_unused:UNUSED_PAD src0_sel:DWORD src1_sel:DWORD
	s_waitcnt vmcnt(5)
	v_lshrrev_b32_e32 v3, 4, v10
	v_or_b32_e32 v2, v6, v2
	s_waitcnt vmcnt(4)
	v_ashrrev_i32_e32 v4, v144, v13
	ds_write2_b32 v42, v5, v2 offset1:16
	v_and_b32_e32 v2, 0xf0f0f0f, v10
	v_lshlrev_b32_e32 v5, 4, v4
	v_and_or_b32 v2, v5, s6, v2
	v_lshlrev_b16_e32 v6, 8, v2
	v_add_u16_e32 v6, 0xe000, v6
	v_lshrrev_b32_e32 v5, 16, v2
	v_lshrrev_b16_e32 v6, 8, v6
	v_bitop3_b16 v2, v2, v6, s26 bitop3:0xec
	v_lshlrev_b16_e32 v6, 8, v5
	v_add_u16_e32 v6, 0xe000, v6
	v_lshrrev_b16_e32 v6, 8, v6
	v_bitop3_b16 v5, v5, v6, s26 bitop3:0xec
	v_and_b32_e32 v3, 0xf0f0f0f, v3
	v_add_u16_e32 v2, 0xe000, v2
	v_add_u16_sdwa v5, v5, s25 dst_sel:WORD_1 dst_unused:UNUSED_PAD src0_sel:DWORD src1_sel:DWORD
	s_nop 0
	v_or_b32_e32 v5, v2, v5
	v_and_or_b32 v2, v4, s6, v3
	v_lshlrev_b16_e32 v3, 8, v2
	v_add_u16_e32 v3, 0xe000, v3
	v_lshrrev_b16_e32 v3, 8, v3
	v_lshrrev_b32_e32 v4, 16, v2
	v_bitop3_b16 v2, v2, v3, s26 bitop3:0xec
	v_add_u16_e32 v6, 0xe000, v2
	v_lshlrev_b16_e32 v2, 8, v4
	v_add_u16_e32 v7, 0xe000, v2
	v_lshl_add_u64 v[2:3], v[114:115], 0, s[18:19]
	global_load_dword v10, v[2:3], off
	v_lshl_add_u64 v[2:3], v[112:113], 0, s[18:19]
	global_load_dword v13, v[2:3], off
	v_lshrrev_b16_e32 v7, 8, v7
	v_bitop3_b16 v2, v4, v7, s26 bitop3:0xec
	v_add_u16_sdwa v2, v2, s25 dst_sel:WORD_1 dst_unused:UNUSED_PAD src0_sel:DWORD src1_sel:DWORD
	s_waitcnt vmcnt(5)
	v_lshrrev_b32_e32 v3, 4, v8
	v_or_b32_e32 v2, v6, v2
	s_waitcnt vmcnt(4)
	v_ashrrev_i32_e32 v4, v144, v9
	ds_write2_b32 v44, v5, v2 offset1:16
	v_and_b32_e32 v2, 0xf0f0f0f, v8
	v_lshlrev_b32_e32 v5, 4, v4
	v_and_or_b32 v2, v5, s6, v2
	v_lshlrev_b16_e32 v6, 8, v2
	v_add_u16_e32 v6, 0xe000, v6
	v_lshrrev_b32_e32 v5, 16, v2
	v_lshrrev_b16_e32 v6, 8, v6
	v_bitop3_b16 v2, v2, v6, s26 bitop3:0xec
	v_lshlrev_b16_e32 v6, 8, v5
	v_add_u16_e32 v6, 0xe000, v6
	v_lshrrev_b16_e32 v6, 8, v6
	v_bitop3_b16 v5, v5, v6, s26 bitop3:0xec
	v_and_b32_e32 v3, 0xf0f0f0f, v3
	v_add_u16_e32 v2, 0xe000, v2
	v_add_u16_sdwa v5, v5, s25 dst_sel:WORD_1 dst_unused:UNUSED_PAD src0_sel:DWORD src1_sel:DWORD
	s_nop 0
	v_or_b32_e32 v5, v2, v5
	v_and_or_b32 v2, v4, s6, v3
	v_lshlrev_b16_e32 v3, 8, v2
	v_add_u16_e32 v3, 0xe000, v3
	v_lshrrev_b16_e32 v3, 8, v3
	v_lshrrev_b32_e32 v4, 16, v2
	v_bitop3_b16 v2, v2, v3, s26 bitop3:0xec
	v_add_u16_e32 v6, 0xe000, v2
	v_lshlrev_b16_e32 v2, 8, v4
	v_add_u16_e32 v7, 0xe000, v2
	v_lshl_add_u64 v[2:3], v[118:119], 0, s[18:19]
	global_load_dword v8, v[2:3], off
	v_lshl_add_u64 v[2:3], v[116:117], 0, s[18:19]
	global_load_dword v9, v[2:3], off
	v_lshrrev_b16_e32 v7, 8, v7
	v_bitop3_b16 v2, v4, v7, s26 bitop3:0xec
	v_add_u16_sdwa v2, v2, s25 dst_sel:WORD_1 dst_unused:UNUSED_PAD src0_sel:DWORD src1_sel:DWORD
	s_waitcnt vmcnt(5)
	v_lshrrev_b32_e32 v3, 4, v11
	v_or_b32_e32 v2, v6, v2
	ds_write2_b32 v46, v5, v2 offset1:16
	s_waitcnt vmcnt(4)
	v_ashrrev_i32_e32 v4, v144, v12
	v_and_b32_e32 v2, 0xf0f0f0f, v11
	v_lshlrev_b32_e32 v5, 4, v4
	v_and_or_b32 v2, v5, s6, v2
	v_lshlrev_b16_e32 v6, 8, v2
	v_add_u16_e32 v6, 0xe000, v6
	v_lshrrev_b32_e32 v5, 16, v2
	v_lshrrev_b16_e32 v6, 8, v6
	v_bitop3_b16 v2, v2, v6, s26 bitop3:0xec
	v_lshlrev_b16_e32 v6, 8, v5
	v_add_u16_e32 v6, 0xe000, v6
	v_lshrrev_b16_e32 v6, 8, v6
	v_bitop3_b16 v5, v5, v6, s26 bitop3:0xec
	v_and_b32_e32 v3, 0xf0f0f0f, v3
	v_add_u16_e32 v2, 0xe000, v2
	v_add_u16_sdwa v5, v5, s25 dst_sel:WORD_1 dst_unused:UNUSED_PAD src0_sel:DWORD src1_sel:DWORD
	s_nop 0
	v_or_b32_e32 v5, v2, v5
	v_and_or_b32 v2, v4, s6, v3
	v_lshlrev_b16_e32 v4, 8, v2
	v_add_u16_e32 v4, 0xe000, v4
	v_lshrrev_b16_e32 v4, 8, v4
	v_lshrrev_b32_e32 v3, 16, v2
	v_bitop3_b16 v2, v2, v4, s26 bitop3:0xec
	v_add_u16_e32 v4, 0xe000, v2
	v_lshlrev_b16_e32 v2, 8, v3
	v_add_u16_e32 v2, 0xe000, v2
	v_lshrrev_b16_e32 v2, 8, v2
	v_bitop3_b16 v6, v3, v2, s26 bitop3:0xec
	v_lshl_add_u64 v[2:3], v[122:123], 0, s[18:19]
	global_load_dword v7, v[2:3], off
	v_lshl_add_u64 v[2:3], v[120:121], 0, s[18:19]
	v_add_u16_sdwa v6, v6, s25 dst_sel:WORD_1 dst_unused:UNUSED_PAD src0_sel:DWORD src1_sel:DWORD
	global_load_dword v11, v[2:3], off
	v_or_b32_e32 v2, v4, v6
	ds_write2_b32 v48, v5, v2 offset1:16
	s_waitcnt vmcnt(4)
	v_ashrrev_i32_e32 v4, v144, v13
	v_and_b32_e32 v2, 0xf0f0f0f, v10
	v_lshlrev_b32_e32 v5, 4, v4
	v_and_or_b32 v2, v5, s6, v2
	v_lshlrev_b16_e32 v6, 8, v2
	v_add_u16_e32 v6, 0xe000, v6
	v_lshrrev_b32_e32 v5, 16, v2
	v_lshrrev_b16_e32 v6, 8, v6
	v_bitop3_b16 v2, v2, v6, s26 bitop3:0xec
	v_lshlrev_b16_e32 v6, 8, v5
	v_add_u16_e32 v6, 0xe000, v6
	v_lshrrev_b16_e32 v6, 8, v6
	v_lshrrev_b32_e32 v3, 4, v10
	v_bitop3_b16 v5, v5, v6, s26 bitop3:0xec
	v_and_b32_e32 v3, 0xf0f0f0f, v3
	v_add_u16_e32 v2, 0xe000, v2
	v_add_u16_sdwa v5, v5, s25 dst_sel:WORD_1 dst_unused:UNUSED_PAD src0_sel:DWORD src1_sel:DWORD
	s_nop 0
	v_or_b32_e32 v5, v2, v5
	v_and_or_b32 v2, v4, s6, v3
	v_lshlrev_b16_e32 v3, 8, v2
	v_add_u16_e32 v3, 0xe000, v3
	v_lshrrev_b16_e32 v3, 8, v3
	v_lshrrev_b32_e32 v4, 16, v2
	v_bitop3_b16 v2, v2, v3, s26 bitop3:0xec
	v_add_u16_e32 v6, 0xe000, v2
	v_lshl_add_u64 v[2:3], v[126:127], 0, s[18:19]
	global_load_dword v10, v[2:3], off
	v_lshlrev_b16_e32 v12, 8, v4
	v_lshl_add_u64 v[2:3], v[124:125], 0, s[18:19]
	global_load_dword v13, v[2:3], off
	v_add_u16_e32 v2, 0xe000, v12
	v_lshrrev_b16_e32 v2, 8, v2
	v_bitop3_b16 v2, v4, v2, s26 bitop3:0xec
	v_add_u16_sdwa v2, v2, s25 dst_sel:WORD_1 dst_unused:UNUSED_PAD src0_sel:DWORD src1_sel:DWORD
	s_waitcnt vmcnt(5)
	v_lshrrev_b32_e32 v3, 4, v8
	v_or_b32_e32 v2, v6, v2
	ds_write2_b32 v50, v5, v2 offset1:16
	s_waitcnt vmcnt(4)
	v_ashrrev_i32_e32 v5, v144, v9
	v_and_b32_e32 v2, 0xf0f0f0f, v8
	v_and_b32_e32 v4, 0xf0f0f0f, v3
	v_lshlrev_b32_e32 v3, 4, v5
	v_and_or_b32 v2, v3, s6, v2
	v_lshlrev_b16_e32 v6, 8, v2
	v_add_u16_e32 v6, 0xe000, v6
	v_lshrrev_b32_e32 v3, 16, v2
	v_lshrrev_b16_e32 v6, 8, v6
	v_bitop3_b16 v2, v2, v6, s26 bitop3:0xec
	v_lshlrev_b16_e32 v6, 8, v3
	v_add_u16_e32 v6, 0xe000, v6
	v_lshrrev_b16_e32 v6, 8, v6
	v_bitop3_b16 v3, v3, v6, s26 bitop3:0xec
	v_add_u16_e32 v2, 0xe000, v2
	v_add_u16_sdwa v3, v3, s25 dst_sel:WORD_1 dst_unused:UNUSED_PAD src0_sel:DWORD src1_sel:DWORD
	v_and_or_b32 v4, v5, s6, v4
	v_or_b32_e32 v6, v2, v3
	v_lshl_add_u64 v[2:3], v[128:129], 0, s[18:19]
	global_load_ushort v8, v[2:3], off
	v_lshl_add_u64 v[2:3], v[130:131], 0, s[18:19]
	global_load_dword v12, v[2:3], off
	v_lshl_add_u64 v[2:3], v[132:133], 0, s[18:19]
	global_load_dword v2, v[2:3], off
	v_lshlrev_b16_e32 v9, 8, v4
	v_add_u16_e32 v9, 0xe000, v9
	v_lshrrev_b32_e32 v5, 16, v4
	v_lshrrev_b16_e32 v3, 8, v9
	v_bitop3_b16 v3, v4, v3, s26 bitop3:0xec
	v_lshlrev_b16_e32 v4, 8, v5
	v_add_u16_e32 v4, 0xe000, v4
	v_lshrrev_b16_e32 v4, 8, v4
	v_bitop3_b16 v4, v5, v4, s26 bitop3:0xec
	v_add_u16_e32 v3, 0xe000, v3
	v_add_u16_sdwa v4, v4, s25 dst_sel:WORD_1 dst_unused:UNUSED_PAD src0_sel:DWORD src1_sel:DWORD
	s_waitcnt vmcnt(5)
	v_ashrrev_i32_e32 v5, v144, v11
	v_or_b32_e32 v3, v3, v4
	ds_write2_b32 v52, v6, v3 offset1:16
	v_and_b32_e32 v3, 0xf0f0f0f, v7
	v_lshlrev_b32_e32 v6, 4, v5
	v_and_or_b32 v3, v6, s6, v3
	v_lshrrev_b32_e32 v4, 4, v7
	v_lshlrev_b16_e32 v7, 8, v3
	v_add_u16_e32 v7, 0xe000, v7
	v_lshrrev_b32_e32 v6, 16, v3
	v_lshrrev_b16_e32 v7, 8, v7
	v_bitop3_b16 v3, v3, v7, s26 bitop3:0xec
	v_lshlrev_b16_e32 v7, 8, v6
	v_add_u16_e32 v7, 0xe000, v7
	v_lshrrev_b16_e32 v7, 8, v7
	v_and_b32_e32 v4, 0xf0f0f0f, v4
	v_bitop3_b16 v6, v6, v7, s26 bitop3:0xec
	v_add_u16_e32 v3, 0xe000, v3
	v_add_u16_sdwa v6, v6, s25 dst_sel:WORD_1 dst_unused:UNUSED_PAD src0_sel:DWORD src1_sel:DWORD
	v_and_or_b32 v4, v5, s6, v4
	v_or_b32_e32 v3, v3, v6
	v_lshlrev_b16_e32 v6, 8, v4
	v_add_u16_e32 v6, 0xe000, v6
	v_lshrrev_b32_e32 v5, 16, v4
	v_lshrrev_b16_e32 v6, 8, v6
	v_bitop3_b16 v4, v4, v6, s26 bitop3:0xec
	v_lshlrev_b16_e32 v6, 8, v5
	v_add_u16_e32 v6, 0xe000, v6
	v_lshrrev_b16_e32 v6, 8, v6
	v_bitop3_b16 v5, v5, v6, s26 bitop3:0xec
	v_add_u16_e32 v4, 0xe000, v4
	v_add_u16_sdwa v5, v5, s25 dst_sel:WORD_1 dst_unused:UNUSED_PAD src0_sel:DWORD src1_sel:DWORD
	s_nop 0
	v_or_b32_e32 v4, v4, v5
	s_waitcnt vmcnt(3)
	v_ashrrev_i32_e32 v5, v144, v13
	ds_write2_b32 v54, v3, v4 offset1:16
	v_and_b32_e32 v3, 0xf0f0f0f, v10
	v_lshlrev_b32_e32 v6, 4, v5
	v_and_or_b32 v3, v6, s6, v3
	v_lshlrev_b16_e32 v7, 8, v3
	v_add_u16_e32 v7, 0xe000, v7
	v_lshrrev_b32_e32 v6, 16, v3
	v_lshrrev_b16_e32 v7, 8, v7
	v_bitop3_b16 v3, v3, v7, s26 bitop3:0xec
	v_lshlrev_b16_e32 v7, 8, v6
	v_add_u16_e32 v7, 0xe000, v7
	v_lshrrev_b32_e32 v4, 4, v10
	v_lshrrev_b16_e32 v7, 8, v7
	v_and_b32_e32 v4, 0xf0f0f0f, v4
	v_bitop3_b16 v6, v6, v7, s26 bitop3:0xec
	v_add_u16_e32 v3, 0xe000, v3
	v_add_u16_sdwa v6, v6, s25 dst_sel:WORD_1 dst_unused:UNUSED_PAD src0_sel:DWORD src1_sel:DWORD
	v_and_or_b32 v4, v5, s6, v4
	v_or_b32_e32 v3, v3, v6
	v_lshlrev_b16_e32 v6, 8, v4
	v_add_u16_e32 v6, 0xe000, v6
	v_lshrrev_b32_e32 v5, 16, v4
	v_lshrrev_b16_e32 v6, 8, v6
	v_bitop3_b16 v4, v4, v6, s26 bitop3:0xec
	v_lshlrev_b16_e32 v6, 8, v5
	v_add_u16_e32 v6, 0xe000, v6
	v_lshrrev_b16_e32 v6, 8, v6
	v_bitop3_b16 v5, v5, v6, s26 bitop3:0xec
	s_waitcnt vmcnt(2)
	v_cvt_f32_f16_e32 v6, v8
	v_add_u16_e32 v4, 0xe000, v4
	v_add_u16_sdwa v5, v5, s25 dst_sel:WORD_1 dst_unused:UNUSED_PAD src0_sel:DWORD src1_sel:DWORD
	s_nop 0
	v_or_b32_e32 v4, v4, v5
	ds_write2_b32 v56, v3, v4 offset1:16
	ds_write_b32 v27, v6
	s_waitcnt vmcnt(1)
	ds_write_b32 v55, v12
	s_waitcnt vmcnt(0)
	ds_write_b32 v57, v2
	s_cbranch_scc0 .LBB216_5
; %bb.7:                                ;   in Loop: Header=BB216_6 Depth=1
	v_cmp_gt_i32_e64 s[2:3], s8, v35
	s_and_b64 s[22:23], s[0:1], s[2:3]
	s_and_saveexec_b64 s[2:3], s[22:23]
	s_cbranch_execz .LBB216_9
; %bb.8:                                ;   in Loop: Header=BB216_6 Depth=1
	v_add_u32_e32 v2, v60, v35
	v_mad_i64_i32 v[2:3], s[22:23], v2, 36, v[58:59]
	global_load_dword v2, v[2:3], off offset:4
	s_waitcnt vmcnt(0)
	ds_write_b32 v137, v2
.LBB216_9:                              ;   in Loop: Header=BB216_6 Depth=1
	s_or_b64 exec, exec, s[2:3]
	v_cmp_gt_i32_e64 s[2:3], s8, v24
	s_and_b64 s[22:23], s[20:21], s[2:3]
	s_and_saveexec_b64 s[2:3], s[22:23]
	s_cbranch_execz .LBB216_11
; %bb.10:                               ;   in Loop: Header=BB216_6 Depth=1
	v_add_u32_e32 v2, v60, v24
	v_mad_i64_i32 v[2:3], s[22:23], v2, 36, s[14:15]
	global_load_dword v2, v[2:3], off
	v_add_u32_e32 v3, v29, v33
	s_waitcnt vmcnt(0)
	v_cvt_f32_f16_e32 v2, v2
	ds_write_b32 v3, v2
.LBB216_11:                             ;   in Loop: Header=BB216_6 Depth=1
	s_or_b64 exec, exec, s[2:3]
	s_waitcnt lgkmcnt(0)
	s_barrier
	ds_read_b128 v[2:5], v31
	ds_read_b128 v[6:9], v31 offset:16
	ds_read_b128 v[10:13], v31 offset:32
	;; [unrolled: 1-line block ×3, first 2 shown]
	ds_read2_b32 v[18:19], v145 offset0:12 offset1:13
	ds_read2_b32 v[20:21], v145 offset0:6 offset1:7
	;; [unrolled: 1-line block ×4, first 2 shown]
	ds_read2_b32 v[140:141], v145 offset1:1
	ds_read2_b32 v[142:143], v145 offset0:14 offset1:15
	ds_read2_b32 v[146:147], v145 offset0:10 offset1:11
	v_mov_b32_e32 v155, 0
	v_mov_b32_e32 v156, 0
	;; [unrolled: 1-line block ×3, first 2 shown]
	s_waitcnt lgkmcnt(4)
	v_dot4c_i32_i8_e32 v155, v134, v6
	s_waitcnt lgkmcnt(2)
	v_dot4c_i32_i8_e32 v156, v140, v2
	v_dot4c_i32_i8_e32 v25, v18, v14
	ds_read2_b32 v[148:149], v145 offset0:8 offset1:9
	v_dot4c_i32_i8_e32 v155, v135, v7
	v_dot4c_i32_i8_e32 v156, v141, v3
	;; [unrolled: 1-line block ×5, first 2 shown]
	v_add_u32_e32 v18, 0x2098, v145
	v_add_u32_e32 v20, 0x2090, v145
	v_add_u32_e32 v134, 0x2088, v145
	v_add_u32_e32 v136, 0x2080, v145
	v_add_u32_e32 v140, 0x20b8, v145
	s_waitcnt lgkmcnt(2)
	v_dot4c_i32_i8_e32 v25, v142, v16
	v_dot4c_i32_i8_e32 v155, v21, v9
	v_dot4c_i32_i8_e32 v156, v139, v5
	ds_read2_b32 v[18:19], v18 offset1:1
	ds_read2_b32 v[20:21], v20 offset1:1
	;; [unrolled: 1-line block ×5, first 2 shown]
	v_add_u32_e32 v136, 0x20b0, v145
	v_dot4c_i32_i8_e32 v25, v143, v17
	ds_read2_b32 v[142:143], v136 offset1:1
	v_mov_b32_e32 v154, 0
	s_waitcnt lgkmcnt(6)
	v_dot4c_i32_i8_e32 v154, v148, v10
	v_dot4c_i32_i8_e32 v154, v149, v11
	;; [unrolled: 1-line block ×3, first 2 shown]
	v_mov_b32_e32 v157, 0
	v_add_u32_e32 v136, 0x20a8, v145
	v_add_u32_e32 v148, 0x20a0, v145
	;; [unrolled: 1-line block ×3, first 2 shown]
	v_mov_b32_e32 v159, 0
	v_mov_b32_e32 v160, 0
	v_dot4c_i32_i8_e32 v154, v147, v13
	ds_read2_b32 v[146:147], v136 offset1:1
	ds_read2_b32 v[148:149], v148 offset1:1
	;; [unrolled: 1-line block ×3, first 2 shown]
	s_waitcnt lgkmcnt(3)
	v_dot4c_i32_i8_e32 v157, v142, v14
	v_dot4c_i32_i8_e32 v159, v20, v6
	;; [unrolled: 1-line block ×9, first 2 shown]
	v_add_u32_e32 v18, 0x4110, v145
	v_add_u32_e32 v20, 0x4108, v145
	;; [unrolled: 1-line block ×4, first 2 shown]
	v_dot4c_i32_i8_e32 v157, v141, v17
	v_mov_b32_e32 v158, 0
	ds_read_b32 v136, v53 offset:384
	v_dot4c_i32_i8_e32 v159, v19, v9
	v_dot4c_i32_i8_e32 v160, v135, v5
	ds_read_b32 v135, v49 offset:256
	ds_read2_b32 v[18:19], v18 offset1:1
	ds_read2_b32 v[20:21], v20 offset1:1
	ds_read2_b32 v[138:139], v134 offset1:1
	ds_read2_b32 v[140:141], v140 offset1:1
	v_add_u32_e32 v134, 0x4130, v145
	s_waitcnt lgkmcnt(7)
	v_dot4c_i32_i8_e32 v158, v148, v10
	ds_read2_b32 v[142:143], v134 offset1:1
	v_dot4c_i32_i8_e32 v158, v149, v11
	v_dot4c_i32_i8_e32 v158, v146, v12
	v_add_u32_e32 v134, 0x4128, v145
	v_add_u32_e32 v148, 0x4120, v145
	;; [unrolled: 1-line block ×3, first 2 shown]
	v_dot4c_i32_i8_e32 v158, v147, v13
	ds_read2_b32 v[146:147], v134 offset1:1
	ds_read2_b32 v[148:149], v148 offset1:1
	;; [unrolled: 1-line block ×3, first 2 shown]
	v_mov_b32_e32 v161, 0
	v_mov_b32_e32 v164, 0
	s_waitcnt lgkmcnt(3)
	v_dot4c_i32_i8_e32 v161, v142, v14
	v_dot4c_i32_i8_e32 v164, v138, v2
	;; [unrolled: 1-line block ×3, first 2 shown]
	v_mov_b32_e32 v162, 0
	v_mov_b32_e32 v163, 0
	v_dot4c_i32_i8_e32 v164, v139, v3
	v_dot4c_i32_i8_e32 v161, v140, v16
	s_waitcnt lgkmcnt(1)
	v_dot4c_i32_i8_e32 v162, v148, v10
	v_dot4c_i32_i8_e32 v163, v18, v6
	v_dot4c_i32_i8_e32 v164, v20, v4
	v_add_u32_e32 v18, 0x6190, v145
	v_add_u32_e32 v20, 0x6188, v145
	;; [unrolled: 1-line block ×4, first 2 shown]
	v_dot4c_i32_i8_e32 v161, v141, v17
	v_dot4c_i32_i8_e32 v162, v149, v11
	;; [unrolled: 1-line block ×4, first 2 shown]
	ds_read2_b32 v[18:19], v18 offset1:1
	ds_read2_b32 v[20:21], v20 offset1:1
	ds_read2_b32 v[138:139], v134 offset1:1
	ds_read2_b32 v[140:141], v140 offset1:1
	v_add_u32_e32 v134, 0x61b0, v145
	v_dot4c_i32_i8_e32 v162, v146, v12
	v_dot4c_i32_i8_e32 v163, v150, v8
	ds_read2_b32 v[142:143], v134 offset1:1
	v_add_u32_e32 v134, 0x61a8, v145
	v_add_u32_e32 v148, 0x61a0, v145
	v_add_u32_e32 v150, 0x61d8, v145
	v_dot4c_i32_i8_e32 v162, v147, v13
	v_dot4c_i32_i8_e32 v163, v151, v9
	ds_read2_b32 v[146:147], v134 offset1:1
	ds_read2_b32 v[148:149], v148 offset1:1
	ds_read2_b32 v[150:151], v150 offset1:1
	v_mov_b32_e32 v170, 0
	v_mov_b32_e32 v171, 0
	;; [unrolled: 1-line block ×4, first 2 shown]
	s_waitcnt lgkmcnt(3)
	v_dot4c_i32_i8_e32 v170, v142, v14
	s_waitcnt lgkmcnt(1)
	v_dot4c_i32_i8_e32 v171, v148, v10
	v_dot4c_i32_i8_e32 v172, v18, v6
	;; [unrolled: 1-line block ×15, first 2 shown]
	ds_read_b128 v[10:13], v31 offset:80
	ds_read_b128 v[6:9], v31 offset:64
	;; [unrolled: 1-line block ×4, first 2 shown]
	ds_read2_b32 v[2:3], v145 offset0:30 offset1:31
	ds_read2_b32 v[4:5], v145 offset0:28 offset1:29
	;; [unrolled: 1-line block ×6, first 2 shown]
	v_mov_b32_e32 v174, 0
	s_waitcnt lgkmcnt(4)
	v_dot4c_i32_i8_e32 v174, v4, v18
	v_dot4c_i32_i8_e32 v174, v5, v19
	;; [unrolled: 1-line block ×3, first 2 shown]
	ds_read2_b32 v[148:149], v145 offset0:26 offset1:27
	v_dot4c_i32_i8_e32 v174, v3, v21
	ds_read_b128 v[2:5], v33 offset:36944
	ds_read2_b32 v[152:153], v37 offset1:1
	v_mov_b32_e32 v175, 0
	s_waitcnt lgkmcnt(5)
	v_dot4c_i32_i8_e32 v175, v140, v10
	v_dot4c_i32_i8_e32 v175, v141, v11
	;; [unrolled: 1-line block ×3, first 2 shown]
	s_waitcnt lgkmcnt(0)
	v_ashrrev_i32_e32 v134, 24, v152
	v_bfe_i32 v138, v152, 8, 8
	v_dot4c_i32_i8_e32 v175, v139, v13
	v_mov_b32_e32 v176, 0
	v_bfe_i32 v140, v152, 16, 8
	v_bfe_i32 v139, v152, 0, 8
	v_mul_lo_u32 v134, v25, v134
	v_mul_lo_u32 v138, v155, v138
	v_dot4c_i32_i8_e32 v176, v146, v6
	v_mad_u64_u32 v[138:139], s[2:3], v156, v139, v[138:139]
	v_mad_u64_u32 v[140:141], s[2:3], v154, v140, v[134:135]
	v_dot4c_i32_i8_e32 v176, v147, v7
	v_cvt_f32_i32_e32 v147, v140
	v_cvt_f32_i32_e32 v146, v138
	ds_read_b32 v25, v39
	ds_read_b32 v134, v45 offset:128
	ds_read2_b32 v[138:139], v47 offset1:1
	ds_read2_b32 v[140:141], v43 offset1:1
	v_dot4c_i32_i8_e32 v176, v142, v8
	v_dot4c_i32_i8_e32 v176, v143, v9
	v_pk_mul_f32 v[142:143], v[2:3], v[146:147]
	s_waitcnt lgkmcnt(1)
	v_bfe_i32 v154, v138, 0, 8
	v_add_f32_e32 v152, 0, v142
	s_waitcnt lgkmcnt(0)
	v_bfe_i32 v146, v140, 8, 8
	v_bfe_i32 v142, v138, 8, 8
	v_mul_lo_u32 v142, v163, v142
	v_mul_lo_u32 v146, v159, v146
	v_bfe_i32 v147, v140, 0, 8
	v_mad_u64_u32 v[146:147], s[2:3], v160, v147, v[146:147]
	v_mad_u64_u32 v[154:155], s[2:3], v164, v154, v[142:143]
	v_cvt_f32_i32_e32 v147, v154
	v_bfe_i32 v142, v138, 16, 8
	v_bfe_i32 v154, v140, 16, 8
	v_ashrrev_i32_e32 v140, 24, v140
	v_ashrrev_i32_e32 v138, 24, v138
	v_mul_lo_u32 v138, v161, v138
	v_mul_lo_u32 v140, v157, v140
	v_cvt_f32_i32_e32 v146, v146
	v_mad_u64_u32 v[154:155], s[2:3], v158, v154, v[140:141]
	v_mad_u64_u32 v[156:157], s[2:3], v162, v142, v[138:139]
	v_cvt_f32_i32_e32 v155, v156
	v_cvt_f32_i32_e32 v154, v154
	v_add_f32_e32 v138, v152, v143
	v_pk_fma_f32 v[142:143], v[2:3], v[146:147], 0 op_sel_hi:[0,1,0]
	v_add_u32_e32 v140, 0x61d0, v145
	v_add_u32_e32 v158, 0x61c0, v145
	;; [unrolled: 1-line block ×3, first 2 shown]
	v_pk_fma_f32 v[142:143], v[2:3], v[154:155], v[142:143] op_sel:[1,0,0]
	ds_read2_b32 v[146:147], v51 offset1:1
	v_add_u32_e32 v152, 0x61c8, v145
	ds_read2_b32 v[154:155], v140 offset1:1
	ds_read2_b32 v[156:157], v152 offset1:1
	;; [unrolled: 1-line block ×4, first 2 shown]
	v_add_u32_e32 v140, 0x61f0, v145
	ds_read2_b32 v[162:163], v140 offset1:1
	v_add_u32_e32 v140, 0x61e8, v145
	v_add_u32_e32 v166, 0x61e0, v145
	;; [unrolled: 1-line block ×3, first 2 shown]
	ds_read2_b32 v[164:165], v140 offset1:1
	ds_read2_b32 v[166:167], v166 offset1:1
	;; [unrolled: 1-line block ×3, first 2 shown]
	v_mov_b32_e32 v140, 0
	s_waitcnt lgkmcnt(7)
	v_dot4c_i32_i8_e32 v140, v154, v10
	v_mov_b32_e32 v154, 0
	v_dot4c_i32_i8_e32 v140, v155, v11
	s_waitcnt lgkmcnt(5)
	v_dot4c_i32_i8_e32 v154, v158, v6
	v_dot4c_i32_i8_e32 v140, v150, v12
	v_dot4c_i32_i8_e32 v154, v159, v7
	v_mov_b32_e32 v152, 0
	v_dot4c_i32_i8_e32 v140, v151, v13
	v_bfe_i32 v150, v146, 8, 8
	v_bfe_i32 v151, v147, 8, 8
	v_dot4c_i32_i8_e32 v154, v156, v8
	s_waitcnt lgkmcnt(3)
	v_dot4c_i32_i8_e32 v152, v162, v18
	v_mul_lo_u32 v140, v140, v151
	v_mul_lo_u32 v150, v172, v150
	v_dot4c_i32_i8_e32 v154, v157, v9
	v_bfe_i32 v155, v147, 0, 8
	v_bfe_i32 v151, v146, 0, 8
	v_dot4c_i32_i8_e32 v152, v163, v19
	v_mad_u64_u32 v[150:151], s[2:3], v173, v151, v[150:151]
	v_mad_u64_u32 v[154:155], s[2:3], v154, v155, v[140:141]
	v_dot4c_i32_i8_e32 v152, v160, v20
	v_mov_b32_e32 v160, 0
	v_cvt_f32_i32_e32 v151, v154
	v_cvt_f32_i32_e32 v150, v150
	s_waitcnt lgkmcnt(1)
	v_dot4c_i32_i8_e32 v160, v166, v14
	ds_read2_b32 v[156:157], v145 offset0:24 offset1:25
	v_dot4c_i32_i8_e32 v160, v167, v15
	v_dot4c_i32_i8_e32 v152, v161, v21
	;; [unrolled: 1-line block ×3, first 2 shown]
	v_mov_b32_e32 v154, v2
	v_mov_b32_e32 v155, v4
	v_ashrrev_i32_e32 v140, 24, v146
	v_ashrrev_i32_e32 v2, 24, v147
	v_dot4c_i32_i8_e32 v160, v165, v17
	v_pk_fma_f32 v[150:151], v[154:155], v[150:151], 0 op_sel_hi:[1,1,0]
	v_bfe_i32 v154, v147, 16, 8
	v_bfe_i32 v155, v146, 16, 8
	v_mul_lo_u32 v2, v152, v2
	v_mul_lo_u32 v140, v170, v140
	v_mad_u64_u32 v[146:147], s[2:3], v171, v155, v[140:141]
	v_mad_u64_u32 v[154:155], s[2:3], v160, v154, v[2:3]
	v_mov_b32_e32 v2, v3
	v_mov_b32_e32 v3, 0
	s_waitcnt lgkmcnt(0)
	v_dot4c_i32_i8_e32 v3, v156, v14
	v_dot4c_i32_i8_e32 v3, v157, v15
	;; [unrolled: 1-line block ×3, first 2 shown]
	v_ashrrev_i32_e32 v140, 24, v153
	v_bfe_i32 v148, v153, 8, 8
	v_dot4c_i32_i8_e32 v3, v149, v17
	v_bfe_i32 v152, v153, 16, 8
	v_bfe_i32 v149, v153, 0, 8
	v_mul_lo_u32 v140, v174, v140
	v_mul_lo_u32 v148, v175, v148
	v_mad_u64_u32 v[148:149], s[2:3], v176, v149, v[148:149]
	v_mad_u64_u32 v[152:153], s[2:3], v3, v152, v[140:141]
	v_cvt_f32_i32_e32 v147, v154
	v_cvt_f32_i32_e32 v146, v146
	;; [unrolled: 1-line block ×4, first 2 shown]
	v_mov_b32_e32 v3, v5
	v_pk_fma_f32 v[2:3], v[2:3], v[146:147], v[150:151]
	v_add_u32_e32 v140, 0x20d0, v145
	v_pk_mul_f32 v[146:147], v[4:5], v[148:149]
	v_pk_mul_f32 v[2:3], v[136:137], v[2:3] op_sel_hi:[0,1]
	v_add_f32_e32 v136, 0, v146
	v_add_u32_e32 v148, 0x20c8, v145
	v_add_u32_e32 v150, 0x20c0, v145
	;; [unrolled: 1-line block ×3, first 2 shown]
	v_add_f32_e32 v136, v136, v147
	ds_read2_b32 v[146:147], v140 offset1:1
	ds_read2_b32 v[148:149], v148 offset1:1
	;; [unrolled: 1-line block ×4, first 2 shown]
	v_add_u32_e32 v140, 0x20f0, v145
	ds_read2_b32 v[154:155], v140 offset1:1
	v_add_u32_e32 v156, 0x20e8, v145
	v_add_u32_e32 v158, 0x20e0, v145
	;; [unrolled: 1-line block ×3, first 2 shown]
	ds_read2_b32 v[156:157], v156 offset1:1
	ds_read2_b32 v[158:159], v158 offset1:1
	;; [unrolled: 1-line block ×3, first 2 shown]
	v_mov_b32_e32 v140, 0
	v_mov_b32_e32 v164, 0
	s_waitcnt lgkmcnt(3)
	v_dot4c_i32_i8_e32 v140, v154, v18
	v_mov_b32_e32 v162, 0
	v_dot4c_i32_i8_e32 v164, v150, v6
	v_dot4c_i32_i8_e32 v140, v155, v19
	s_waitcnt lgkmcnt(1)
	v_dot4c_i32_i8_e32 v162, v158, v14
	v_mov_b32_e32 v163, 0
	v_dot4c_i32_i8_e32 v164, v151, v7
	v_dot4c_i32_i8_e32 v140, v152, v20
	;; [unrolled: 1-line block ×5, first 2 shown]
	v_add_u32_e32 v146, 0x4150, v145
	v_add_u32_e32 v148, 0x4148, v145
	;; [unrolled: 1-line block ×5, first 2 shown]
	v_dot4c_i32_i8_e32 v140, v153, v21
	v_dot4c_i32_i8_e32 v162, v156, v16
	;; [unrolled: 1-line block ×4, first 2 shown]
	ds_read2_b32 v[146:147], v146 offset1:1
	ds_read2_b32 v[148:149], v148 offset1:1
	;; [unrolled: 1-line block ×5, first 2 shown]
	v_add_u32_e32 v156, 0x4168, v145
	v_add_u32_e32 v158, 0x4160, v145
	v_dot4c_i32_i8_e32 v162, v157, v17
	ds_read2_b32 v[156:157], v156 offset1:1
	ds_read2_b32 v[158:159], v158 offset1:1
	v_mov_b32_e32 v165, 0
	s_waitcnt lgkmcnt(2)
	v_dot4c_i32_i8_e32 v165, v154, v18
	v_mov_b32_e32 v18, 0
	v_dot4c_i32_i8_e32 v163, v168, v12
	s_waitcnt lgkmcnt(0)
	v_dot4c_i32_i8_e32 v18, v158, v14
	v_mov_b32_e32 v14, 0
	v_dot4c_i32_i8_e32 v14, v146, v10
	v_mov_b32_e32 v10, 0
	v_dot4c_i32_i8_e32 v14, v147, v11
	v_dot4c_i32_i8_e32 v10, v150, v6
	;; [unrolled: 1-line block ×7, first 2 shown]
	v_bfe_i32 v7, v141, 8, 8
	v_bfe_i32 v6, v139, 8, 8
	v_dot4c_i32_i8_e32 v165, v155, v19
	v_dot4c_i32_i8_e32 v10, v149, v9
	v_mul_lo_u32 v6, v14, v6
	v_mul_lo_u32 v8, v163, v7
	v_bfe_i32 v7, v139, 0, 8
	v_bfe_i32 v9, v141, 0, 8
	v_dot4c_i32_i8_e32 v165, v152, v20
	v_dot4c_i32_i8_e32 v18, v159, v15
	v_mad_u64_u32 v[8:9], s[2:3], v164, v9, v[8:9]
	v_mad_u64_u32 v[6:7], s[2:3], v10, v7, v[6:7]
	v_dot4c_i32_i8_e32 v165, v153, v21
	v_dot4c_i32_i8_e32 v18, v156, v16
	v_cvt_f32_i32_e32 v7, v6
	v_cvt_f32_i32_e32 v6, v8
	v_ashrrev_i32_e32 v10, 24, v141
	v_ashrrev_i32_e32 v8, 24, v139
	v_dot4c_i32_i8_e32 v18, v157, v17
	v_bfe_i32 v9, v139, 16, 8
	v_bfe_i32 v11, v141, 16, 8
	v_mul_lo_u32 v8, v165, v8
	v_mul_lo_u32 v10, v140, v10
	v_mad_u64_u32 v[10:11], s[2:3], v162, v11, v[10:11]
	v_mad_u64_u32 v[8:9], s[2:3], v18, v9, v[8:9]
	v_cvt_f32_i32_e32 v9, v8
	v_cvt_f32_i32_e32 v8, v10
	v_pk_fma_f32 v[6:7], v[4:5], v[6:7], 0 op_sel_hi:[0,1,0]
	v_mov_b32_e32 v4, v5
	v_pk_mul_f32 v[142:143], v[134:135], v[142:143]
	v_pk_fma_f32 v[4:5], v[4:5], v[8:9], v[6:7] op_sel_hi:[0,1,1]
	v_mul_f32_e32 v138, v25, v138
	v_pk_mul_f32 v[4:5], v[134:135], v[4:5]
	v_mov_b32_e32 v139, v142
	v_pk_mov_b32 v[8:9], v[142:143], v[2:3] op_sel:[1,0]
	v_mul_f32_e32 v10, v25, v136
	v_pk_add_f32 v[6:7], v[22:23], v[138:139]
	v_pk_add_f32 v[8:9], v[102:103], v[8:9]
	v_mov_b32_e32 v2, v5
	v_mov_b32_e32 v11, v4
	v_pk_add_f32 v[102:103], v[8:9], v[2:3]
	v_pk_add_f32 v[22:23], v[6:7], v[10:11]
	s_cmp_ge_i32 s4, s5
	s_barrier
	s_cbranch_scc1 .LBB216_5
; %bb.12:                               ;   in Loop: Header=BB216_6 Depth=1
	v_cmp_gt_i32_e64 s[2:3], s8, v41
	s_and_b64 s[22:23], s[0:1], s[2:3]
	s_and_saveexec_b64 s[2:3], s[22:23]
	s_cbranch_execz .LBB216_14
; %bb.13:                               ;   in Loop: Header=BB216_6 Depth=1
	v_add_u32_e32 v2, v60, v41
	v_mad_i64_i32 v[2:3], s[22:23], v2, 36, v[58:59]
	global_load_dword v2, v[2:3], off offset:4
	s_waitcnt vmcnt(0)
	ds_write_b32 v137, v2
.LBB216_14:                             ;   in Loop: Header=BB216_6 Depth=1
	s_or_b64 exec, exec, s[2:3]
	s_and_saveexec_b64 s[22:23], vcc
	s_cbranch_execz .LBB216_4
; %bb.15:                               ;   in Loop: Header=BB216_6 Depth=1
	v_add_u32_e32 v2, 4, v24
	v_cmp_gt_i32_e64 s[2:3], s8, v2
	s_and_b64 s[2:3], s[0:1], s[2:3]
	s_and_b64 exec, exec, s[2:3]
	s_cbranch_execz .LBB216_4
; %bb.16:                               ;   in Loop: Header=BB216_6 Depth=1
	v_ashrrev_i32_e32 v25, 31, v24
	v_lshl_add_u64 v[2:3], v[60:61], 0, v[24:25]
	v_mad_u64_u32 v[4:5], s[2:3], v2, 36, s[14:15]
	v_mad_i32_i24 v5, v3, 36, v5
	global_load_dword v2, v[4:5], off offset:144
	v_add_u32_e32 v3, v29, v33
	s_waitcnt vmcnt(0)
	v_cvt_f32_f16_e32 v2, v2
	ds_write_b32 v3, v2
	s_branch .LBB216_4
.LBB216_17:
	s_mul_i32 s0, s10, s7
	s_waitcnt vmcnt(0)
	v_cmp_gt_i32_e32 vcc, s0, v1
	s_and_saveexec_b64 s[0:1], vcc
	s_cbranch_execz .LBB216_26
; %bb.18:
	v_and_b32_e32 v0, 0x3ff, v0
	v_add_u32_e32 v2, s11, v0
	v_mul_lo_u32 v0, v1, s9
	v_cmp_gt_u32_e32 vcc, s9, v2
	s_and_saveexec_b64 s[0:1], vcc
	s_cbranch_execz .LBB216_20
; %bb.19:
	v_cvt_f16_f32_e32 v1, v22
	v_add_u32_e32 v4, v0, v2
	v_mov_b32_e32 v5, 0
	v_lshl_add_u64 v[4:5], v[4:5], 1, s[16:17]
	global_store_short v[4:5], v1, off
.LBB216_20:
	s_or_b64 exec, exec, s[0:1]
	v_add_u32_e32 v1, 32, v2
	v_cmp_gt_u32_e32 vcc, s9, v1
	s_and_saveexec_b64 s[0:1], vcc
	s_cbranch_execz .LBB216_22
; %bb.21:
	v_cvt_f16_f32_e32 v3, v23
	v_add_u32_e32 v4, v0, v1
	v_mov_b32_e32 v5, 0
	v_lshl_add_u64 v[4:5], v[4:5], 1, s[16:17]
	global_store_short v[4:5], v3, off
.LBB216_22:
	s_or_b64 exec, exec, s[0:1]
	v_add_u32_e32 v1, 64, v2
	;; [unrolled: 12-line block ×3, first 2 shown]
	v_cmp_gt_u32_e32 vcc, s9, v1
	s_and_b64 exec, exec, vcc
	s_cbranch_execz .LBB216_26
; %bb.25:
	v_cvt_f16_f32_e32 v2, v103
	v_add_u32_e32 v0, v0, v1
	v_mov_b32_e32 v1, 0
	v_lshl_add_u64 v[0:1], v[0:1], 1, s[16:17]
	global_store_short v[0:1], v2, off
.LBB216_26:
	s_endpgm
	.section	.rodata,"a",@progbits
	.p2align	6, 0x0
	.amdhsa_kernel _ZL8moe_q6_KIN3c104HalfELb1EEvPKvS3_PT_PKiS7_S7_iiiiiii
		.amdhsa_group_segment_fixed_size 37072
		.amdhsa_private_segment_fixed_size 0
		.amdhsa_kernarg_size 76
		.amdhsa_user_sgpr_count 2
		.amdhsa_user_sgpr_dispatch_ptr 0
		.amdhsa_user_sgpr_queue_ptr 0
		.amdhsa_user_sgpr_kernarg_segment_ptr 1
		.amdhsa_user_sgpr_dispatch_id 0
		.amdhsa_user_sgpr_kernarg_preload_length 0
		.amdhsa_user_sgpr_kernarg_preload_offset 0
		.amdhsa_user_sgpr_private_segment_size 0
		.amdhsa_uses_dynamic_stack 0
		.amdhsa_enable_private_segment 0
		.amdhsa_system_sgpr_workgroup_id_x 1
		.amdhsa_system_sgpr_workgroup_id_y 1
		.amdhsa_system_sgpr_workgroup_id_z 0
		.amdhsa_system_sgpr_workgroup_info 0
		.amdhsa_system_vgpr_workitem_id 1
		.amdhsa_next_free_vgpr 177
		.amdhsa_next_free_sgpr 96
		.amdhsa_accum_offset 180
		.amdhsa_reserve_vcc 1
		.amdhsa_float_round_mode_32 0
		.amdhsa_float_round_mode_16_64 0
		.amdhsa_float_denorm_mode_32 3
		.amdhsa_float_denorm_mode_16_64 3
		.amdhsa_dx10_clamp 1
		.amdhsa_ieee_mode 1
		.amdhsa_fp16_overflow 0
		.amdhsa_tg_split 0
		.amdhsa_exception_fp_ieee_invalid_op 0
		.amdhsa_exception_fp_denorm_src 0
		.amdhsa_exception_fp_ieee_div_zero 0
		.amdhsa_exception_fp_ieee_overflow 0
		.amdhsa_exception_fp_ieee_underflow 0
		.amdhsa_exception_fp_ieee_inexact 0
		.amdhsa_exception_int_div_zero 0
	.end_amdhsa_kernel
	.section	.text._ZL8moe_q6_KIN3c104HalfELb1EEvPKvS3_PT_PKiS7_S7_iiiiiii,"axG",@progbits,_ZL8moe_q6_KIN3c104HalfELb1EEvPKvS3_PT_PKiS7_S7_iiiiiii,comdat
.Lfunc_end216:
	.size	_ZL8moe_q6_KIN3c104HalfELb1EEvPKvS3_PT_PKiS7_S7_iiiiiii, .Lfunc_end216-_ZL8moe_q6_KIN3c104HalfELb1EEvPKvS3_PT_PKiS7_S7_iiiiiii
                                        ; -- End function
	.set _ZL8moe_q6_KIN3c104HalfELb1EEvPKvS3_PT_PKiS7_S7_iiiiiii.num_vgpr, 177
	.set _ZL8moe_q6_KIN3c104HalfELb1EEvPKvS3_PT_PKiS7_S7_iiiiiii.num_agpr, 0
	.set _ZL8moe_q6_KIN3c104HalfELb1EEvPKvS3_PT_PKiS7_S7_iiiiiii.numbered_sgpr, 28
	.set _ZL8moe_q6_KIN3c104HalfELb1EEvPKvS3_PT_PKiS7_S7_iiiiiii.num_named_barrier, 0
	.set _ZL8moe_q6_KIN3c104HalfELb1EEvPKvS3_PT_PKiS7_S7_iiiiiii.private_seg_size, 0
	.set _ZL8moe_q6_KIN3c104HalfELb1EEvPKvS3_PT_PKiS7_S7_iiiiiii.uses_vcc, 1
	.set _ZL8moe_q6_KIN3c104HalfELb1EEvPKvS3_PT_PKiS7_S7_iiiiiii.uses_flat_scratch, 0
	.set _ZL8moe_q6_KIN3c104HalfELb1EEvPKvS3_PT_PKiS7_S7_iiiiiii.has_dyn_sized_stack, 0
	.set _ZL8moe_q6_KIN3c104HalfELb1EEvPKvS3_PT_PKiS7_S7_iiiiiii.has_recursion, 0
	.set _ZL8moe_q6_KIN3c104HalfELb1EEvPKvS3_PT_PKiS7_S7_iiiiiii.has_indirect_call, 0
	.section	.AMDGPU.csdata,"",@progbits
; Kernel info:
; codeLenInByte = 12116
; TotalNumSgprs: 34
; NumVgprs: 177
; NumAgprs: 0
; TotalNumVgprs: 177
; ScratchSize: 0
; MemoryBound: 0
; FloatMode: 240
; IeeeMode: 1
; LDSByteSize: 37072 bytes/workgroup (compile time only)
; SGPRBlocks: 12
; VGPRBlocks: 22
; NumSGPRsForWavesPerEU: 102
; NumVGPRsForWavesPerEU: 177
; AccumOffset: 180
; Occupancy: 2
; WaveLimiterHint : 1
; COMPUTE_PGM_RSRC2:SCRATCH_EN: 0
; COMPUTE_PGM_RSRC2:USER_SGPR: 2
; COMPUTE_PGM_RSRC2:TRAP_HANDLER: 0
; COMPUTE_PGM_RSRC2:TGID_X_EN: 1
; COMPUTE_PGM_RSRC2:TGID_Y_EN: 1
; COMPUTE_PGM_RSRC2:TGID_Z_EN: 0
; COMPUTE_PGM_RSRC2:TIDIG_COMP_CNT: 1
; COMPUTE_PGM_RSRC3_GFX90A:ACCUM_OFFSET: 44
; COMPUTE_PGM_RSRC3_GFX90A:TG_SPLIT: 0
	.section	.text._ZL8moe_q4_0IN3c108BFloat16ELb0EEvPKvS3_PT_PKiS7_S7_iiiiiii,"axG",@progbits,_ZL8moe_q4_0IN3c108BFloat16ELb0EEvPKvS3_PT_PKiS7_S7_iiiiiii,comdat
	.globl	_ZL8moe_q4_0IN3c108BFloat16ELb0EEvPKvS3_PT_PKiS7_S7_iiiiiii ; -- Begin function _ZL8moe_q4_0IN3c108BFloat16ELb0EEvPKvS3_PT_PKiS7_S7_iiiiiii
	.p2align	8
	.type	_ZL8moe_q4_0IN3c108BFloat16ELb0EEvPKvS3_PT_PKiS7_S7_iiiiiii,@function
_ZL8moe_q4_0IN3c108BFloat16ELb0EEvPKvS3_PT_PKiS7_S7_iiiiiii: ; @_ZL8moe_q4_0IN3c108BFloat16ELb0EEvPKvS3_PT_PKiS7_S7_iiiiiii
; %bb.0:
	s_load_dwordx4 s[4:7], s[0:1], 0x18
	s_mov_b32 s8, s3
	s_mov_b32 s9, 0
	s_lshl_b64 s[10:11], s[8:9], 2
	s_waitcnt lgkmcnt(0)
	s_add_u32 s6, s6, s10
	s_addc_u32 s7, s7, s11
	s_load_dword s3, s[6:7], 0x0
	s_waitcnt lgkmcnt(0)
	s_cmpk_gt_u32 s3, 0xff
	s_cbranch_scc1 .LBB217_31
; %bb.1:
	s_load_dwordx2 s[6:7], s[0:1], 0x28
	s_waitcnt lgkmcnt(0)
	s_load_dword s7, s[6:7], 0x0
	s_lshl_b32 s6, s8, 3
	s_waitcnt lgkmcnt(0)
	s_cmp_gt_u32 s6, s7
	s_cbranch_scc1 .LBB217_31
; %bb.2:
	v_bfe_u32 v4, v0, 10, 10
	v_mov_b32_e32 v6, s4
	v_mov_b32_e32 v7, s5
	v_add_u32_e32 v2, s6, v4
	v_mov_b32_e32 v3, 0
	v_lshl_add_u64 v[6:7], v[2:3], 2, v[6:7]
	global_load_dword v1, v[6:7], off
	s_load_dwordx2 s[14:15], s[0:1], 0x30
	s_load_dwordx2 s[12:13], s[0:1], 0x10
	s_load_dwordx4 s[4:7], s[0:1], 0x3c
	s_lshl_b32 s18, s2, 7
	s_mov_b32 s19, 0
	s_waitcnt lgkmcnt(0)
	s_cmp_lt_i32 s15, 32
	s_cbranch_scc1 .LBB217_21
; %bb.3:
	s_load_dwordx4 s[8:11], s[0:1], 0x0
	s_ashr_i32 s0, s15, 31
	s_ashr_i32 s1, s5, 31
	s_lshr_b32 s0, s0, 27
	s_lshr_b32 s1, s1, 27
	s_add_i32 s0, s15, s0
	s_add_i32 s1, s5, s1
	s_mul_i32 s3, s3, s14
	s_ashr_i32 s20, s0, 5
	s_ashr_i32 s5, s1, 5
	;; [unrolled: 1-line block ×3, first 2 shown]
	s_waitcnt lgkmcnt(0)
	s_add_u32 s2, s8, s3
	s_mul_i32 s3, s20, s18
	s_addc_u32 s1, s9, s1
	s_mul_hi_i32 s8, s3, 18
	s_mul_i32 s3, s3, 18
	v_bfe_u32 v49, v0, 3, 7
	s_add_u32 s14, s2, s3
	v_and_b32_e32 v28, 7, v0
	v_lshl_add_u32 v6, v4, 2, v49
	v_mov_b32_e32 v33, 0x5280
	s_addc_u32 s21, s1, s8
	v_and_b32_e32 v7, 0x1ffc, v6
	v_lshlrev_b32_e32 v8, 2, v28
	s_movk_i32 s1, 0x4200
	v_and_b32_e32 v32, 31, v0
	v_lshl_add_u32 v51, v4, 7, v33
	v_and_b32_e32 v17, 0x3ff, v0
	v_add3_u32 v9, v7, v8, s1
	v_add_u32_e32 v7, 32, v6
	v_lshl_or_b32 v53, v32, 2, v51
	v_mov_b32_e32 v32, 0x5680
	v_lshlrev_b32_e32 v5, 2, v17
	s_movk_i32 s2, 0x84
	v_mul_lo_u32 v30, s20, v6
	v_lshlrev_b32_e32 v10, 5, v6
	v_and_b32_e32 v11, 0x3ffc, v7
	v_lshlrev_b32_e32 v12, 5, v7
	v_add_u32_e32 v7, 64, v6
	v_add_u32_e32 v6, 0x60, v6
	v_lshl_add_u32 v55, v4, 4, v32
	s_abs_i32 s8, s7
	v_and_b32_e32 v2, 12, v5
	v_mad_u32_u24 v19, v4, s2, v5
	v_and_b32_e32 v13, 0x3ffc, v7
	v_lshlrev_b32_e32 v14, 5, v7
	v_and_b32_e32 v7, 0x3ffc, v6
	v_lshlrev_b32_e32 v15, 5, v6
	v_and_b32_e32 v6, 28, v5
	v_add_u32_e32 v57, v55, v5
	v_cvt_f32_u32_e32 v5, s8
	s_and_b32 s16, s0, 0xffffffe0
	s_sub_i32 s0, 0, s8
	s_waitcnt vmcnt(0)
	v_sub_u32_e32 v33, 0, v1
	v_rcp_iflag_f32_e32 v5, v5
	v_max_i32_e32 v33, v1, v33
	v_add3_u32 v11, v11, v8, s1
	v_add3_u32 v13, v13, v8, s1
	v_mul_f32_e32 v5, 0x4f7ffffe, v5
	v_cvt_u32_f32_e32 v5, v5
	v_add3_u32 v8, v7, v8, s1
	v_mul_lo_u32 v16, s20, v4
	s_lshl_b32 s3, s20, 3
	v_mul_lo_u32 v34, s0, v5
	v_mul_hi_u32 v34, v5, v34
	v_add_u32_e32 v5, v5, v34
	v_mul_hi_u32 v5, v33, v5
	v_mul_lo_u32 v34, v5, s8
	v_sub_u32_e32 v33, v33, v34
	v_add_u32_e32 v34, 1, v5
	v_cmp_le_u32_e64 s[0:1], s8, v33
	v_add_u32_e32 v18, s3, v16
	v_xor_b32_e32 v32, s7, v1
	v_cndmask_b32_e64 v5, v5, v34, s[0:1]
	v_subrev_u32_e32 v34, s8, v33
	v_cndmask_b32_e64 v33, v33, v34, s[0:1]
	v_add_u32_e32 v34, 1, v5
	v_cmp_le_u32_e64 s[0:1], s8, v33
	v_add_u32_e32 v20, s3, v18
	v_ashrrev_i32_e32 v32, 31, v32
	v_cndmask_b32_e64 v5, v5, v34, s[0:1]
	v_add_u32_e32 v22, s3, v20
	v_xor_b32_e32 v5, v5, v32
	v_add_u32_e32 v24, s3, v22
	v_mov_b32_e32 v7, v3
	v_add_u32_e32 v4, 32, v17
	v_add_u32_e32 v36, 64, v17
	;; [unrolled: 1-line block ×3, first 2 shown]
	v_sub_u32_e32 v5, v5, v32
	v_add_u32_e32 v26, s3, v24
	v_lshrrev_b32_e32 v61, 3, v4
	v_cmp_gt_i32_e64 s[0:1], s4, v5
	v_mul_lo_u32 v32, v5, s5
	v_lshl_add_u64 v[34:35], s[10:11], 0, v[6:7]
	v_lshlrev_b32_e32 v5, 5, v17
	v_and_b32_e32 v6, 0x1fc, v38
	v_and_b32_e32 v7, 0x1fc, v36
	;; [unrolled: 1-line block ×4, first 2 shown]
	v_add_u32_e32 v6, v5, v6
	v_add_u32_e32 v7, v5, v7
	;; [unrolled: 1-line block ×13, first 2 shown]
	v_cmp_gt_u32_e32 vcc, 4, v17
	v_add_u32_e32 v52, s3, v50
	v_add_u32_e32 v58, s16, v56
	v_add_u32_e32 v21, 0x1080, v19
	v_add_u32_e32 v23, 0x14a0, v19
	v_add_u32_e32 v25, 0x18c0, v19
	v_add_u32_e32 v27, 0x1ce0, v19
	v_add_u32_e32 v29, 0x2100, v19
	v_add_u32_e32 v31, 0x2520, v19
	v_add_u32_e32 v37, 0x2940, v19
	v_add_u32_e32 v39, 0x2d60, v19
	v_add_u32_e32 v41, 0x3180, v19
	v_add_u32_e32 v43, 0x35a0, v19
	v_add_u32_e32 v45, 0x39c0, v19
	v_add_u32_e32 v47, 0x3de0, v19
	v_mul_u32_u24_e32 v59, 0x84, v17
	s_and_b64 s[8:9], vcc, s[0:1]
	v_ashrrev_i32_e32 v33, 31, v32
	v_add_u32_e32 v68, 0x4e00, v6
	v_add_u32_e32 v69, 0x4a00, v7
	;; [unrolled: 1-line block ×12, first 2 shown]
	v_mov_b32_e32 v4, v3
	v_mov_b32_e32 v5, v3
	;; [unrolled: 1-line block ×4, first 2 shown]
	v_mad_u32_u24 v80, v17, s2, 64
	v_add_u32_e32 v54, s3, v52
	v_add_u32_e32 v60, s16, v58
	v_mov_b32_e32 v63, 0x41000000
	s_branch .LBB217_5
.LBB217_4:                              ;   in Loop: Header=BB217_5 Depth=1
	s_add_i32 s19, s19, 8
	s_cmp_ge_i32 s19, s20
	s_cbranch_scc1 .LBB217_22
.LBB217_5:                              ; =>This Loop Header: Depth=1
                                        ;     Child Loop BB217_11 Depth 2
                                        ;     Child Loop BB217_19 Depth 2
	s_mul_i32 s2, s19, 18
	s_mul_hi_u32 s3, s19, 18
	s_add_u32 s2, s14, s2
	s_addc_u32 s3, s21, s3
	v_bfe_u32 v8, v0, 2, 8
	v_mad_u64_u32 v[8:9], s[16:17], v8, 18, s[2:3]
	v_mad_u64_u32 v[10:11], s[16:17], v16, 18, v[8:9]
	;; [unrolled: 1-line block ×8, first 2 shown]
	v_lshl_add_u64 v[10:11], v[10:11], 0, v[2:3]
	v_lshl_add_u64 v[12:13], v[12:13], 0, v[2:3]
	;; [unrolled: 1-line block ×7, first 2 shown]
	v_mad_u64_u32 v[86:87], s[16:17], v38, 18, v[8:9]
	v_lshl_add_u64 v[86:87], v[86:87], 0, v[2:3]
	global_load_dword v62, v[10:11], off offset:2
	global_load_dword v81, v[12:13], off offset:2
	;; [unrolled: 1-line block ×8, first 2 shown]
	v_mad_u64_u32 v[10:11], s[16:17], v40, 18, v[8:9]
	v_mad_u64_u32 v[12:13], s[16:17], v42, 18, v[8:9]
	;; [unrolled: 1-line block ×8, first 2 shown]
	v_lshl_add_u64 v[10:11], v[10:11], 0, v[2:3]
	v_lshl_add_u64 v[8:9], v[8:9], 0, v[2:3]
	;; [unrolled: 1-line block ×8, first 2 shown]
	global_load_dword v86, v[10:11], off offset:2
	global_load_dword v87, v[12:13], off offset:2
	;; [unrolled: 1-line block ×8, first 2 shown]
	v_mad_u64_u32 v[8:9], s[2:3], v28, 18, s[2:3]
	v_mad_u64_u32 v[10:11], s[2:3], v30, 18, v[8:9]
	;; [unrolled: 1-line block ×3, first 2 shown]
	global_load_ushort v14, v[10:11], off
	global_load_ushort v15, v[12:13], off
	v_mad_u64_u32 v[10:11], s[2:3], v58, 18, v[8:9]
	v_mad_u64_u32 v[8:9], s[2:3], v60, 18, v[8:9]
	global_load_ushort v10, v[10:11], off
	s_lshl_b32 s16, s19, 5
	global_load_ushort v8, v[8:9], off
	v_add_u32_e32 v9, 0x420, v19
	s_cmp_lt_i32 s16, s15
	s_waitcnt vmcnt(19)
	ds_write_b32 v19, v62
	s_waitcnt vmcnt(18)
	ds_write_b32 v9, v81
	v_add_u32_e32 v9, 0x840, v19
	s_waitcnt vmcnt(17)
	ds_write_b32 v9, v88
	v_add_u32_e32 v9, 0xc60, v19
	s_waitcnt vmcnt(16)
	ds_write_b32 v9, v89
	s_waitcnt vmcnt(15)
	ds_write_b32 v21, v90
	;; [unrolled: 2-line block ×13, first 2 shown]
	s_waitcnt vmcnt(3)
	v_cvt_f32_f16_e32 v9, v14
	s_waitcnt vmcnt(2)
	v_cvt_f32_f16_e32 v11, v15
	ds_write_b32 v76, v9
	ds_write_b32 v77, v11
	s_waitcnt vmcnt(1)
	v_cvt_f32_f16_e32 v10, v10
	s_waitcnt vmcnt(0)
	v_cvt_f32_f16_e32 v8, v8
	ds_write_b32 v78, v10
	ds_write_b32 v79, v8
	s_cbranch_scc0 .LBB217_4
; %bb.6:                                ;   in Loop: Header=BB217_5 Depth=1
	v_add_u32_e32 v8, s19, v49
	v_cmp_gt_i32_e64 s[2:3], s5, v8
	s_and_b64 s[22:23], s[0:1], s[2:3]
	s_and_saveexec_b64 s[2:3], s[22:23]
	s_cbranch_execz .LBB217_8
; %bb.7:                                ;   in Loop: Header=BB217_5 Depth=1
	v_add_u32_e32 v8, v32, v8
	v_mad_i64_i32 v[8:9], s[22:23], v8, 36, v[34:35]
	global_load_dword v8, v[8:9], off offset:4
	s_waitcnt vmcnt(0)
	ds_write_b32 v53, v8
.LBB217_8:                              ;   in Loop: Header=BB217_5 Depth=1
	s_or_b64 exec, exec, s[2:3]
	v_add_u32_e32 v64, s19, v17
	v_cmp_gt_i32_e64 s[2:3], s5, v64
	s_and_b64 s[22:23], s[8:9], s[2:3]
	s_and_saveexec_b64 s[2:3], s[22:23]
	s_cbranch_execz .LBB217_10
; %bb.9:                                ;   in Loop: Header=BB217_5 Depth=1
	v_add_u32_e32 v8, v32, v64
	v_mad_i64_i32 v[8:9], s[22:23], v8, 36, s[10:11]
	global_load_dword v8, v[8:9], off
	s_waitcnt vmcnt(0)
	ds_write_b32 v57, v8
.LBB217_10:                             ;   in Loop: Header=BB217_5 Depth=1
	s_or_b64 exec, exec, s[2:3]
	s_mov_b32 s2, -4
	v_mov_b32_e32 v65, v51
	v_mov_b32_e32 v81, v55
	v_mov_b32_e32 v82, v71
	v_mov_b32_e32 v83, v70
	v_mov_b32_e32 v84, v69
	v_mov_b32_e32 v85, v68
	v_mov_b32_e32 v86, v59
	s_waitcnt lgkmcnt(0)
	s_barrier
.LBB217_11:                             ;   Parent Loop BB217_5 Depth=1
                                        ; =>  This Inner Loop Header: Depth=2
	ds_read_b128 v[8:11], v65
	ds_read_b128 v[12:15], v65 offset:16
	ds_read_b32 v87, v81
	ds_read_b32 v66, v82
	ds_read2_b32 v[88:89], v86 offset1:1
	v_mov_b32_e32 v92, 0
	v_mov_b32_e32 v93, 0
	;; [unrolled: 1-line block ×4, first 2 shown]
	s_waitcnt lgkmcnt(0)
	v_and_b32_e32 v62, 0xf0f0f0f, v88
	v_lshrrev_b32_e32 v67, 4, v88
	v_and_b32_e32 v67, 0xf0f0f0f, v67
	v_dot4c_i32_i8_e32 v92, v62, v8
	v_dot4c_i32_i8_e32 v92, v67, v12
	v_and_b32_e32 v62, 0xf0f0f0f, v89
	v_lshrrev_b32_e32 v67, 4, v89
	ds_read2_b32 v[88:89], v86 offset0:2 offset1:3
	v_and_b32_e32 v67, 0xf0f0f0f, v67
	v_dot4c_i32_i8_e32 v92, v62, v9
	v_dot4c_i32_i8_e32 v92, v67, v13
	s_add_i32 s2, s2, 4
	s_waitcnt lgkmcnt(0)
	v_and_b32_e32 v62, 0xf0f0f0f, v88
	v_lshrrev_b32_e32 v67, 4, v88
	v_and_b32_e32 v67, 0xf0f0f0f, v67
	v_dot4c_i32_i8_e32 v92, v62, v10
	v_dot4c_i32_i8_e32 v92, v67, v14
	v_and_b32_e32 v62, 0xf0f0f0f, v89
	v_lshrrev_b32_e32 v67, 4, v89
	v_and_b32_e32 v67, 0xf0f0f0f, v67
	v_dot4c_i32_i8_e32 v92, v62, v11
	v_dot4c_i32_i8_e32 v92, v67, v15
	v_add_u32_e32 v62, 0x1080, v86
	ds_read_b32 v67, v83
	ds_read2_b32 v[88:89], v62 offset1:1
	v_add_u32_e32 v83, 4, v83
	v_add_u32_e32 v82, 4, v82
	;; [unrolled: 1-line block ×4, first 2 shown]
	s_waitcnt lgkmcnt(0)
	v_and_b32_e32 v62, 0xf0f0f0f, v88
	v_lshrrev_b32_e32 v88, 4, v88
	v_and_b32_e32 v88, 0xf0f0f0f, v88
	v_dot4c_i32_i8_e32 v93, v62, v8
	v_dot4c_i32_i8_e32 v93, v88, v12
	v_and_b32_e32 v62, 0xf0f0f0f, v89
	v_lshrrev_b32_e32 v88, 4, v89
	v_and_b32_e32 v88, 0xf0f0f0f, v88
	v_dot4c_i32_i8_e32 v93, v62, v9
	v_add_u32_e32 v62, 0x1088, v86
	v_dot4c_i32_i8_e32 v93, v88, v13
	ds_read2_b32 v[88:89], v62 offset1:1
	s_cmp_lt_u32 s2, 12
	s_waitcnt lgkmcnt(0)
	v_and_b32_e32 v62, 0xf0f0f0f, v88
	v_lshrrev_b32_e32 v88, 4, v88
	v_and_b32_e32 v88, 0xf0f0f0f, v88
	v_dot4c_i32_i8_e32 v93, v62, v10
	v_dot4c_i32_i8_e32 v93, v88, v14
	v_and_b32_e32 v62, 0xf0f0f0f, v89
	v_lshrrev_b32_e32 v88, 4, v89
	v_and_b32_e32 v88, 0xf0f0f0f, v88
	v_dot4c_i32_i8_e32 v93, v62, v11
	v_dot4c_i32_i8_e32 v93, v88, v15
	v_add_u32_e32 v62, 0x2100, v86
	ds_read_b32 v88, v84
	ds_read2_b32 v[90:91], v62 offset1:1
	v_add_u32_e32 v84, 4, v84
	s_waitcnt lgkmcnt(0)
	v_and_b32_e32 v62, 0xf0f0f0f, v90
	v_lshrrev_b32_e32 v89, 4, v90
	v_and_b32_e32 v89, 0xf0f0f0f, v89
	v_dot4c_i32_i8_e32 v94, v62, v8
	v_dot4c_i32_i8_e32 v94, v89, v12
	v_and_b32_e32 v62, 0xf0f0f0f, v91
	v_dot4c_i32_i8_e32 v94, v62, v9
	v_add_u32_e32 v62, 0x2108, v86
	v_lshrrev_b32_e32 v89, 4, v91
	ds_read2_b32 v[90:91], v62 offset1:1
	v_and_b32_e32 v89, 0xf0f0f0f, v89
	v_dot4c_i32_i8_e32 v94, v89, v13
	s_waitcnt lgkmcnt(0)
	v_and_b32_e32 v62, 0xf0f0f0f, v90
	v_lshrrev_b32_e32 v89, 4, v90
	v_and_b32_e32 v89, 0xf0f0f0f, v89
	v_dot4c_i32_i8_e32 v94, v62, v10
	v_dot4c_i32_i8_e32 v94, v89, v14
	v_and_b32_e32 v62, 0xf0f0f0f, v91
	v_lshrrev_b32_e32 v89, 4, v91
	v_and_b32_e32 v89, 0xf0f0f0f, v89
	v_dot4c_i32_i8_e32 v94, v62, v11
	v_dot4c_i32_i8_e32 v94, v89, v15
	v_add_u32_e32 v62, 0x3180, v86
	ds_read_b32 v89, v85
	ds_read2_b32 v[90:91], v62 offset1:1
	v_cvt_f32_i32_e32 v94, v94
	v_add_u32_e32 v85, 4, v85
	s_waitcnt lgkmcnt(0)
	v_and_b32_e32 v62, 0xf0f0f0f, v90
	v_lshrrev_b32_e32 v90, 4, v90
	v_and_b32_e32 v90, 0xf0f0f0f, v90
	v_dot4c_i32_i8_e32 v95, v62, v8
	v_dot4c_i32_i8_e32 v95, v90, v12
	v_and_b32_e32 v8, 0xf0f0f0f, v91
	v_dot4c_i32_i8_e32 v95, v8, v9
	v_add_u32_e32 v8, 0x3188, v86
	ds_read2_b32 v[8:9], v8 offset1:1
	v_lshrrev_b32_e32 v12, 4, v91
	v_and_b32_e32 v12, 0xf0f0f0f, v12
	v_dot4c_i32_i8_e32 v95, v12, v13
	v_cvt_f32_i32_e32 v13, v93
	s_waitcnt lgkmcnt(0)
	v_and_b32_e32 v12, 0xf0f0f0f, v8
	v_lshrrev_b32_e32 v8, 4, v8
	v_and_b32_e32 v8, 0xf0f0f0f, v8
	v_dot4c_i32_i8_e32 v95, v12, v10
	v_dot4c_i32_i8_e32 v95, v8, v14
	v_and_b32_e32 v8, 0xf0f0f0f, v9
	v_lshrrev_b32_e32 v9, 4, v9
	v_and_b32_e32 v9, 0xf0f0f0f, v9
	v_dot4c_i32_i8_e32 v95, v8, v11
	v_dot4c_i32_i8_e32 v95, v9, v15
	v_cvt_f32_f16_sdwa v9, v87 dst_sel:DWORD dst_unused:UNUSED_PAD src0_sel:WORD_1
	v_cvt_f32_f16_e32 v8, v87
	v_cvt_f32_i32_e32 v12, v92
	v_cvt_f32_i32_e32 v62, v95
	v_add_u32_e32 v86, 16, v86
	v_pk_mul_f32 v[10:11], v[62:63], v[8:9]
	v_pk_mul_f32 v[8:9], v[8:9], v[12:13] op_sel_hi:[0,1]
	v_sub_f32_e32 v9, v9, v11
	v_sub_f32_e32 v8, v8, v11
	v_fma_mix_f32 v12, v87, v94, -v11 op_sel_hi:[1,0,0]
	v_sub_f32_e32 v13, v10, v11
	v_pk_fma_f32 v[6:7], v[88:89], v[12:13], v[6:7]
	v_pk_fma_f32 v[4:5], v[66:67], v[8:9], v[4:5]
	s_cbranch_scc1 .LBB217_11
; %bb.12:                               ;   in Loop: Header=BB217_5 Depth=1
	s_bitset1_b32 s16, 7
	s_cmp_ge_i32 s16, s15
	s_barrier
	s_cbranch_scc1 .LBB217_4
; %bb.13:                               ;   in Loop: Header=BB217_5 Depth=1
	v_add_u32_e32 v8, s19, v61
	v_cmp_gt_i32_e64 s[2:3], s5, v8
	s_and_b64 s[16:17], s[0:1], s[2:3]
	s_and_saveexec_b64 s[2:3], s[16:17]
	s_cbranch_execz .LBB217_15
; %bb.14:                               ;   in Loop: Header=BB217_5 Depth=1
	v_add_u32_e32 v8, v32, v8
	v_mad_i64_i32 v[8:9], s[16:17], v8, 36, v[34:35]
	global_load_dword v8, v[8:9], off offset:4
	s_waitcnt vmcnt(0)
	ds_write_b32 v53, v8
.LBB217_15:                             ;   in Loop: Header=BB217_5 Depth=1
	s_or_b64 exec, exec, s[2:3]
	s_and_saveexec_b64 s[16:17], vcc
	s_cbranch_execz .LBB217_18
; %bb.16:                               ;   in Loop: Header=BB217_5 Depth=1
	v_or_b32_e32 v8, 4, v64
	v_cmp_gt_i32_e64 s[2:3], s5, v8
	s_and_b64 s[2:3], s[0:1], s[2:3]
	s_and_b64 exec, exec, s[2:3]
	s_cbranch_execz .LBB217_18
; %bb.17:                               ;   in Loop: Header=BB217_5 Depth=1
	v_ashrrev_i32_e32 v65, 31, v64
	v_lshl_add_u64 v[8:9], v[32:33], 0, v[64:65]
	v_mad_u64_u32 v[10:11], s[2:3], v8, 36, s[10:11]
	v_mad_i32_i24 v11, v9, 36, v11
	global_load_dword v8, v[10:11], off offset:144
	s_waitcnt vmcnt(0)
	ds_write_b32 v57, v8
.LBB217_18:                             ;   in Loop: Header=BB217_5 Depth=1
	s_or_b64 exec, exec, s[16:17]
	s_mov_b32 s2, 12
	v_mov_b32_e32 v66, v55
	v_mov_b32_e32 v67, v51
	;; [unrolled: 1-line block ×7, first 2 shown]
	s_waitcnt lgkmcnt(0)
	s_barrier
.LBB217_19:                             ;   Parent Loop BB217_5 Depth=1
                                        ; =>  This Inner Loop Header: Depth=2
	ds_read_b128 v[8:11], v67
	ds_read_b128 v[12:15], v67 offset:16
	ds_read_b32 v90, v66
	ds_read_b32 v64, v81
	ds_read2_b32 v[86:87], v85 offset1:1
	v_mov_b32_e32 v91, 0
	v_mov_b32_e32 v92, 0
	;; [unrolled: 1-line block ×4, first 2 shown]
	s_waitcnt lgkmcnt(0)
	v_and_b32_e32 v62, 0xf0f0f0f, v86
	v_lshrrev_b32_e32 v65, 4, v86
	v_and_b32_e32 v65, 0xf0f0f0f, v65
	v_dot4c_i32_i8_e32 v91, v62, v8
	v_dot4c_i32_i8_e32 v91, v65, v12
	v_and_b32_e32 v62, 0xf0f0f0f, v87
	v_lshrrev_b32_e32 v65, 4, v87
	ds_read2_b32 v[86:87], v85 offset0:2 offset1:3
	v_and_b32_e32 v65, 0xf0f0f0f, v65
	v_dot4c_i32_i8_e32 v91, v62, v9
	v_dot4c_i32_i8_e32 v91, v65, v13
	s_add_i32 s2, s2, 4
	s_waitcnt lgkmcnt(0)
	v_and_b32_e32 v62, 0xf0f0f0f, v86
	v_lshrrev_b32_e32 v65, 4, v86
	v_and_b32_e32 v65, 0xf0f0f0f, v65
	v_dot4c_i32_i8_e32 v91, v62, v10
	v_dot4c_i32_i8_e32 v91, v65, v14
	v_and_b32_e32 v62, 0xf0f0f0f, v87
	v_lshrrev_b32_e32 v65, 4, v87
	v_and_b32_e32 v65, 0xf0f0f0f, v65
	v_dot4c_i32_i8_e32 v91, v62, v11
	v_dot4c_i32_i8_e32 v91, v65, v15
	v_add_u32_e32 v62, 0x1080, v85
	ds_read_b32 v65, v82
	ds_read2_b32 v[86:87], v62 offset1:1
	v_add_u32_e32 v82, 4, v82
	v_add_u32_e32 v81, 4, v81
	;; [unrolled: 1-line block ×4, first 2 shown]
	s_waitcnt lgkmcnt(0)
	v_and_b32_e32 v62, 0xf0f0f0f, v86
	v_lshrrev_b32_e32 v86, 4, v86
	v_and_b32_e32 v86, 0xf0f0f0f, v86
	v_dot4c_i32_i8_e32 v92, v62, v8
	v_dot4c_i32_i8_e32 v92, v86, v12
	v_and_b32_e32 v62, 0xf0f0f0f, v87
	v_lshrrev_b32_e32 v86, 4, v87
	v_and_b32_e32 v86, 0xf0f0f0f, v86
	v_dot4c_i32_i8_e32 v92, v62, v9
	v_add_u32_e32 v62, 0x1088, v85
	v_dot4c_i32_i8_e32 v92, v86, v13
	ds_read2_b32 v[86:87], v62 offset1:1
	s_cmp_lt_u32 s2, 28
	s_waitcnt lgkmcnt(0)
	v_and_b32_e32 v62, 0xf0f0f0f, v86
	v_lshrrev_b32_e32 v86, 4, v86
	v_and_b32_e32 v86, 0xf0f0f0f, v86
	v_dot4c_i32_i8_e32 v92, v62, v10
	v_dot4c_i32_i8_e32 v92, v86, v14
	v_and_b32_e32 v62, 0xf0f0f0f, v87
	v_lshrrev_b32_e32 v86, 4, v87
	v_and_b32_e32 v86, 0xf0f0f0f, v86
	v_dot4c_i32_i8_e32 v92, v62, v11
	v_dot4c_i32_i8_e32 v92, v86, v15
	v_add_u32_e32 v62, 0x2100, v85
	ds_read_b32 v86, v83
	ds_read2_b32 v[88:89], v62 offset1:1
	v_add_u32_e32 v83, 4, v83
	s_waitcnt lgkmcnt(0)
	v_and_b32_e32 v62, 0xf0f0f0f, v88
	v_lshrrev_b32_e32 v87, 4, v88
	v_and_b32_e32 v87, 0xf0f0f0f, v87
	v_dot4c_i32_i8_e32 v93, v62, v8
	v_dot4c_i32_i8_e32 v93, v87, v12
	v_and_b32_e32 v62, 0xf0f0f0f, v89
	v_dot4c_i32_i8_e32 v93, v62, v9
	v_add_u32_e32 v62, 0x2108, v85
	v_lshrrev_b32_e32 v87, 4, v89
	ds_read2_b32 v[88:89], v62 offset1:1
	v_and_b32_e32 v87, 0xf0f0f0f, v87
	v_dot4c_i32_i8_e32 v93, v87, v13
	s_waitcnt lgkmcnt(0)
	v_and_b32_e32 v62, 0xf0f0f0f, v88
	v_lshrrev_b32_e32 v87, 4, v88
	v_and_b32_e32 v87, 0xf0f0f0f, v87
	v_dot4c_i32_i8_e32 v93, v62, v10
	v_dot4c_i32_i8_e32 v93, v87, v14
	v_and_b32_e32 v62, 0xf0f0f0f, v89
	v_lshrrev_b32_e32 v87, 4, v89
	v_and_b32_e32 v87, 0xf0f0f0f, v87
	v_dot4c_i32_i8_e32 v93, v62, v11
	v_dot4c_i32_i8_e32 v93, v87, v15
	v_add_u32_e32 v62, 0x3180, v85
	ds_read_b32 v87, v84
	ds_read2_b32 v[88:89], v62 offset1:1
	v_cvt_f32_i32_e32 v93, v93
	v_add_u32_e32 v84, 4, v84
	s_waitcnt lgkmcnt(0)
	v_and_b32_e32 v62, 0xf0f0f0f, v88
	v_lshrrev_b32_e32 v88, 4, v88
	v_and_b32_e32 v88, 0xf0f0f0f, v88
	v_dot4c_i32_i8_e32 v94, v62, v8
	v_dot4c_i32_i8_e32 v94, v88, v12
	v_and_b32_e32 v8, 0xf0f0f0f, v89
	v_dot4c_i32_i8_e32 v94, v8, v9
	v_add_u32_e32 v8, 0x3188, v85
	ds_read2_b32 v[8:9], v8 offset1:1
	v_lshrrev_b32_e32 v12, 4, v89
	v_and_b32_e32 v12, 0xf0f0f0f, v12
	v_dot4c_i32_i8_e32 v94, v12, v13
	v_cvt_f32_i32_e32 v13, v92
	s_waitcnt lgkmcnt(0)
	v_and_b32_e32 v12, 0xf0f0f0f, v8
	v_lshrrev_b32_e32 v8, 4, v8
	v_and_b32_e32 v8, 0xf0f0f0f, v8
	v_dot4c_i32_i8_e32 v94, v12, v10
	v_dot4c_i32_i8_e32 v94, v8, v14
	v_and_b32_e32 v8, 0xf0f0f0f, v9
	v_lshrrev_b32_e32 v9, 4, v9
	v_and_b32_e32 v9, 0xf0f0f0f, v9
	v_dot4c_i32_i8_e32 v94, v8, v11
	v_dot4c_i32_i8_e32 v94, v9, v15
	v_cvt_f32_f16_sdwa v9, v90 dst_sel:DWORD dst_unused:UNUSED_PAD src0_sel:WORD_1
	v_cvt_f32_f16_e32 v8, v90
	v_cvt_f32_i32_e32 v12, v91
	v_cvt_f32_i32_e32 v62, v94
	v_add_u32_e32 v85, 16, v85
	v_pk_mul_f32 v[10:11], v[62:63], v[8:9]
	v_pk_mul_f32 v[8:9], v[8:9], v[12:13] op_sel_hi:[0,1]
	v_sub_f32_e32 v9, v9, v11
	v_sub_f32_e32 v8, v8, v11
	v_fma_mix_f32 v12, v90, v93, -v11 op_sel_hi:[1,0,0]
	v_sub_f32_e32 v13, v10, v11
	v_pk_fma_f32 v[6:7], v[86:87], v[12:13], v[6:7]
	v_pk_fma_f32 v[4:5], v[64:65], v[8:9], v[4:5]
	s_cbranch_scc1 .LBB217_19
; %bb.20:                               ;   in Loop: Header=BB217_5 Depth=1
	s_barrier
	s_branch .LBB217_4
.LBB217_21:
	v_mov_b32_e32 v4, v3
	v_mov_b32_e32 v5, v3
	;; [unrolled: 1-line block ×3, first 2 shown]
	v_mov_b64_e32 v[6:7], v[4:5]
	v_mov_b64_e32 v[4:5], v[2:3]
.LBB217_22:
	s_mul_i32 s0, s7, s4
	s_waitcnt vmcnt(0)
	v_cmp_gt_i32_e32 vcc, s0, v1
	s_and_saveexec_b64 s[0:1], vcc
	s_cbranch_execz .LBB217_31
; %bb.23:
	v_and_b32_e32 v0, 0x3ff, v0
	v_add_u32_e32 v2, s18, v0
	v_mul_lo_u32 v0, v1, s6
	v_cmp_gt_u32_e32 vcc, s6, v2
	s_and_saveexec_b64 s[0:1], vcc
	s_cbranch_execz .LBB217_25
; %bb.24:
	v_bfe_u32 v1, v4, 16, 1
	s_movk_i32 s2, 0x7fff
	v_add3_u32 v1, v4, v1, s2
	v_cmp_o_f32_e32 vcc, v4, v4
	v_mov_b32_e32 v3, 0x7fc0
	v_add_u32_e32 v8, v0, v2
	v_mov_b32_e32 v9, 0
	v_cndmask_b32_sdwa v1, v3, v1, vcc dst_sel:DWORD dst_unused:UNUSED_PAD src0_sel:DWORD src1_sel:WORD_1
	v_lshl_add_u64 v[8:9], v[8:9], 1, s[12:13]
	global_store_short v[8:9], v1, off
.LBB217_25:
	s_or_b64 exec, exec, s[0:1]
	v_add_u32_e32 v1, 32, v2
	v_cmp_gt_u32_e32 vcc, s6, v1
	s_and_saveexec_b64 s[0:1], vcc
	s_cbranch_execz .LBB217_27
; %bb.26:
	v_bfe_u32 v3, v5, 16, 1
	s_movk_i32 s2, 0x7fff
	v_add3_u32 v3, v5, v3, s2
	v_cmp_o_f32_e32 vcc, v5, v5
	v_mov_b32_e32 v4, 0x7fc0
	v_mov_b32_e32 v5, 0
	v_cndmask_b32_sdwa v3, v4, v3, vcc dst_sel:DWORD dst_unused:UNUSED_PAD src0_sel:DWORD src1_sel:WORD_1
	v_add_u32_e32 v4, v0, v1
	v_lshl_add_u64 v[4:5], v[4:5], 1, s[12:13]
	global_store_short v[4:5], v3, off
.LBB217_27:
	s_or_b64 exec, exec, s[0:1]
	v_add_u32_e32 v1, 64, v2
	v_cmp_gt_u32_e32 vcc, s6, v1
	s_and_saveexec_b64 s[0:1], vcc
	s_cbranch_execz .LBB217_29
; %bb.28:
	v_bfe_u32 v3, v6, 16, 1
	s_movk_i32 s2, 0x7fff
	v_add3_u32 v3, v6, v3, s2
	v_cmp_o_f32_e32 vcc, v6, v6
	v_mov_b32_e32 v4, 0x7fc0
	v_mov_b32_e32 v5, 0
	v_cndmask_b32_sdwa v3, v4, v3, vcc dst_sel:DWORD dst_unused:UNUSED_PAD src0_sel:DWORD src1_sel:WORD_1
	v_add_u32_e32 v4, v0, v1
	v_lshl_add_u64 v[4:5], v[4:5], 1, s[12:13]
	global_store_short v[4:5], v3, off
.LBB217_29:
	s_or_b64 exec, exec, s[0:1]
	v_add_u32_e32 v1, 0x60, v2
	v_cmp_gt_u32_e32 vcc, s6, v1
	s_and_b64 exec, exec, vcc
	s_cbranch_execz .LBB217_31
; %bb.30:
	v_bfe_u32 v2, v7, 16, 1
	s_movk_i32 s0, 0x7fff
	v_add3_u32 v2, v7, v2, s0
	v_cmp_o_f32_e32 vcc, v7, v7
	v_mov_b32_e32 v3, 0x7fc0
	v_add_u32_e32 v0, v0, v1
	v_mov_b32_e32 v1, 0
	v_cndmask_b32_sdwa v2, v3, v2, vcc dst_sel:DWORD dst_unused:UNUSED_PAD src0_sel:DWORD src1_sel:WORD_1
	v_lshl_add_u64 v[0:1], v[0:1], 1, s[12:13]
	global_store_short v[0:1], v2, off
.LBB217_31:
	s_endpgm
	.section	.rodata,"a",@progbits
	.p2align	6, 0x0
	.amdhsa_kernel _ZL8moe_q4_0IN3c108BFloat16ELb0EEvPKvS3_PT_PKiS7_S7_iiiiiii
		.amdhsa_group_segment_fixed_size 22272
		.amdhsa_private_segment_fixed_size 0
		.amdhsa_kernarg_size 76
		.amdhsa_user_sgpr_count 2
		.amdhsa_user_sgpr_dispatch_ptr 0
		.amdhsa_user_sgpr_queue_ptr 0
		.amdhsa_user_sgpr_kernarg_segment_ptr 1
		.amdhsa_user_sgpr_dispatch_id 0
		.amdhsa_user_sgpr_kernarg_preload_length 0
		.amdhsa_user_sgpr_kernarg_preload_offset 0
		.amdhsa_user_sgpr_private_segment_size 0
		.amdhsa_uses_dynamic_stack 0
		.amdhsa_enable_private_segment 0
		.amdhsa_system_sgpr_workgroup_id_x 1
		.amdhsa_system_sgpr_workgroup_id_y 1
		.amdhsa_system_sgpr_workgroup_id_z 0
		.amdhsa_system_sgpr_workgroup_info 0
		.amdhsa_system_vgpr_workitem_id 1
		.amdhsa_next_free_vgpr 100
		.amdhsa_next_free_sgpr 75
		.amdhsa_accum_offset 100
		.amdhsa_reserve_vcc 1
		.amdhsa_float_round_mode_32 0
		.amdhsa_float_round_mode_16_64 0
		.amdhsa_float_denorm_mode_32 3
		.amdhsa_float_denorm_mode_16_64 3
		.amdhsa_dx10_clamp 1
		.amdhsa_ieee_mode 1
		.amdhsa_fp16_overflow 0
		.amdhsa_tg_split 0
		.amdhsa_exception_fp_ieee_invalid_op 0
		.amdhsa_exception_fp_denorm_src 0
		.amdhsa_exception_fp_ieee_div_zero 0
		.amdhsa_exception_fp_ieee_overflow 0
		.amdhsa_exception_fp_ieee_underflow 0
		.amdhsa_exception_fp_ieee_inexact 0
		.amdhsa_exception_int_div_zero 0
	.end_amdhsa_kernel
	.section	.text._ZL8moe_q4_0IN3c108BFloat16ELb0EEvPKvS3_PT_PKiS7_S7_iiiiiii,"axG",@progbits,_ZL8moe_q4_0IN3c108BFloat16ELb0EEvPKvS3_PT_PKiS7_S7_iiiiiii,comdat
.Lfunc_end217:
	.size	_ZL8moe_q4_0IN3c108BFloat16ELb0EEvPKvS3_PT_PKiS7_S7_iiiiiii, .Lfunc_end217-_ZL8moe_q4_0IN3c108BFloat16ELb0EEvPKvS3_PT_PKiS7_S7_iiiiiii
                                        ; -- End function
	.set _ZL8moe_q4_0IN3c108BFloat16ELb0EEvPKvS3_PT_PKiS7_S7_iiiiiii.num_vgpr, 100
	.set _ZL8moe_q4_0IN3c108BFloat16ELb0EEvPKvS3_PT_PKiS7_S7_iiiiiii.num_agpr, 0
	.set _ZL8moe_q4_0IN3c108BFloat16ELb0EEvPKvS3_PT_PKiS7_S7_iiiiiii.numbered_sgpr, 24
	.set _ZL8moe_q4_0IN3c108BFloat16ELb0EEvPKvS3_PT_PKiS7_S7_iiiiiii.num_named_barrier, 0
	.set _ZL8moe_q4_0IN3c108BFloat16ELb0EEvPKvS3_PT_PKiS7_S7_iiiiiii.private_seg_size, 0
	.set _ZL8moe_q4_0IN3c108BFloat16ELb0EEvPKvS3_PT_PKiS7_S7_iiiiiii.uses_vcc, 1
	.set _ZL8moe_q4_0IN3c108BFloat16ELb0EEvPKvS3_PT_PKiS7_S7_iiiiiii.uses_flat_scratch, 0
	.set _ZL8moe_q4_0IN3c108BFloat16ELb0EEvPKvS3_PT_PKiS7_S7_iiiiiii.has_dyn_sized_stack, 0
	.set _ZL8moe_q4_0IN3c108BFloat16ELb0EEvPKvS3_PT_PKiS7_S7_iiiiiii.has_recursion, 0
	.set _ZL8moe_q4_0IN3c108BFloat16ELb0EEvPKvS3_PT_PKiS7_S7_iiiiiii.has_indirect_call, 0
	.section	.AMDGPU.csdata,"",@progbits
; Kernel info:
; codeLenInByte = 4160
; TotalNumSgprs: 30
; NumVgprs: 100
; NumAgprs: 0
; TotalNumVgprs: 100
; ScratchSize: 0
; MemoryBound: 0
; FloatMode: 240
; IeeeMode: 1
; LDSByteSize: 22272 bytes/workgroup (compile time only)
; SGPRBlocks: 10
; VGPRBlocks: 12
; NumSGPRsForWavesPerEU: 81
; NumVGPRsForWavesPerEU: 100
; AccumOffset: 100
; Occupancy: 4
; WaveLimiterHint : 1
; COMPUTE_PGM_RSRC2:SCRATCH_EN: 0
; COMPUTE_PGM_RSRC2:USER_SGPR: 2
; COMPUTE_PGM_RSRC2:TRAP_HANDLER: 0
; COMPUTE_PGM_RSRC2:TGID_X_EN: 1
; COMPUTE_PGM_RSRC2:TGID_Y_EN: 1
; COMPUTE_PGM_RSRC2:TGID_Z_EN: 0
; COMPUTE_PGM_RSRC2:TIDIG_COMP_CNT: 1
; COMPUTE_PGM_RSRC3_GFX90A:ACCUM_OFFSET: 24
; COMPUTE_PGM_RSRC3_GFX90A:TG_SPLIT: 0
	.section	.text._ZL8moe_q4_0IN3c108BFloat16ELb1EEvPKvS3_PT_PKiS7_S7_iiiiiii,"axG",@progbits,_ZL8moe_q4_0IN3c108BFloat16ELb1EEvPKvS3_PT_PKiS7_S7_iiiiiii,comdat
	.globl	_ZL8moe_q4_0IN3c108BFloat16ELb1EEvPKvS3_PT_PKiS7_S7_iiiiiii ; -- Begin function _ZL8moe_q4_0IN3c108BFloat16ELb1EEvPKvS3_PT_PKiS7_S7_iiiiiii
	.p2align	8
	.type	_ZL8moe_q4_0IN3c108BFloat16ELb1EEvPKvS3_PT_PKiS7_S7_iiiiiii,@function
_ZL8moe_q4_0IN3c108BFloat16ELb1EEvPKvS3_PT_PKiS7_S7_iiiiiii: ; @_ZL8moe_q4_0IN3c108BFloat16ELb1EEvPKvS3_PT_PKiS7_S7_iiiiiii
; %bb.0:
	s_load_dwordx4 s[4:7], s[0:1], 0x18
	s_mov_b32 s8, s3
	s_mov_b32 s9, 0
	s_lshl_b64 s[10:11], s[8:9], 2
	s_waitcnt lgkmcnt(0)
	s_add_u32 s6, s6, s10
	s_addc_u32 s7, s7, s11
	s_load_dword s3, s[6:7], 0x0
	s_waitcnt lgkmcnt(0)
	s_cmpk_gt_u32 s3, 0xff
	s_cbranch_scc1 .LBB218_31
; %bb.1:
	s_load_dwordx2 s[6:7], s[0:1], 0x28
	s_waitcnt lgkmcnt(0)
	s_load_dword s7, s[6:7], 0x0
	s_lshl_b32 s6, s8, 3
	s_waitcnt lgkmcnt(0)
	s_cmp_gt_u32 s6, s7
	s_cbranch_scc1 .LBB218_31
; %bb.2:
	v_bfe_u32 v4, v0, 10, 10
	v_mov_b32_e32 v6, s4
	v_mov_b32_e32 v7, s5
	v_add_u32_e32 v2, s6, v4
	v_mov_b32_e32 v3, 0
	v_lshl_add_u64 v[6:7], v[2:3], 2, v[6:7]
	global_load_dword v1, v[6:7], off
	s_load_dwordx8 s[4:11], s[0:1], 0x30
	s_load_dwordx2 s[16:17], s[0:1], 0x10
	s_waitcnt lgkmcnt(0)
	s_lshl_b32 s11, s2, 7
	s_mov_b32 s20, 0
	s_cmp_lt_i32 s5, 32
	s_cbranch_scc1 .LBB218_21
; %bb.3:
	s_load_dwordx4 s[12:15], s[0:1], 0x0
	s_ashr_i32 s0, s5, 31
	s_lshr_b32 s0, s0, 27
	s_add_i32 s0, s5, s0
	s_ashr_i32 s21, s0, 5
	s_ashr_i32 s0, s8, 31
	s_lshr_b32 s0, s0, 27
	s_add_i32 s0, s8, s0
	s_mul_i32 s3, s3, s4
	s_ashr_i32 s8, s0, 5
	s_ashr_i32 s0, s3, 31
	s_waitcnt lgkmcnt(0)
	s_add_u32 s1, s12, s3
	s_mul_i32 s2, s21, s11
	s_addc_u32 s0, s13, s0
	s_mul_hi_i32 s3, s2, 18
	s_mul_i32 s2, s2, 18
	s_add_u32 s4, s1, s2
	s_addc_u32 s22, s0, s3
	s_not_b32 s0, s11
	s_add_i32 s0, s6, s0
	v_add_u32_e32 v5, 8, v4
	v_min_i32_e32 v9, s0, v5
	v_add_u32_e32 v5, 16, v4
	v_min_i32_e32 v10, s0, v5
	;; [unrolled: 2-line block ×5, first 2 shown]
	v_add_u32_e32 v5, 48, v4
	v_and_b32_e32 v41, 0x3ff, v0
	v_min_i32_e32 v14, s0, v5
	v_add_u32_e32 v5, 56, v4
	v_lshlrev_b32_e32 v6, 2, v41
	s_movk_i32 s2, 0x84
	v_min_i32_e32 v15, s0, v5
	v_add_u32_e32 v5, 64, v4
	v_mad_u64_u32 v[26:27], s[12:13], v13, s2, v[6:7]
	v_min_i32_e32 v59, s0, v5
	v_add_u32_e32 v5, 0x48, v4
	s_abs_i32 s3, s10
	v_min_i32_e32 v61, s0, v5
	v_add_u32_e32 v5, 0x50, v4
	v_cvt_f32_u32_e32 v27, s3
	v_min_i32_e32 v63, s0, v5
	v_add_u32_e32 v5, 0x58, v4
	v_min_i32_e32 v8, s0, v4
	v_min_i32_e32 v65, s0, v5
	v_add_u32_e32 v5, 0x60, v4
	v_mad_u64_u32 v[16:17], s[12:13], v8, s2, v[6:7]
	v_min_i32_e32 v67, s0, v5
	v_add_u32_e32 v5, 0x68, v4
	v_min_i32_e32 v69, s0, v5
	v_add_u32_e32 v5, 0x70, v4
	v_bfe_u32 v17, v0, 3, 7
	v_rcp_iflag_f32_e32 v27, v27
	v_mad_u64_u32 v[22:23], s[12:13], v11, s2, v[6:7]
	v_mad_u64_u32 v[24:25], s[12:13], v12, s2, v[6:7]
	v_min_i32_e32 v71, s0, v5
	v_lshl_add_u32 v5, v4, 2, v17
	v_min_i32_e32 v73, s0, v5
	v_add_u32_e32 v23, 32, v5
	v_add_u32_e32 v25, 64, v5
	;; [unrolled: 1-line block ×3, first 2 shown]
	v_min_i32_e32 v75, s0, v23
	v_min_i32_e32 v77, s0, v25
	;; [unrolled: 1-line block ×3, first 2 shown]
	v_mad_u64_u32 v[18:19], s[12:13], v9, s2, v[6:7]
	v_mad_u64_u32 v[20:21], s[12:13], v10, s2, v[6:7]
	;; [unrolled: 1-line block ×8, first 2 shown]
	v_ashrrev_i32_e32 v7, 31, v73
	v_ashrrev_i32_e32 v23, 31, v75
	v_ashrrev_i32_e32 v25, 31, v77
	v_ashrrev_i32_e32 v5, 31, v79
	v_mul_f32_e32 v27, 0x4f7ffffe, v27
	v_lshrrev_b32_e32 v7, 30, v7
	v_lshrrev_b32_e32 v23, 30, v23
	;; [unrolled: 1-line block ×4, first 2 shown]
	v_cvt_u32_f32_e32 v27, v27
	v_and_b32_e32 v40, 7, v0
	v_add_u32_e32 v7, v73, v7
	v_add_u32_e32 v23, v75, v23
	;; [unrolled: 1-line block ×4, first 2 shown]
	v_and_b32_e32 v7, -4, v7
	v_lshlrev_b32_e32 v19, 2, v40
	s_movk_i32 s1, 0x4200
	v_and_b32_e32 v23, -4, v23
	v_and_b32_e32 v25, -4, v25
	;; [unrolled: 1-line block ×3, first 2 shown]
	v_add3_u32 v7, v7, v19, s1
	v_add3_u32 v23, v23, v19, s1
	;; [unrolled: 1-line block ×4, first 2 shown]
	s_sub_i32 s1, 0, s3
	v_mul_lo_u32 v37, s1, v27
	s_waitcnt vmcnt(0)
	v_sub_u32_e32 v33, 0, v1
	v_mul_hi_u32 v37, v27, v37
	v_max_i32_e32 v33, v1, v33
	v_add_u32_e32 v27, v27, v37
	v_mul_hi_u32 v27, v33, v27
	v_mul_lo_u32 v37, v27, s3
	v_sub_u32_e32 v33, v33, v37
	v_add_u32_e32 v37, 1, v27
	v_cmp_le_u32_e32 vcc, s3, v33
	v_xor_b32_e32 v31, s10, v1
	v_ashrrev_i32_e32 v31, 31, v31
	v_cndmask_b32_e32 v27, v27, v37, vcc
	v_subrev_u32_e32 v37, s3, v33
	v_cndmask_b32_e32 v33, v33, v37, vcc
	v_add_u32_e32 v37, 1, v27
	v_cmp_le_u32_e32 vcc, s3, v33
	v_add_u32_e32 v19, 64, v41
	v_add_u32_e32 v35, 32, v41
	v_cndmask_b32_e32 v27, v27, v37, vcc
	v_xor_b32_e32 v27, v27, v31
	v_sub_u32_e32 v37, v27, v31
	v_lshlrev_b32_e32 v27, 5, v41
	v_and_b32_e32 v19, 0x1fc, v19
	v_add_u32_e32 v29, 0x60, v41
	v_add_u32_e32 v54, v27, v19
	v_and_b32_e32 v19, 0x1fc, v35
	v_and_b32_e32 v29, 0x1fc, v29
	v_add_u32_e32 v55, v27, v19
	v_and_b32_e32 v19, 0xfc, v0
	v_lshlrev_b32_e32 v21, 5, v73
	v_add_u32_e32 v39, v27, v29
	v_add_u32_e32 v56, v27, v19
	v_lshlrev_b32_e32 v27, 5, v75
	v_add_u32_e32 v19, v7, v21
	v_lshlrev_b32_e32 v7, 5, v77
	;; [unrolled: 2-line block ×3, first 2 shown]
	v_add_u32_e32 v23, v25, v7
	v_mov_b32_e32 v7, 0x5280
	v_add_u32_e32 v27, v5, v27
	v_mov_b32_e32 v5, 0x5680
	v_lshl_add_u32 v25, v4, 7, v7
	v_lshl_add_u32 v29, v4, 4, v5
	v_add_u32_e32 v4, 0x78, v4
	v_min_i32_e32 v81, s0, v4
	v_mad_u64_u32 v[42:43], s[0:1], v67, s2, v[6:7]
	v_mad_u64_u32 v[44:45], s[0:1], v69, s2, v[6:7]
	;; [unrolled: 1-line block ×4, first 2 shown]
	v_and_b32_e32 v2, 12, v6
	v_add_u32_e32 v31, v29, v6
	v_and_b32_e32 v4, 28, v6
	v_mov_b32_e32 v5, v3
	v_and_b32_e32 v6, 31, v0
	v_cmp_gt_u32_e32 vcc, 4, v41
	v_cmp_gt_i32_e64 s[0:1], s7, v37
	v_mul_lo_u32 v52, v37, s8
	v_lshl_or_b32 v33, v6, 2, v25
	v_lshrrev_b32_e32 v35, 3, v35
	v_lshl_add_u64 v[50:51], s[14:15], 0, v[4:5]
	s_and_b64 s[12:13], vcc, s[0:1]
	v_ashrrev_i32_e32 v53, 31, v52
	v_add_u32_e32 v37, 0x4e00, v39
	v_add_u32_e32 v39, 0x4e10, v39
	;; [unrolled: 1-line block ×8, first 2 shown]
	v_mov_b32_e32 v4, v3
	v_mov_b32_e32 v6, v3
	;; [unrolled: 1-line block ×3, first 2 shown]
	v_mul_lo_u32 v54, v8, s21
	v_mul_lo_u32 v56, v9, s21
	;; [unrolled: 1-line block ×20, first 2 shown]
	v_mul_u32_u24_e32 v59, 0x84, v41
	v_mad_u32_u24 v61, v41, s2, 64
	v_bfe_u32 v94, v0, 2, 8
	v_mov_b32_e32 v97, 0x41000000
	s_branch .LBB218_5
.LBB218_4:                              ;   in Loop: Header=BB218_5 Depth=1
	s_add_i32 s20, s20, 8
	s_cmp_ge_i32 s20, s21
	s_cbranch_scc1 .LBB218_22
.LBB218_5:                              ; =>This Loop Header: Depth=1
                                        ;     Child Loop BB218_11 Depth 2
                                        ;     Child Loop BB218_19 Depth 2
	s_mul_i32 s2, s20, 18
	s_mul_hi_u32 s3, s20, 18
	s_add_u32 s2, s4, s2
	s_addc_u32 s3, s22, s3
	v_mad_u64_u32 v[8:9], s[18:19], v94, 18, s[2:3]
	v_mad_i64_i32 v[10:11], s[18:19], v54, 18, v[8:9]
	v_mad_i64_i32 v[12:13], s[18:19], v56, 18, v[8:9]
	v_mad_i64_i32 v[14:15], s[18:19], v58, 18, v[8:9]
	v_mad_i64_i32 v[98:99], s[18:19], v60, 18, v[8:9]
	v_mad_i64_i32 v[100:101], s[18:19], v62, 18, v[8:9]
	v_mad_i64_i32 v[102:103], s[18:19], v64, 18, v[8:9]
	v_mad_i64_i32 v[104:105], s[18:19], v66, 18, v[8:9]
	v_lshl_add_u64 v[10:11], v[10:11], 0, v[2:3]
	v_lshl_add_u64 v[12:13], v[12:13], 0, v[2:3]
	;; [unrolled: 1-line block ×7, first 2 shown]
	v_mad_i64_i32 v[106:107], s[18:19], v68, 18, v[8:9]
	v_lshl_add_u64 v[106:107], v[106:107], 0, v[2:3]
	global_load_dword v63, v[10:11], off offset:2
	global_load_dword v65, v[12:13], off offset:2
	;; [unrolled: 1-line block ×8, first 2 shown]
	v_mad_i64_i32 v[10:11], s[18:19], v70, 18, v[8:9]
	v_mad_i64_i32 v[12:13], s[18:19], v72, 18, v[8:9]
	;; [unrolled: 1-line block ×8, first 2 shown]
	v_lshl_add_u64 v[10:11], v[10:11], 0, v[2:3]
	v_lshl_add_u64 v[8:9], v[8:9], 0, v[2:3]
	;; [unrolled: 1-line block ×8, first 2 shown]
	global_load_dword v79, v[10:11], off offset:2
	global_load_dword v81, v[12:13], off offset:2
	;; [unrolled: 1-line block ×8, first 2 shown]
	v_mad_u64_u32 v[8:9], s[2:3], v40, 18, s[2:3]
	v_mad_i64_i32 v[10:11], s[2:3], v86, 18, v[8:9]
	v_mad_i64_i32 v[12:13], s[2:3], v88, 18, v[8:9]
	global_load_ushort v14, v[10:11], off
	global_load_ushort v15, v[12:13], off
	v_mad_i64_i32 v[10:11], s[2:3], v90, 18, v[8:9]
	v_mad_i64_i32 v[8:9], s[2:3], v92, 18, v[8:9]
	global_load_ushort v10, v[10:11], off
	s_lshl_b32 s6, s20, 5
	global_load_ushort v8, v[8:9], off
	s_cmp_lt_i32 s6, s5
	s_waitcnt vmcnt(19)
	ds_write_b32 v16, v63
	s_waitcnt vmcnt(18)
	ds_write_b32 v18, v65
	s_waitcnt vmcnt(17)
	ds_write_b32 v20, v67
	s_waitcnt vmcnt(16)
	ds_write_b32 v22, v69
	s_waitcnt vmcnt(15)
	ds_write_b32 v24, v71
	s_waitcnt vmcnt(14)
	ds_write_b32 v26, v73
	s_waitcnt vmcnt(13)
	ds_write_b32 v28, v75
	s_waitcnt vmcnt(12)
	ds_write_b32 v30, v77
	s_waitcnt vmcnt(11)
	ds_write_b32 v32, v79
	s_waitcnt vmcnt(10)
	ds_write_b32 v34, v81
	s_waitcnt vmcnt(9)
	ds_write_b32 v36, v83
	s_waitcnt vmcnt(8)
	ds_write_b32 v38, v85
	s_waitcnt vmcnt(7)
	ds_write_b32 v42, v87
	s_waitcnt vmcnt(6)
	ds_write_b32 v44, v89
	s_waitcnt vmcnt(5)
	ds_write_b32 v46, v91
	s_waitcnt vmcnt(4)
	ds_write_b32 v48, v93
	s_waitcnt vmcnt(3)
	v_cvt_f32_f16_e32 v9, v14
	s_waitcnt vmcnt(2)
	v_cvt_f32_f16_e32 v11, v15
	ds_write_b32 v19, v9
	ds_write_b32 v21, v11
	s_waitcnt vmcnt(1)
	v_cvt_f32_f16_e32 v10, v10
	s_waitcnt vmcnt(0)
	v_cvt_f32_f16_e32 v8, v8
	ds_write_b32 v23, v10
	ds_write_b32 v27, v8
	s_cbranch_scc0 .LBB218_4
; %bb.6:                                ;   in Loop: Header=BB218_5 Depth=1
	v_add_u32_e32 v8, s20, v17
	v_cmp_gt_i32_e64 s[2:3], s8, v8
	s_and_b64 s[18:19], s[0:1], s[2:3]
	s_and_saveexec_b64 s[2:3], s[18:19]
	s_cbranch_execz .LBB218_8
; %bb.7:                                ;   in Loop: Header=BB218_5 Depth=1
	v_add_u32_e32 v8, v52, v8
	v_mad_i64_i32 v[8:9], s[18:19], v8, 36, v[50:51]
	global_load_dword v8, v[8:9], off offset:4
	s_waitcnt vmcnt(0)
	ds_write_b32 v33, v8
.LBB218_8:                              ;   in Loop: Header=BB218_5 Depth=1
	s_or_b64 exec, exec, s[2:3]
	v_add_u32_e32 v98, s20, v41
	v_cmp_gt_i32_e64 s[2:3], s8, v98
	s_and_b64 s[18:19], s[12:13], s[2:3]
	s_and_saveexec_b64 s[2:3], s[18:19]
	s_cbranch_execz .LBB218_10
; %bb.9:                                ;   in Loop: Header=BB218_5 Depth=1
	v_add_u32_e32 v8, v52, v98
	v_mad_i64_i32 v[8:9], s[18:19], v8, 36, s[14:15]
	global_load_dword v8, v[8:9], off
	s_waitcnt vmcnt(0)
	ds_write_b32 v31, v8
.LBB218_10:                             ;   in Loop: Header=BB218_5 Depth=1
	s_or_b64 exec, exec, s[2:3]
	s_mov_b32 s2, -4
	v_mov_b32_e32 v63, v25
	v_mov_b32_e32 v65, v29
	;; [unrolled: 1-line block ×7, first 2 shown]
	s_waitcnt lgkmcnt(0)
	s_barrier
.LBB218_11:                             ;   Parent Loop BB218_5 Depth=1
                                        ; =>  This Inner Loop Header: Depth=2
	ds_read_b128 v[8:11], v63
	ds_read_b128 v[12:15], v63 offset:16
	ds_read_b32 v77, v65
	ds_read_b32 v100, v67
	ds_read2_b32 v[102:103], v75 offset1:1
	v_mov_b32_e32 v83, 0
	v_mov_b32_e32 v85, 0
	;; [unrolled: 1-line block ×4, first 2 shown]
	s_waitcnt lgkmcnt(0)
	v_and_b32_e32 v79, 0xf0f0f0f, v102
	v_lshrrev_b32_e32 v81, 4, v102
	v_and_b32_e32 v81, 0xf0f0f0f, v81
	v_dot4c_i32_i8_e32 v83, v79, v8
	v_dot4c_i32_i8_e32 v83, v81, v12
	v_and_b32_e32 v79, 0xf0f0f0f, v103
	v_lshrrev_b32_e32 v81, 4, v103
	ds_read2_b32 v[102:103], v75 offset0:2 offset1:3
	v_and_b32_e32 v81, 0xf0f0f0f, v81
	v_dot4c_i32_i8_e32 v83, v79, v9
	v_dot4c_i32_i8_e32 v83, v81, v13
	s_add_i32 s2, s2, 4
	s_waitcnt lgkmcnt(0)
	v_and_b32_e32 v79, 0xf0f0f0f, v102
	v_lshrrev_b32_e32 v81, 4, v102
	v_and_b32_e32 v81, 0xf0f0f0f, v81
	v_dot4c_i32_i8_e32 v83, v79, v10
	v_dot4c_i32_i8_e32 v83, v81, v14
	v_and_b32_e32 v79, 0xf0f0f0f, v103
	v_lshrrev_b32_e32 v81, 4, v103
	v_dot4c_i32_i8_e32 v83, v79, v11
	v_add_u32_e32 v79, 0x1080, v75
	ds_read_b32 v101, v69
	ds_read2_b32 v[102:103], v79 offset1:1
	v_and_b32_e32 v81, 0xf0f0f0f, v81
	v_dot4c_i32_i8_e32 v83, v81, v15
	v_add_u32_e32 v69, 4, v69
	v_add_u32_e32 v67, 4, v67
	s_waitcnt lgkmcnt(0)
	v_and_b32_e32 v79, 0xf0f0f0f, v102
	v_lshrrev_b32_e32 v81, 4, v102
	v_and_b32_e32 v81, 0xf0f0f0f, v81
	v_dot4c_i32_i8_e32 v85, v79, v8
	v_dot4c_i32_i8_e32 v85, v81, v12
	v_and_b32_e32 v79, 0xf0f0f0f, v103
	v_dot4c_i32_i8_e32 v85, v79, v9
	v_add_u32_e32 v79, 0x1088, v75
	v_lshrrev_b32_e32 v81, 4, v103
	ds_read2_b32 v[102:103], v79 offset1:1
	v_and_b32_e32 v81, 0xf0f0f0f, v81
	v_dot4c_i32_i8_e32 v85, v81, v13
	v_add_u32_e32 v65, 4, v65
	v_add_u32_e32 v63, 32, v63
	s_waitcnt lgkmcnt(0)
	v_and_b32_e32 v79, 0xf0f0f0f, v102
	v_lshrrev_b32_e32 v81, 4, v102
	v_and_b32_e32 v81, 0xf0f0f0f, v81
	v_dot4c_i32_i8_e32 v85, v79, v10
	v_dot4c_i32_i8_e32 v85, v81, v14
	v_and_b32_e32 v79, 0xf0f0f0f, v103
	v_dot4c_i32_i8_e32 v85, v79, v11
	v_add_u32_e32 v79, 0x2100, v75
	ds_read_b32 v102, v71
	ds_read2_b32 v[104:105], v79 offset1:1
	v_lshrrev_b32_e32 v81, 4, v103
	v_and_b32_e32 v81, 0xf0f0f0f, v81
	v_dot4c_i32_i8_e32 v85, v81, v15
	v_add_u32_e32 v71, 4, v71
	s_waitcnt lgkmcnt(0)
	v_and_b32_e32 v79, 0xf0f0f0f, v104
	v_lshrrev_b32_e32 v81, 4, v104
	v_and_b32_e32 v81, 0xf0f0f0f, v81
	v_dot4c_i32_i8_e32 v87, v79, v8
	v_dot4c_i32_i8_e32 v87, v81, v12
	v_and_b32_e32 v79, 0xf0f0f0f, v105
	v_dot4c_i32_i8_e32 v87, v79, v9
	v_add_u32_e32 v79, 0x2108, v75
	v_lshrrev_b32_e32 v81, 4, v105
	ds_read2_b32 v[104:105], v79 offset1:1
	v_and_b32_e32 v81, 0xf0f0f0f, v81
	v_dot4c_i32_i8_e32 v87, v81, v13
	s_cmp_lt_u32 s2, 12
	s_waitcnt lgkmcnt(0)
	v_and_b32_e32 v79, 0xf0f0f0f, v104
	v_lshrrev_b32_e32 v81, 4, v104
	v_and_b32_e32 v81, 0xf0f0f0f, v81
	v_dot4c_i32_i8_e32 v87, v79, v10
	v_dot4c_i32_i8_e32 v87, v81, v14
	v_and_b32_e32 v79, 0xf0f0f0f, v105
	v_lshrrev_b32_e32 v81, 4, v105
	v_and_b32_e32 v81, 0xf0f0f0f, v81
	v_dot4c_i32_i8_e32 v87, v79, v11
	v_dot4c_i32_i8_e32 v87, v81, v15
	v_add_u32_e32 v81, 0x3180, v75
	ds_read_b32 v103, v73
	ds_read2_b32 v[104:105], v81 offset1:1
	v_cvt_f32_i32_e32 v79, v87
	v_add_u32_e32 v73, 4, v73
	s_waitcnt lgkmcnt(0)
	v_and_b32_e32 v81, 0xf0f0f0f, v104
	v_lshrrev_b32_e32 v87, 4, v104
	v_and_b32_e32 v87, 0xf0f0f0f, v87
	v_dot4c_i32_i8_e32 v89, v81, v8
	v_dot4c_i32_i8_e32 v89, v87, v12
	v_and_b32_e32 v8, 0xf0f0f0f, v105
	v_dot4c_i32_i8_e32 v89, v8, v9
	v_add_u32_e32 v8, 0x3188, v75
	ds_read2_b32 v[8:9], v8 offset1:1
	v_lshrrev_b32_e32 v12, 4, v105
	v_and_b32_e32 v12, 0xf0f0f0f, v12
	v_dot4c_i32_i8_e32 v89, v12, v13
	v_cvt_f32_i32_e32 v13, v85
	s_waitcnt lgkmcnt(0)
	v_and_b32_e32 v12, 0xf0f0f0f, v8
	v_lshrrev_b32_e32 v8, 4, v8
	v_and_b32_e32 v8, 0xf0f0f0f, v8
	v_dot4c_i32_i8_e32 v89, v12, v10
	v_dot4c_i32_i8_e32 v89, v8, v14
	v_and_b32_e32 v8, 0xf0f0f0f, v9
	v_lshrrev_b32_e32 v9, 4, v9
	v_and_b32_e32 v9, 0xf0f0f0f, v9
	v_dot4c_i32_i8_e32 v89, v8, v11
	v_dot4c_i32_i8_e32 v89, v9, v15
	v_cvt_f32_f16_sdwa v9, v77 dst_sel:DWORD dst_unused:UNUSED_PAD src0_sel:WORD_1
	v_cvt_f32_f16_e32 v8, v77
	v_cvt_f32_i32_e32 v12, v83
	v_cvt_f32_i32_e32 v96, v89
	v_add_u32_e32 v75, 16, v75
	v_pk_mul_f32 v[10:11], v[96:97], v[8:9]
	v_pk_mul_f32 v[8:9], v[8:9], v[12:13] op_sel_hi:[0,1]
	v_sub_f32_e32 v9, v9, v11
	v_sub_f32_e32 v8, v8, v11
	v_fma_mix_f32 v12, v77, v79, -v11 op_sel_hi:[1,0,0]
	v_sub_f32_e32 v13, v10, v11
	v_pk_fma_f32 v[6:7], v[102:103], v[12:13], v[6:7]
	v_pk_fma_f32 v[4:5], v[100:101], v[8:9], v[4:5]
	s_cbranch_scc1 .LBB218_11
; %bb.12:                               ;   in Loop: Header=BB218_5 Depth=1
	s_bitset1_b32 s6, 7
	s_cmp_ge_i32 s6, s5
	s_barrier
	s_cbranch_scc1 .LBB218_4
; %bb.13:                               ;   in Loop: Header=BB218_5 Depth=1
	v_add_u32_e32 v8, s20, v35
	v_cmp_gt_i32_e64 s[2:3], s8, v8
	s_and_b64 s[18:19], s[0:1], s[2:3]
	s_and_saveexec_b64 s[2:3], s[18:19]
	s_cbranch_execz .LBB218_15
; %bb.14:                               ;   in Loop: Header=BB218_5 Depth=1
	v_add_u32_e32 v8, v52, v8
	v_mad_i64_i32 v[8:9], s[18:19], v8, 36, v[50:51]
	global_load_dword v8, v[8:9], off offset:4
	s_waitcnt vmcnt(0)
	ds_write_b32 v33, v8
.LBB218_15:                             ;   in Loop: Header=BB218_5 Depth=1
	s_or_b64 exec, exec, s[2:3]
	s_and_saveexec_b64 s[18:19], vcc
	s_cbranch_execz .LBB218_18
; %bb.16:                               ;   in Loop: Header=BB218_5 Depth=1
	v_or_b32_e32 v8, 4, v98
	v_cmp_gt_i32_e64 s[2:3], s8, v8
	s_and_b64 s[2:3], s[0:1], s[2:3]
	s_and_b64 exec, exec, s[2:3]
	s_cbranch_execz .LBB218_18
; %bb.17:                               ;   in Loop: Header=BB218_5 Depth=1
	v_ashrrev_i32_e32 v99, 31, v98
	v_lshl_add_u64 v[8:9], v[52:53], 0, v[98:99]
	v_mad_u64_u32 v[10:11], s[2:3], v8, 36, s[14:15]
	v_mad_i32_i24 v11, v9, 36, v11
	global_load_dword v8, v[10:11], off offset:144
	s_waitcnt vmcnt(0)
	ds_write_b32 v31, v8
.LBB218_18:                             ;   in Loop: Header=BB218_5 Depth=1
	s_or_b64 exec, exec, s[18:19]
	s_mov_b32 s2, 12
	v_mov_b32_e32 v8, v29
	v_mov_b32_e32 v9, v25
	;; [unrolled: 1-line block ×7, first 2 shown]
	s_waitcnt lgkmcnt(0)
	s_barrier
.LBB218_19:                             ;   Parent Loop BB218_5 Depth=1
                                        ; =>  This Inner Loop Header: Depth=2
	ds_read_b128 v[98:101], v9
	ds_read_b128 v[102:105], v9 offset:16
	ds_read_b32 v15, v8
	ds_read_b32 v106, v10
	ds_read2_b32 v[108:109], v14 offset1:1
	v_mov_b32_e32 v67, 0
	v_mov_b32_e32 v69, 0
	;; [unrolled: 1-line block ×4, first 2 shown]
	s_waitcnt lgkmcnt(0)
	v_and_b32_e32 v63, 0xf0f0f0f, v108
	v_lshrrev_b32_e32 v65, 4, v108
	v_and_b32_e32 v65, 0xf0f0f0f, v65
	v_dot4c_i32_i8_e32 v67, v63, v98
	v_dot4c_i32_i8_e32 v67, v65, v102
	v_and_b32_e32 v63, 0xf0f0f0f, v109
	v_lshrrev_b32_e32 v65, 4, v109
	ds_read2_b32 v[108:109], v14 offset0:2 offset1:3
	v_and_b32_e32 v65, 0xf0f0f0f, v65
	v_dot4c_i32_i8_e32 v67, v63, v99
	v_dot4c_i32_i8_e32 v67, v65, v103
	s_add_i32 s2, s2, 4
	s_waitcnt lgkmcnt(0)
	v_and_b32_e32 v63, 0xf0f0f0f, v108
	v_lshrrev_b32_e32 v65, 4, v108
	v_and_b32_e32 v65, 0xf0f0f0f, v65
	v_dot4c_i32_i8_e32 v67, v63, v100
	v_dot4c_i32_i8_e32 v67, v65, v104
	v_and_b32_e32 v63, 0xf0f0f0f, v109
	v_lshrrev_b32_e32 v65, 4, v109
	v_dot4c_i32_i8_e32 v67, v63, v101
	v_add_u32_e32 v63, 0x1080, v14
	ds_read_b32 v107, v11
	ds_read2_b32 v[108:109], v63 offset1:1
	v_and_b32_e32 v65, 0xf0f0f0f, v65
	v_dot4c_i32_i8_e32 v67, v65, v105
	v_add_u32_e32 v11, 4, v11
	v_add_u32_e32 v10, 4, v10
	s_waitcnt lgkmcnt(0)
	v_and_b32_e32 v63, 0xf0f0f0f, v108
	v_lshrrev_b32_e32 v65, 4, v108
	v_and_b32_e32 v65, 0xf0f0f0f, v65
	v_dot4c_i32_i8_e32 v69, v63, v98
	v_dot4c_i32_i8_e32 v69, v65, v102
	v_and_b32_e32 v63, 0xf0f0f0f, v109
	v_dot4c_i32_i8_e32 v69, v63, v99
	v_add_u32_e32 v63, 0x1088, v14
	v_lshrrev_b32_e32 v65, 4, v109
	ds_read2_b32 v[108:109], v63 offset1:1
	v_and_b32_e32 v65, 0xf0f0f0f, v65
	v_dot4c_i32_i8_e32 v69, v65, v103
	v_add_u32_e32 v9, 32, v9
	v_add_u32_e32 v8, 4, v8
	s_waitcnt lgkmcnt(0)
	v_and_b32_e32 v63, 0xf0f0f0f, v108
	v_lshrrev_b32_e32 v65, 4, v108
	v_and_b32_e32 v65, 0xf0f0f0f, v65
	v_dot4c_i32_i8_e32 v69, v63, v100
	v_dot4c_i32_i8_e32 v69, v65, v104
	v_and_b32_e32 v63, 0xf0f0f0f, v109
	v_dot4c_i32_i8_e32 v69, v63, v101
	v_add_u32_e32 v63, 0x2100, v14
	ds_read_b32 v108, v12
	ds_read2_b32 v[110:111], v63 offset1:1
	v_lshrrev_b32_e32 v65, 4, v109
	v_and_b32_e32 v65, 0xf0f0f0f, v65
	v_dot4c_i32_i8_e32 v69, v65, v105
	v_add_u32_e32 v12, 4, v12
	s_waitcnt lgkmcnt(0)
	v_and_b32_e32 v63, 0xf0f0f0f, v110
	v_lshrrev_b32_e32 v65, 4, v110
	v_and_b32_e32 v65, 0xf0f0f0f, v65
	v_dot4c_i32_i8_e32 v71, v63, v98
	v_dot4c_i32_i8_e32 v71, v65, v102
	v_and_b32_e32 v63, 0xf0f0f0f, v111
	v_dot4c_i32_i8_e32 v71, v63, v99
	v_add_u32_e32 v63, 0x2108, v14
	v_lshrrev_b32_e32 v65, 4, v111
	ds_read2_b32 v[110:111], v63 offset1:1
	v_and_b32_e32 v65, 0xf0f0f0f, v65
	v_dot4c_i32_i8_e32 v71, v65, v103
	s_cmp_lt_u32 s2, 28
	s_waitcnt lgkmcnt(0)
	v_and_b32_e32 v63, 0xf0f0f0f, v110
	v_lshrrev_b32_e32 v65, 4, v110
	v_and_b32_e32 v65, 0xf0f0f0f, v65
	v_dot4c_i32_i8_e32 v71, v63, v100
	v_dot4c_i32_i8_e32 v71, v65, v104
	v_and_b32_e32 v63, 0xf0f0f0f, v111
	v_lshrrev_b32_e32 v65, 4, v111
	v_and_b32_e32 v65, 0xf0f0f0f, v65
	v_dot4c_i32_i8_e32 v71, v63, v101
	v_dot4c_i32_i8_e32 v71, v65, v105
	v_add_u32_e32 v65, 0x3180, v14
	ds_read_b32 v109, v13
	ds_read2_b32 v[110:111], v65 offset1:1
	v_cvt_f32_i32_e32 v63, v71
	v_add_u32_e32 v13, 4, v13
	s_waitcnt lgkmcnt(0)
	v_and_b32_e32 v65, 0xf0f0f0f, v110
	v_lshrrev_b32_e32 v71, 4, v110
	v_and_b32_e32 v71, 0xf0f0f0f, v71
	v_dot4c_i32_i8_e32 v73, v65, v98
	v_dot4c_i32_i8_e32 v73, v71, v102
	v_and_b32_e32 v65, 0xf0f0f0f, v111
	v_dot4c_i32_i8_e32 v73, v65, v99
	v_add_u32_e32 v65, 0x3188, v14
	ds_read2_b32 v[98:99], v65 offset1:1
	v_lshrrev_b32_e32 v71, 4, v111
	v_and_b32_e32 v71, 0xf0f0f0f, v71
	v_dot4c_i32_i8_e32 v73, v71, v103
	v_cvt_f32_i32_e32 v102, v67
	s_waitcnt lgkmcnt(0)
	v_and_b32_e32 v65, 0xf0f0f0f, v98
	v_lshrrev_b32_e32 v71, 4, v98
	v_and_b32_e32 v71, 0xf0f0f0f, v71
	v_dot4c_i32_i8_e32 v73, v65, v100
	v_dot4c_i32_i8_e32 v73, v71, v104
	v_and_b32_e32 v65, 0xf0f0f0f, v99
	v_lshrrev_b32_e32 v71, 4, v99
	v_and_b32_e32 v71, 0xf0f0f0f, v71
	v_dot4c_i32_i8_e32 v73, v65, v101
	v_dot4c_i32_i8_e32 v73, v71, v105
	v_cvt_f32_f16_sdwa v99, v15 dst_sel:DWORD dst_unused:UNUSED_PAD src0_sel:WORD_1
	v_cvt_f32_f16_e32 v98, v15
	v_cvt_f32_i32_e32 v103, v69
	v_cvt_f32_i32_e32 v96, v73
	v_add_u32_e32 v14, 16, v14
	v_pk_mul_f32 v[100:101], v[96:97], v[98:99]
	v_pk_mul_f32 v[98:99], v[98:99], v[102:103] op_sel_hi:[0,1]
	v_sub_f32_e32 v99, v99, v101
	v_sub_f32_e32 v98, v98, v101
	v_fma_mix_f32 v102, v15, v63, -v101 op_sel_hi:[1,0,0]
	v_sub_f32_e32 v103, v100, v101
	v_pk_fma_f32 v[6:7], v[108:109], v[102:103], v[6:7]
	v_pk_fma_f32 v[4:5], v[106:107], v[98:99], v[4:5]
	s_cbranch_scc1 .LBB218_19
; %bb.20:                               ;   in Loop: Header=BB218_5 Depth=1
	s_barrier
	s_branch .LBB218_4
.LBB218_21:
	v_mov_b32_e32 v4, v3
	v_mov_b32_e32 v5, v3
	;; [unrolled: 1-line block ×3, first 2 shown]
	v_mov_b64_e32 v[6:7], v[4:5]
	v_mov_b64_e32 v[4:5], v[2:3]
.LBB218_22:
	s_mul_i32 s0, s10, s7
	s_waitcnt vmcnt(0)
	v_cmp_gt_i32_e32 vcc, s0, v1
	s_and_saveexec_b64 s[0:1], vcc
	s_cbranch_execz .LBB218_31
; %bb.23:
	v_and_b32_e32 v0, 0x3ff, v0
	v_add_u32_e32 v2, s11, v0
	v_mul_lo_u32 v0, v1, s9
	v_cmp_gt_u32_e32 vcc, s9, v2
	s_and_saveexec_b64 s[0:1], vcc
	s_cbranch_execz .LBB218_25
; %bb.24:
	v_bfe_u32 v1, v4, 16, 1
	s_movk_i32 s2, 0x7fff
	v_add3_u32 v1, v4, v1, s2
	v_cmp_o_f32_e32 vcc, v4, v4
	v_mov_b32_e32 v3, 0x7fc0
	v_add_u32_e32 v8, v0, v2
	v_mov_b32_e32 v9, 0
	v_cndmask_b32_sdwa v1, v3, v1, vcc dst_sel:DWORD dst_unused:UNUSED_PAD src0_sel:DWORD src1_sel:WORD_1
	v_lshl_add_u64 v[8:9], v[8:9], 1, s[16:17]
	global_store_short v[8:9], v1, off
.LBB218_25:
	s_or_b64 exec, exec, s[0:1]
	v_add_u32_e32 v1, 32, v2
	v_cmp_gt_u32_e32 vcc, s9, v1
	s_and_saveexec_b64 s[0:1], vcc
	s_cbranch_execz .LBB218_27
; %bb.26:
	v_bfe_u32 v3, v5, 16, 1
	s_movk_i32 s2, 0x7fff
	v_add3_u32 v3, v5, v3, s2
	v_cmp_o_f32_e32 vcc, v5, v5
	v_mov_b32_e32 v4, 0x7fc0
	v_mov_b32_e32 v5, 0
	v_cndmask_b32_sdwa v3, v4, v3, vcc dst_sel:DWORD dst_unused:UNUSED_PAD src0_sel:DWORD src1_sel:WORD_1
	v_add_u32_e32 v4, v0, v1
	v_lshl_add_u64 v[4:5], v[4:5], 1, s[16:17]
	global_store_short v[4:5], v3, off
.LBB218_27:
	s_or_b64 exec, exec, s[0:1]
	v_add_u32_e32 v1, 64, v2
	v_cmp_gt_u32_e32 vcc, s9, v1
	s_and_saveexec_b64 s[0:1], vcc
	s_cbranch_execz .LBB218_29
; %bb.28:
	v_bfe_u32 v3, v6, 16, 1
	s_movk_i32 s2, 0x7fff
	v_add3_u32 v3, v6, v3, s2
	v_cmp_o_f32_e32 vcc, v6, v6
	v_mov_b32_e32 v4, 0x7fc0
	v_mov_b32_e32 v5, 0
	v_cndmask_b32_sdwa v3, v4, v3, vcc dst_sel:DWORD dst_unused:UNUSED_PAD src0_sel:DWORD src1_sel:WORD_1
	v_add_u32_e32 v4, v0, v1
	v_lshl_add_u64 v[4:5], v[4:5], 1, s[16:17]
	global_store_short v[4:5], v3, off
.LBB218_29:
	s_or_b64 exec, exec, s[0:1]
	v_add_u32_e32 v1, 0x60, v2
	v_cmp_gt_u32_e32 vcc, s9, v1
	s_and_b64 exec, exec, vcc
	s_cbranch_execz .LBB218_31
; %bb.30:
	v_bfe_u32 v2, v7, 16, 1
	s_movk_i32 s0, 0x7fff
	v_add3_u32 v2, v7, v2, s0
	v_cmp_o_f32_e32 vcc, v7, v7
	v_mov_b32_e32 v3, 0x7fc0
	v_add_u32_e32 v0, v0, v1
	v_mov_b32_e32 v1, 0
	v_cndmask_b32_sdwa v2, v3, v2, vcc dst_sel:DWORD dst_unused:UNUSED_PAD src0_sel:DWORD src1_sel:WORD_1
	v_lshl_add_u64 v[0:1], v[0:1], 1, s[16:17]
	global_store_short v[0:1], v2, off
.LBB218_31:
	s_endpgm
	.section	.rodata,"a",@progbits
	.p2align	6, 0x0
	.amdhsa_kernel _ZL8moe_q4_0IN3c108BFloat16ELb1EEvPKvS3_PT_PKiS7_S7_iiiiiii
		.amdhsa_group_segment_fixed_size 22272
		.amdhsa_private_segment_fixed_size 0
		.amdhsa_kernarg_size 76
		.amdhsa_user_sgpr_count 2
		.amdhsa_user_sgpr_dispatch_ptr 0
		.amdhsa_user_sgpr_queue_ptr 0
		.amdhsa_user_sgpr_kernarg_segment_ptr 1
		.amdhsa_user_sgpr_dispatch_id 0
		.amdhsa_user_sgpr_kernarg_preload_length 0
		.amdhsa_user_sgpr_kernarg_preload_offset 0
		.amdhsa_user_sgpr_private_segment_size 0
		.amdhsa_uses_dynamic_stack 0
		.amdhsa_enable_private_segment 0
		.amdhsa_system_sgpr_workgroup_id_x 1
		.amdhsa_system_sgpr_workgroup_id_y 1
		.amdhsa_system_sgpr_workgroup_id_z 0
		.amdhsa_system_sgpr_workgroup_info 0
		.amdhsa_system_vgpr_workitem_id 1
		.amdhsa_next_free_vgpr 112
		.amdhsa_next_free_sgpr 75
		.amdhsa_accum_offset 112
		.amdhsa_reserve_vcc 1
		.amdhsa_float_round_mode_32 0
		.amdhsa_float_round_mode_16_64 0
		.amdhsa_float_denorm_mode_32 3
		.amdhsa_float_denorm_mode_16_64 3
		.amdhsa_dx10_clamp 1
		.amdhsa_ieee_mode 1
		.amdhsa_fp16_overflow 0
		.amdhsa_tg_split 0
		.amdhsa_exception_fp_ieee_invalid_op 0
		.amdhsa_exception_fp_denorm_src 0
		.amdhsa_exception_fp_ieee_div_zero 0
		.amdhsa_exception_fp_ieee_overflow 0
		.amdhsa_exception_fp_ieee_underflow 0
		.amdhsa_exception_fp_ieee_inexact 0
		.amdhsa_exception_int_div_zero 0
	.end_amdhsa_kernel
	.section	.text._ZL8moe_q4_0IN3c108BFloat16ELb1EEvPKvS3_PT_PKiS7_S7_iiiiiii,"axG",@progbits,_ZL8moe_q4_0IN3c108BFloat16ELb1EEvPKvS3_PT_PKiS7_S7_iiiiiii,comdat
.Lfunc_end218:
	.size	_ZL8moe_q4_0IN3c108BFloat16ELb1EEvPKvS3_PT_PKiS7_S7_iiiiiii, .Lfunc_end218-_ZL8moe_q4_0IN3c108BFloat16ELb1EEvPKvS3_PT_PKiS7_S7_iiiiiii
                                        ; -- End function
	.set _ZL8moe_q4_0IN3c108BFloat16ELb1EEvPKvS3_PT_PKiS7_S7_iiiiiii.num_vgpr, 112
	.set _ZL8moe_q4_0IN3c108BFloat16ELb1EEvPKvS3_PT_PKiS7_S7_iiiiiii.num_agpr, 0
	.set _ZL8moe_q4_0IN3c108BFloat16ELb1EEvPKvS3_PT_PKiS7_S7_iiiiiii.numbered_sgpr, 23
	.set _ZL8moe_q4_0IN3c108BFloat16ELb1EEvPKvS3_PT_PKiS7_S7_iiiiiii.num_named_barrier, 0
	.set _ZL8moe_q4_0IN3c108BFloat16ELb1EEvPKvS3_PT_PKiS7_S7_iiiiiii.private_seg_size, 0
	.set _ZL8moe_q4_0IN3c108BFloat16ELb1EEvPKvS3_PT_PKiS7_S7_iiiiiii.uses_vcc, 1
	.set _ZL8moe_q4_0IN3c108BFloat16ELb1EEvPKvS3_PT_PKiS7_S7_iiiiiii.uses_flat_scratch, 0
	.set _ZL8moe_q4_0IN3c108BFloat16ELb1EEvPKvS3_PT_PKiS7_S7_iiiiiii.has_dyn_sized_stack, 0
	.set _ZL8moe_q4_0IN3c108BFloat16ELb1EEvPKvS3_PT_PKiS7_S7_iiiiiii.has_recursion, 0
	.set _ZL8moe_q4_0IN3c108BFloat16ELb1EEvPKvS3_PT_PKiS7_S7_iiiiiii.has_indirect_call, 0
	.section	.AMDGPU.csdata,"",@progbits
; Kernel info:
; codeLenInByte = 4396
; TotalNumSgprs: 29
; NumVgprs: 112
; NumAgprs: 0
; TotalNumVgprs: 112
; ScratchSize: 0
; MemoryBound: 0
; FloatMode: 240
; IeeeMode: 1
; LDSByteSize: 22272 bytes/workgroup (compile time only)
; SGPRBlocks: 10
; VGPRBlocks: 13
; NumSGPRsForWavesPerEU: 81
; NumVGPRsForWavesPerEU: 112
; AccumOffset: 112
; Occupancy: 4
; WaveLimiterHint : 1
; COMPUTE_PGM_RSRC2:SCRATCH_EN: 0
; COMPUTE_PGM_RSRC2:USER_SGPR: 2
; COMPUTE_PGM_RSRC2:TRAP_HANDLER: 0
; COMPUTE_PGM_RSRC2:TGID_X_EN: 1
; COMPUTE_PGM_RSRC2:TGID_Y_EN: 1
; COMPUTE_PGM_RSRC2:TGID_Z_EN: 0
; COMPUTE_PGM_RSRC2:TIDIG_COMP_CNT: 1
; COMPUTE_PGM_RSRC3_GFX90A:ACCUM_OFFSET: 27
; COMPUTE_PGM_RSRC3_GFX90A:TG_SPLIT: 0
	.section	.text._ZL8moe_q4_1IN3c108BFloat16ELb0EEvPKvS3_PT_PKiS7_S7_iiiiiii,"axG",@progbits,_ZL8moe_q4_1IN3c108BFloat16ELb0EEvPKvS3_PT_PKiS7_S7_iiiiiii,comdat
	.globl	_ZL8moe_q4_1IN3c108BFloat16ELb0EEvPKvS3_PT_PKiS7_S7_iiiiiii ; -- Begin function _ZL8moe_q4_1IN3c108BFloat16ELb0EEvPKvS3_PT_PKiS7_S7_iiiiiii
	.p2align	8
	.type	_ZL8moe_q4_1IN3c108BFloat16ELb0EEvPKvS3_PT_PKiS7_S7_iiiiiii,@function
_ZL8moe_q4_1IN3c108BFloat16ELb0EEvPKvS3_PT_PKiS7_S7_iiiiiii: ; @_ZL8moe_q4_1IN3c108BFloat16ELb0EEvPKvS3_PT_PKiS7_S7_iiiiiii
; %bb.0:
	s_load_dwordx4 s[4:7], s[0:1], 0x18
	s_mov_b32 s8, s3
	s_mov_b32 s9, 0
	s_lshl_b64 s[10:11], s[8:9], 2
	s_waitcnt lgkmcnt(0)
	s_add_u32 s6, s6, s10
	s_addc_u32 s7, s7, s11
	s_load_dword s3, s[6:7], 0x0
	s_waitcnt lgkmcnt(0)
	s_cmpk_gt_u32 s3, 0xff
	s_cbranch_scc1 .LBB219_31
; %bb.1:
	s_load_dwordx2 s[6:7], s[0:1], 0x28
	s_waitcnt lgkmcnt(0)
	s_load_dword s7, s[6:7], 0x0
	s_lshl_b32 s6, s8, 3
	s_waitcnt lgkmcnt(0)
	s_cmp_gt_u32 s6, s7
	s_cbranch_scc1 .LBB219_31
; %bb.2:
	v_bfe_u32 v4, v0, 10, 10
	v_mov_b32_e32 v6, s4
	v_mov_b32_e32 v7, s5
	v_add_u32_e32 v2, s6, v4
	v_mov_b32_e32 v3, 0
	v_lshl_add_u64 v[6:7], v[2:3], 2, v[6:7]
	global_load_dword v1, v[6:7], off
	s_load_dwordx2 s[14:15], s[0:1], 0x30
	s_load_dwordx2 s[12:13], s[0:1], 0x10
	s_load_dwordx4 s[4:7], s[0:1], 0x3c
	s_lshl_b32 s18, s2, 7
	s_mov_b32 s19, 0
	s_waitcnt lgkmcnt(0)
	s_cmp_lt_i32 s15, 32
	s_cbranch_scc1 .LBB219_21
; %bb.3:
	s_load_dwordx4 s[8:11], s[0:1], 0x0
	s_ashr_i32 s0, s15, 31
	s_ashr_i32 s1, s5, 31
	s_lshr_b32 s0, s0, 27
	s_lshr_b32 s1, s1, 27
	s_add_i32 s0, s15, s0
	s_add_i32 s1, s5, s1
	s_mul_i32 s3, s3, s14
	s_ashr_i32 s20, s0, 5
	s_ashr_i32 s5, s1, 5
	;; [unrolled: 1-line block ×3, first 2 shown]
	s_waitcnt lgkmcnt(0)
	s_add_u32 s2, s8, s3
	s_mul_i32 s3, s20, s18
	s_addc_u32 s1, s9, s1
	s_mul_hi_i32 s8, s3, 20
	s_mul_i32 s3, s3, 20
	v_bfe_u32 v47, v0, 3, 7
	s_add_u32 s14, s2, s3
	v_and_b32_e32 v28, 7, v0
	v_lshl_add_u32 v6, v4, 2, v47
	v_mov_b32_e32 v33, 0x5280
	s_addc_u32 s21, s1, s8
	v_and_b32_e32 v7, 0x1ffc, v6
	v_lshlrev_b32_e32 v8, 2, v28
	s_movk_i32 s1, 0x4200
	v_and_b32_e32 v32, 31, v0
	v_lshl_add_u32 v49, v4, 7, v33
	v_and_b32_e32 v17, 0x3ff, v0
	v_add3_u32 v9, v7, v8, s1
	v_add_u32_e32 v7, 32, v6
	v_lshl_or_b32 v51, v32, 2, v49
	v_mov_b32_e32 v32, 0x5680
	v_lshlrev_b32_e32 v5, 2, v17
	s_movk_i32 s2, 0x84
	v_mul_lo_u32 v30, s20, v6
	v_lshlrev_b32_e32 v10, 5, v6
	v_and_b32_e32 v11, 0x3ffc, v7
	v_lshlrev_b32_e32 v12, 5, v7
	v_add_u32_e32 v7, 64, v6
	v_add_u32_e32 v6, 0x60, v6
	v_lshl_add_u32 v53, v4, 4, v32
	s_abs_i32 s8, s7
	v_and_b32_e32 v2, 12, v5
	v_mad_u32_u24 v19, v4, s2, v5
	v_and_b32_e32 v13, 0x3ffc, v7
	v_lshlrev_b32_e32 v14, 5, v7
	v_and_b32_e32 v7, 0x3ffc, v6
	v_lshlrev_b32_e32 v15, 5, v6
	v_and_b32_e32 v6, 28, v5
	v_add_u32_e32 v55, v53, v5
	v_cvt_f32_u32_e32 v5, s8
	s_and_b32 s16, s0, 0xffffffe0
	s_sub_i32 s0, 0, s8
	s_waitcnt vmcnt(0)
	v_sub_u32_e32 v33, 0, v1
	v_rcp_iflag_f32_e32 v5, v5
	v_max_i32_e32 v33, v1, v33
	v_add3_u32 v11, v11, v8, s1
	v_add3_u32 v13, v13, v8, s1
	v_mul_f32_e32 v5, 0x4f7ffffe, v5
	v_cvt_u32_f32_e32 v5, v5
	v_add3_u32 v8, v7, v8, s1
	v_mul_lo_u32 v16, s20, v4
	s_lshl_b32 s3, s20, 3
	v_mul_lo_u32 v34, s0, v5
	v_mul_hi_u32 v34, v5, v34
	v_add_u32_e32 v5, v5, v34
	v_mul_hi_u32 v5, v33, v5
	v_mul_lo_u32 v34, v5, s8
	v_sub_u32_e32 v33, v33, v34
	v_add_u32_e32 v34, 1, v5
	v_cmp_le_u32_e64 s[0:1], s8, v33
	v_add_u32_e32 v18, s3, v16
	v_xor_b32_e32 v32, s7, v1
	v_cndmask_b32_e64 v5, v5, v34, s[0:1]
	v_subrev_u32_e32 v34, s8, v33
	v_cndmask_b32_e64 v33, v33, v34, s[0:1]
	v_add_u32_e32 v34, 1, v5
	v_cmp_le_u32_e64 s[0:1], s8, v33
	v_add_u32_e32 v20, s3, v18
	v_ashrrev_i32_e32 v32, 31, v32
	v_cndmask_b32_e64 v5, v5, v34, s[0:1]
	v_add_u32_e32 v22, s3, v20
	v_xor_b32_e32 v5, v5, v32
	v_add_u32_e32 v24, s3, v22
	v_mov_b32_e32 v7, v3
	v_add_u32_e32 v4, 32, v17
	v_add_u32_e32 v36, 64, v17
	v_add_u32_e32 v38, 0x60, v17
	v_sub_u32_e32 v5, v5, v32
	v_add_u32_e32 v26, s3, v24
	v_lshrrev_b32_e32 v59, 3, v4
	v_cmp_gt_i32_e64 s[0:1], s4, v5
	v_mul_lo_u32 v32, v5, s5
	v_lshl_add_u64 v[34:35], s[10:11], 0, v[6:7]
	v_lshlrev_b32_e32 v5, 5, v17
	v_and_b32_e32 v6, 0x1fc, v38
	v_and_b32_e32 v7, 0x1fc, v36
	;; [unrolled: 1-line block ×4, first 2 shown]
	v_add_u32_e32 v6, v5, v6
	v_add_u32_e32 v7, v5, v7
	v_add_u32_e32 v4, v5, v4
	v_add_u32_e32 v5, v5, v36
	v_add_u32_e32 v36, s3, v26
	v_add_u32_e32 v38, s3, v36
	v_add_u32_e32 v40, s3, v38
	v_add_u32_e32 v42, s3, v40
	v_add_u32_e32 v44, s3, v42
	v_add_u32_e32 v46, s3, v44
	v_add_u32_e32 v48, s3, v46
	v_add_u32_e32 v50, s3, v48
	v_add_u32_e32 v56, s16, v30
	v_cmp_gt_u32_e32 vcc, 4, v17
	v_add_u32_e32 v52, s3, v50
	v_add_u32_e32 v58, s16, v56
	;; [unrolled: 1-line block ×13, first 2 shown]
	v_mul_u32_u24_e32 v57, 0x84, v17
	s_and_b64 s[8:9], vcc, s[0:1]
	v_ashrrev_i32_e32 v33, 31, v32
	v_add_u32_e32 v61, 0x4e00, v6
	v_add_u32_e32 v64, 0x4a00, v7
	;; [unrolled: 1-line block ×12, first 2 shown]
	v_mov_b32_e32 v4, v3
	v_mov_b32_e32 v5, v3
	;; [unrolled: 1-line block ×4, first 2 shown]
	v_mad_u32_u24 v75, v17, s2, 64
	v_add_u32_e32 v54, s3, v52
	v_add_u32_e32 v60, s16, v58
	s_branch .LBB219_5
.LBB219_4:                              ;   in Loop: Header=BB219_5 Depth=1
	s_add_i32 s19, s19, 8
	s_cmp_ge_i32 s19, s20
	s_cbranch_scc1 .LBB219_22
.LBB219_5:                              ; =>This Loop Header: Depth=1
                                        ;     Child Loop BB219_11 Depth 2
                                        ;     Child Loop BB219_19 Depth 2
	s_mul_i32 s2, s19, 20
	s_mul_hi_u32 s3, s19, 20
	s_add_u32 s2, s14, s2
	s_addc_u32 s3, s21, s3
	v_bfe_u32 v8, v0, 2, 8
	v_mad_u64_u32 v[8:9], s[16:17], v8, 20, s[2:3]
	v_mad_u64_u32 v[10:11], s[16:17], v16, 20, v[8:9]
	;; [unrolled: 1-line block ×8, first 2 shown]
	v_lshl_add_u64 v[10:11], v[10:11], 0, v[2:3]
	v_lshl_add_u64 v[12:13], v[12:13], 0, v[2:3]
	;; [unrolled: 1-line block ×7, first 2 shown]
	v_mad_u64_u32 v[82:83], s[16:17], v38, 20, v[8:9]
	v_lshl_add_u64 v[82:83], v[82:83], 0, v[2:3]
	global_load_dword v84, v[10:11], off offset:4
	global_load_dword v85, v[12:13], off offset:4
	;; [unrolled: 1-line block ×8, first 2 shown]
	v_mad_u64_u32 v[10:11], s[16:17], v40, 20, v[8:9]
	v_mad_u64_u32 v[12:13], s[16:17], v42, 20, v[8:9]
	;; [unrolled: 1-line block ×8, first 2 shown]
	v_lshl_add_u64 v[10:11], v[10:11], 0, v[2:3]
	v_lshl_add_u64 v[8:9], v[8:9], 0, v[2:3]
	;; [unrolled: 1-line block ×8, first 2 shown]
	global_load_dword v82, v[10:11], off offset:4
	global_load_dword v83, v[12:13], off offset:4
	;; [unrolled: 1-line block ×8, first 2 shown]
	v_mad_u64_u32 v[8:9], s[2:3], v28, 20, s[2:3]
	v_mad_u64_u32 v[10:11], s[2:3], v30, 20, v[8:9]
	v_mad_u64_u32 v[12:13], s[2:3], v56, 20, v[8:9]
	v_mad_u64_u32 v[14:15], s[2:3], v58, 20, v[8:9]
	v_mad_u64_u32 v[8:9], s[2:3], v60, 20, v[8:9]
	global_load_dword v62, v[10:11], off
	global_load_dword v63, v[12:13], off
	;; [unrolled: 1-line block ×3, first 2 shown]
	s_lshl_b32 s16, s19, 5
	global_load_dword v8, v[8:9], off
	v_add_u32_e32 v9, 0x420, v19
	s_cmp_lt_i32 s16, s15
	s_waitcnt vmcnt(19)
	ds_write_b32 v19, v84
	s_waitcnt vmcnt(18)
	ds_write_b32 v9, v85
	v_add_u32_e32 v9, 0x840, v19
	s_waitcnt vmcnt(17)
	ds_write_b32 v9, v86
	v_add_u32_e32 v9, 0xc60, v19
	s_waitcnt vmcnt(16)
	ds_write_b32 v9, v87
	v_add_u32_e32 v9, 0x1080, v19
	s_waitcnt vmcnt(15)
	ds_write_b32 v9, v88
	s_waitcnt vmcnt(14)
	ds_write_b32 v21, v89
	s_waitcnt vmcnt(13)
	ds_write_b32 v23, v90
	s_waitcnt vmcnt(12)
	ds_write_b32 v25, v91
	s_waitcnt vmcnt(11)
	ds_write_b32 v27, v82
	s_waitcnt vmcnt(10)
	ds_write_b32 v29, v83
	s_waitcnt vmcnt(9)
	ds_write_b32 v31, v92
	s_waitcnt vmcnt(8)
	ds_write_b32 v37, v93
	s_waitcnt vmcnt(7)
	ds_write_b32 v39, v94
	s_waitcnt vmcnt(6)
	ds_write_b32 v41, v95
	s_waitcnt vmcnt(5)
	ds_write_b32 v43, v96
	s_waitcnt vmcnt(4)
	ds_write_b32 v45, v97
	s_waitcnt vmcnt(3)
	ds_write_b32 v71, v62
	s_waitcnt vmcnt(2)
	ds_write_b32 v72, v63
	s_waitcnt vmcnt(1)
	ds_write_b32 v73, v76
	s_waitcnt vmcnt(0)
	ds_write_b32 v74, v8
	s_cbranch_scc0 .LBB219_4
; %bb.6:                                ;   in Loop: Header=BB219_5 Depth=1
	v_add_u32_e32 v8, s19, v47
	v_cmp_gt_i32_e64 s[2:3], s5, v8
	s_and_b64 s[22:23], s[0:1], s[2:3]
	s_and_saveexec_b64 s[2:3], s[22:23]
	s_cbranch_execz .LBB219_8
; %bb.7:                                ;   in Loop: Header=BB219_5 Depth=1
	v_add_u32_e32 v8, v32, v8
	v_mad_i64_i32 v[8:9], s[22:23], v8, 36, v[34:35]
	global_load_dword v8, v[8:9], off offset:4
	s_waitcnt vmcnt(0)
	ds_write_b32 v51, v8
.LBB219_8:                              ;   in Loop: Header=BB219_5 Depth=1
	s_or_b64 exec, exec, s[2:3]
	v_add_u32_e32 v62, s19, v17
	v_cmp_gt_i32_e64 s[2:3], s5, v62
	s_and_b64 s[22:23], s[8:9], s[2:3]
	s_and_saveexec_b64 s[2:3], s[22:23]
	s_cbranch_execz .LBB219_10
; %bb.9:                                ;   in Loop: Header=BB219_5 Depth=1
	v_add_u32_e32 v8, v32, v62
	v_mad_i64_i32 v[8:9], s[22:23], v8, 36, s[10:11]
	global_load_dword v8, v[8:9], off
	s_waitcnt vmcnt(0)
	ds_write_b32 v55, v8
.LBB219_10:                             ;   in Loop: Header=BB219_5 Depth=1
	s_or_b64 exec, exec, s[2:3]
	s_mov_b32 s2, -4
	v_mov_b32_e32 v63, v49
	v_mov_b32_e32 v76, v53
	;; [unrolled: 1-line block ×7, first 2 shown]
	s_waitcnt lgkmcnt(0)
	s_barrier
.LBB219_11:                             ;   Parent Loop BB219_5 Depth=1
                                        ; =>  This Inner Loop Header: Depth=2
	ds_read_b128 v[8:11], v63
	ds_read_b128 v[12:15], v63 offset:16
	ds_read_b32 v88, v76
	ds_read_b32 v84, v77
	ds_read2_b32 v[82:83], v81 offset1:1
	v_mov_b32_e32 v89, 0
	v_mov_b32_e32 v90, 0
	;; [unrolled: 1-line block ×4, first 2 shown]
	s_waitcnt lgkmcnt(0)
	v_and_b32_e32 v85, 0xf0f0f0f, v82
	v_lshrrev_b32_e32 v82, 4, v82
	v_and_b32_e32 v82, 0xf0f0f0f, v82
	v_dot4c_i32_i8_e32 v89, v85, v8
	v_dot4c_i32_i8_e32 v89, v82, v12
	v_and_b32_e32 v82, 0xf0f0f0f, v83
	v_lshrrev_b32_e32 v83, 4, v83
	v_and_b32_e32 v83, 0xf0f0f0f, v83
	v_dot4c_i32_i8_e32 v89, v82, v9
	v_dot4c_i32_i8_e32 v89, v83, v13
	ds_read2_b32 v[82:83], v81 offset0:2 offset1:3
	v_pk_mul_f16 v84, v88, v84
	s_add_i32 s2, s2, 4
	v_add_u32_e32 v77, 4, v77
	v_add_u32_e32 v76, 4, v76
	s_waitcnt lgkmcnt(0)
	v_and_b32_e32 v85, 0xf0f0f0f, v82
	v_lshrrev_b32_e32 v82, 4, v82
	v_and_b32_e32 v82, 0xf0f0f0f, v82
	v_dot4c_i32_i8_e32 v89, v85, v10
	v_dot4c_i32_i8_e32 v89, v82, v14
	v_and_b32_e32 v82, 0xf0f0f0f, v83
	v_lshrrev_b32_e32 v83, 4, v83
	v_and_b32_e32 v83, 0xf0f0f0f, v83
	v_dot4c_i32_i8_e32 v89, v82, v11
	v_add_u32_e32 v82, 0x1080, v81
	v_dot4c_i32_i8_e32 v89, v83, v15
	ds_read_b32 v85, v78
	ds_read2_b32 v[82:83], v82 offset1:1
	v_add_u32_e32 v78, 4, v78
	v_add_u32_e32 v63, 32, v63
	s_cmp_lt_u32 s2, 12
	s_waitcnt lgkmcnt(1)
	v_pk_mul_f16 v85, v88, v85
	s_waitcnt lgkmcnt(0)
	v_and_b32_e32 v86, 0xf0f0f0f, v82
	v_lshrrev_b32_e32 v82, 4, v82
	v_and_b32_e32 v82, 0xf0f0f0f, v82
	v_dot4c_i32_i8_e32 v90, v86, v8
	v_dot4c_i32_i8_e32 v90, v82, v12
	v_and_b32_e32 v82, 0xf0f0f0f, v83
	v_lshrrev_b32_e32 v83, 4, v83
	v_and_b32_e32 v83, 0xf0f0f0f, v83
	v_dot4c_i32_i8_e32 v90, v82, v9
	v_add_u32_e32 v82, 0x1088, v81
	v_dot4c_i32_i8_e32 v90, v83, v13
	ds_read2_b32 v[82:83], v82 offset1:1
	s_waitcnt lgkmcnt(0)
	v_and_b32_e32 v86, 0xf0f0f0f, v82
	v_dot4c_i32_i8_e32 v90, v86, v10
	v_add_u32_e32 v86, 0x2100, v81
	ds_read_b32 v91, v79
	ds_read2_b32 v[86:87], v86 offset1:1
	v_lshrrev_b32_e32 v82, 4, v82
	v_and_b32_e32 v82, 0xf0f0f0f, v82
	v_dot4c_i32_i8_e32 v90, v82, v14
	v_and_b32_e32 v82, 0xf0f0f0f, v83
	s_waitcnt lgkmcnt(0)
	v_and_b32_e32 v92, 0xf0f0f0f, v86
	v_lshrrev_b32_e32 v86, 4, v86
	v_and_b32_e32 v86, 0xf0f0f0f, v86
	v_dot4c_i32_i8_e32 v93, v92, v8
	v_dot4c_i32_i8_e32 v93, v86, v12
	v_and_b32_e32 v86, 0xf0f0f0f, v87
	v_lshrrev_b32_e32 v87, 4, v87
	v_and_b32_e32 v87, 0xf0f0f0f, v87
	v_dot4c_i32_i8_e32 v93, v86, v9
	v_add_u32_e32 v86, 0x2108, v81
	v_dot4c_i32_i8_e32 v93, v87, v13
	ds_read2_b32 v[86:87], v86 offset1:1
	v_lshrrev_b32_e32 v83, 4, v83
	v_and_b32_e32 v83, 0xf0f0f0f, v83
	v_dot4c_i32_i8_e32 v90, v82, v11
	v_dot4c_i32_i8_e32 v90, v83, v15
	s_waitcnt lgkmcnt(0)
	v_and_b32_e32 v92, 0xf0f0f0f, v86
	v_lshrrev_b32_e32 v86, 4, v86
	v_and_b32_e32 v86, 0xf0f0f0f, v86
	v_dot4c_i32_i8_e32 v93, v92, v10
	v_dot4c_i32_i8_e32 v93, v86, v14
	v_and_b32_e32 v86, 0xf0f0f0f, v87
	v_lshrrev_b32_e32 v87, 4, v87
	v_and_b32_e32 v87, 0xf0f0f0f, v87
	v_dot4c_i32_i8_e32 v93, v86, v11
	v_add_u32_e32 v86, 0x3180, v81
	v_dot4c_i32_i8_e32 v93, v87, v15
	ds_read_b32 v92, v80
	ds_read2_b32 v[86:87], v86 offset1:1
	v_pk_mul_f16 v91, v88, v91
	v_cvt_f32_f16_e32 v83, v85
	v_cvt_f32_f16_e32 v82, v84
	v_cvt_f32_f16_sdwa v85, v85 dst_sel:DWORD dst_unused:UNUSED_PAD src0_sel:WORD_1
	s_waitcnt lgkmcnt(0)
	v_and_b32_e32 v94, 0xf0f0f0f, v86
	v_lshrrev_b32_e32 v86, 4, v86
	v_and_b32_e32 v86, 0xf0f0f0f, v86
	v_dot4c_i32_i8_e32 v95, v94, v8
	v_dot4c_i32_i8_e32 v95, v86, v12
	v_and_b32_e32 v8, 0xf0f0f0f, v87
	v_dot4c_i32_i8_e32 v95, v8, v9
	v_add_u32_e32 v8, 0x3188, v81
	ds_read2_b32 v[8:9], v8 offset1:1
	v_lshrrev_b32_e32 v12, 4, v87
	v_and_b32_e32 v12, 0xf0f0f0f, v12
	v_dot4c_i32_i8_e32 v95, v12, v13
	v_cvt_f32_f16_sdwa v84, v84 dst_sel:DWORD dst_unused:UNUSED_PAD src0_sel:WORD_1
	s_waitcnt lgkmcnt(0)
	v_and_b32_e32 v12, 0xf0f0f0f, v8
	v_lshrrev_b32_e32 v8, 4, v8
	v_and_b32_e32 v8, 0xf0f0f0f, v8
	v_dot4c_i32_i8_e32 v95, v12, v10
	v_dot4c_i32_i8_e32 v95, v8, v14
	v_and_b32_e32 v8, 0xf0f0f0f, v9
	v_lshrrev_b32_e32 v9, 4, v9
	v_and_b32_e32 v9, 0xf0f0f0f, v9
	v_dot4c_i32_i8_e32 v95, v8, v11
	v_dot4c_i32_i8_e32 v95, v9, v15
	v_pk_mul_f16 v10, v88, v92
	v_cvt_f32_f16_e32 v8, v91
	v_cvt_f32_f16_e32 v9, v10
	v_cvt_f32_f16_sdwa v11, v10 dst_sel:DWORD dst_unused:UNUSED_PAD src0_sel:WORD_1
	v_cvt_f32_f16_sdwa v10, v91 dst_sel:DWORD dst_unused:UNUSED_PAD src0_sel:WORD_1
	v_cvt_f32_i32_e32 v13, v95
	v_cvt_f32_i32_e32 v12, v93
	;; [unrolled: 1-line block ×4, first 2 shown]
	v_add_u32_e32 v81, 16, v81
	v_pk_fma_f32 v[8:9], v[8:9], v[12:13], v[10:11]
	v_add_u32_e32 v80, 4, v80
	v_pk_fma_f32 v[14:15], v[82:83], v[14:15], v[84:85]
	v_pk_add_f32 v[6:7], v[6:7], v[8:9]
	v_pk_add_f32 v[4:5], v[4:5], v[14:15]
	v_add_u32_e32 v79, 4, v79
	s_cbranch_scc1 .LBB219_11
; %bb.12:                               ;   in Loop: Header=BB219_5 Depth=1
	s_bitset1_b32 s16, 7
	s_cmp_ge_i32 s16, s15
	s_barrier
	s_cbranch_scc1 .LBB219_4
; %bb.13:                               ;   in Loop: Header=BB219_5 Depth=1
	v_add_u32_e32 v8, s19, v59
	v_cmp_gt_i32_e64 s[2:3], s5, v8
	s_and_b64 s[16:17], s[0:1], s[2:3]
	s_and_saveexec_b64 s[2:3], s[16:17]
	s_cbranch_execz .LBB219_15
; %bb.14:                               ;   in Loop: Header=BB219_5 Depth=1
	v_add_u32_e32 v8, v32, v8
	v_mad_i64_i32 v[8:9], s[16:17], v8, 36, v[34:35]
	global_load_dword v8, v[8:9], off offset:4
	s_waitcnt vmcnt(0)
	ds_write_b32 v51, v8
.LBB219_15:                             ;   in Loop: Header=BB219_5 Depth=1
	s_or_b64 exec, exec, s[2:3]
	s_and_saveexec_b64 s[16:17], vcc
	s_cbranch_execz .LBB219_18
; %bb.16:                               ;   in Loop: Header=BB219_5 Depth=1
	v_or_b32_e32 v8, 4, v62
	v_cmp_gt_i32_e64 s[2:3], s5, v8
	s_and_b64 s[2:3], s[0:1], s[2:3]
	s_and_b64 exec, exec, s[2:3]
	s_cbranch_execz .LBB219_18
; %bb.17:                               ;   in Loop: Header=BB219_5 Depth=1
	v_ashrrev_i32_e32 v63, 31, v62
	v_lshl_add_u64 v[8:9], v[32:33], 0, v[62:63]
	v_mad_u64_u32 v[10:11], s[2:3], v8, 36, s[10:11]
	v_mad_i32_i24 v11, v9, 36, v11
	global_load_dword v8, v[10:11], off offset:144
	s_waitcnt vmcnt(0)
	ds_write_b32 v55, v8
.LBB219_18:                             ;   in Loop: Header=BB219_5 Depth=1
	s_or_b64 exec, exec, s[16:17]
	s_mov_b32 s2, 12
	v_mov_b32_e32 v62, v53
	v_mov_b32_e32 v63, v49
	;; [unrolled: 1-line block ×7, first 2 shown]
	s_waitcnt lgkmcnt(0)
	s_barrier
.LBB219_19:                             ;   Parent Loop BB219_5 Depth=1
                                        ; =>  This Inner Loop Header: Depth=2
	ds_read_b128 v[8:11], v63
	ds_read_b128 v[12:15], v63 offset:16
	ds_read_b32 v81, v62
	ds_read_b32 v84, v76
	ds_read2_b32 v[82:83], v80 offset1:1
	v_mov_b32_e32 v88, 0
	v_mov_b32_e32 v89, 0
	;; [unrolled: 1-line block ×4, first 2 shown]
	s_waitcnt lgkmcnt(0)
	v_and_b32_e32 v85, 0xf0f0f0f, v82
	v_lshrrev_b32_e32 v82, 4, v82
	v_and_b32_e32 v82, 0xf0f0f0f, v82
	v_dot4c_i32_i8_e32 v88, v85, v8
	v_dot4c_i32_i8_e32 v88, v82, v12
	v_and_b32_e32 v82, 0xf0f0f0f, v83
	v_lshrrev_b32_e32 v83, 4, v83
	v_and_b32_e32 v83, 0xf0f0f0f, v83
	v_dot4c_i32_i8_e32 v88, v82, v9
	v_dot4c_i32_i8_e32 v88, v83, v13
	ds_read2_b32 v[82:83], v80 offset0:2 offset1:3
	v_pk_mul_f16 v84, v81, v84
	s_add_i32 s2, s2, 4
	v_add_u32_e32 v76, 4, v76
	v_add_u32_e32 v63, 32, v63
	s_waitcnt lgkmcnt(0)
	v_and_b32_e32 v85, 0xf0f0f0f, v82
	v_lshrrev_b32_e32 v82, 4, v82
	v_and_b32_e32 v82, 0xf0f0f0f, v82
	v_dot4c_i32_i8_e32 v88, v85, v10
	v_dot4c_i32_i8_e32 v88, v82, v14
	v_and_b32_e32 v82, 0xf0f0f0f, v83
	v_lshrrev_b32_e32 v83, 4, v83
	v_and_b32_e32 v83, 0xf0f0f0f, v83
	v_dot4c_i32_i8_e32 v88, v82, v11
	v_add_u32_e32 v82, 0x1080, v80
	v_dot4c_i32_i8_e32 v88, v83, v15
	ds_read_b32 v85, v77
	ds_read2_b32 v[82:83], v82 offset1:1
	v_add_u32_e32 v77, 4, v77
	v_add_u32_e32 v62, 4, v62
	s_cmp_lt_u32 s2, 28
	s_waitcnt lgkmcnt(1)
	v_pk_mul_f16 v85, v81, v85
	s_waitcnt lgkmcnt(0)
	v_and_b32_e32 v86, 0xf0f0f0f, v82
	v_lshrrev_b32_e32 v82, 4, v82
	v_and_b32_e32 v82, 0xf0f0f0f, v82
	v_dot4c_i32_i8_e32 v89, v86, v8
	v_dot4c_i32_i8_e32 v89, v82, v12
	v_and_b32_e32 v82, 0xf0f0f0f, v83
	v_lshrrev_b32_e32 v83, 4, v83
	v_and_b32_e32 v83, 0xf0f0f0f, v83
	v_dot4c_i32_i8_e32 v89, v82, v9
	v_add_u32_e32 v82, 0x1088, v80
	v_dot4c_i32_i8_e32 v89, v83, v13
	ds_read2_b32 v[82:83], v82 offset1:1
	s_waitcnt lgkmcnt(0)
	v_and_b32_e32 v86, 0xf0f0f0f, v82
	v_dot4c_i32_i8_e32 v89, v86, v10
	v_add_u32_e32 v86, 0x2100, v80
	ds_read_b32 v90, v78
	ds_read2_b32 v[86:87], v86 offset1:1
	v_lshrrev_b32_e32 v82, 4, v82
	v_and_b32_e32 v82, 0xf0f0f0f, v82
	v_dot4c_i32_i8_e32 v89, v82, v14
	v_and_b32_e32 v82, 0xf0f0f0f, v83
	s_waitcnt lgkmcnt(0)
	v_and_b32_e32 v91, 0xf0f0f0f, v86
	v_lshrrev_b32_e32 v86, 4, v86
	v_and_b32_e32 v86, 0xf0f0f0f, v86
	v_dot4c_i32_i8_e32 v92, v91, v8
	v_dot4c_i32_i8_e32 v92, v86, v12
	v_and_b32_e32 v86, 0xf0f0f0f, v87
	v_lshrrev_b32_e32 v87, 4, v87
	v_and_b32_e32 v87, 0xf0f0f0f, v87
	v_dot4c_i32_i8_e32 v92, v86, v9
	v_add_u32_e32 v86, 0x2108, v80
	v_dot4c_i32_i8_e32 v92, v87, v13
	ds_read2_b32 v[86:87], v86 offset1:1
	v_lshrrev_b32_e32 v83, 4, v83
	v_and_b32_e32 v83, 0xf0f0f0f, v83
	v_dot4c_i32_i8_e32 v89, v82, v11
	v_dot4c_i32_i8_e32 v89, v83, v15
	s_waitcnt lgkmcnt(0)
	v_and_b32_e32 v91, 0xf0f0f0f, v86
	v_lshrrev_b32_e32 v86, 4, v86
	v_and_b32_e32 v86, 0xf0f0f0f, v86
	v_dot4c_i32_i8_e32 v92, v91, v10
	v_dot4c_i32_i8_e32 v92, v86, v14
	v_and_b32_e32 v86, 0xf0f0f0f, v87
	v_lshrrev_b32_e32 v87, 4, v87
	v_and_b32_e32 v87, 0xf0f0f0f, v87
	v_dot4c_i32_i8_e32 v92, v86, v11
	v_add_u32_e32 v86, 0x3180, v80
	v_dot4c_i32_i8_e32 v92, v87, v15
	ds_read_b32 v91, v79
	ds_read2_b32 v[86:87], v86 offset1:1
	v_pk_mul_f16 v90, v81, v90
	v_cvt_f32_f16_e32 v83, v85
	v_cvt_f32_f16_e32 v82, v84
	v_cvt_f32_f16_sdwa v85, v85 dst_sel:DWORD dst_unused:UNUSED_PAD src0_sel:WORD_1
	s_waitcnt lgkmcnt(0)
	v_and_b32_e32 v93, 0xf0f0f0f, v86
	v_lshrrev_b32_e32 v86, 4, v86
	v_and_b32_e32 v86, 0xf0f0f0f, v86
	v_dot4c_i32_i8_e32 v94, v93, v8
	v_dot4c_i32_i8_e32 v94, v86, v12
	v_and_b32_e32 v8, 0xf0f0f0f, v87
	v_dot4c_i32_i8_e32 v94, v8, v9
	v_add_u32_e32 v8, 0x3188, v80
	ds_read2_b32 v[8:9], v8 offset1:1
	v_lshrrev_b32_e32 v12, 4, v87
	v_and_b32_e32 v12, 0xf0f0f0f, v12
	v_dot4c_i32_i8_e32 v94, v12, v13
	v_cvt_f32_f16_sdwa v84, v84 dst_sel:DWORD dst_unused:UNUSED_PAD src0_sel:WORD_1
	s_waitcnt lgkmcnt(0)
	v_and_b32_e32 v12, 0xf0f0f0f, v8
	v_lshrrev_b32_e32 v8, 4, v8
	v_and_b32_e32 v8, 0xf0f0f0f, v8
	v_dot4c_i32_i8_e32 v94, v12, v10
	v_dot4c_i32_i8_e32 v94, v8, v14
	v_and_b32_e32 v8, 0xf0f0f0f, v9
	v_lshrrev_b32_e32 v9, 4, v9
	v_and_b32_e32 v9, 0xf0f0f0f, v9
	v_dot4c_i32_i8_e32 v94, v8, v11
	v_dot4c_i32_i8_e32 v94, v9, v15
	v_pk_mul_f16 v10, v81, v91
	v_cvt_f32_f16_e32 v8, v90
	v_cvt_f32_f16_e32 v9, v10
	v_cvt_f32_f16_sdwa v11, v10 dst_sel:DWORD dst_unused:UNUSED_PAD src0_sel:WORD_1
	v_cvt_f32_f16_sdwa v10, v90 dst_sel:DWORD dst_unused:UNUSED_PAD src0_sel:WORD_1
	v_cvt_f32_i32_e32 v13, v94
	v_cvt_f32_i32_e32 v12, v92
	v_cvt_f32_i32_e32 v14, v88
	v_cvt_f32_i32_e32 v15, v89
	v_add_u32_e32 v80, 16, v80
	v_pk_fma_f32 v[8:9], v[8:9], v[12:13], v[10:11]
	v_add_u32_e32 v79, 4, v79
	v_pk_fma_f32 v[14:15], v[82:83], v[14:15], v[84:85]
	v_pk_add_f32 v[6:7], v[6:7], v[8:9]
	v_pk_add_f32 v[4:5], v[4:5], v[14:15]
	v_add_u32_e32 v78, 4, v78
	s_cbranch_scc1 .LBB219_19
; %bb.20:                               ;   in Loop: Header=BB219_5 Depth=1
	s_barrier
	s_branch .LBB219_4
.LBB219_21:
	v_mov_b32_e32 v4, v3
	v_mov_b32_e32 v5, v3
	;; [unrolled: 1-line block ×3, first 2 shown]
	v_mov_b64_e32 v[6:7], v[4:5]
	v_mov_b64_e32 v[4:5], v[2:3]
.LBB219_22:
	s_mul_i32 s0, s7, s4
	s_waitcnt vmcnt(0)
	v_cmp_gt_i32_e32 vcc, s0, v1
	s_and_saveexec_b64 s[0:1], vcc
	s_cbranch_execz .LBB219_31
; %bb.23:
	v_and_b32_e32 v0, 0x3ff, v0
	v_add_u32_e32 v2, s18, v0
	v_mul_lo_u32 v0, v1, s6
	v_cmp_gt_u32_e32 vcc, s6, v2
	s_and_saveexec_b64 s[0:1], vcc
	s_cbranch_execz .LBB219_25
; %bb.24:
	v_bfe_u32 v1, v4, 16, 1
	s_movk_i32 s2, 0x7fff
	v_add3_u32 v1, v4, v1, s2
	v_cmp_o_f32_e32 vcc, v4, v4
	v_mov_b32_e32 v3, 0x7fc0
	v_add_u32_e32 v8, v0, v2
	v_mov_b32_e32 v9, 0
	v_cndmask_b32_sdwa v1, v3, v1, vcc dst_sel:DWORD dst_unused:UNUSED_PAD src0_sel:DWORD src1_sel:WORD_1
	v_lshl_add_u64 v[8:9], v[8:9], 1, s[12:13]
	global_store_short v[8:9], v1, off
.LBB219_25:
	s_or_b64 exec, exec, s[0:1]
	v_add_u32_e32 v1, 32, v2
	v_cmp_gt_u32_e32 vcc, s6, v1
	s_and_saveexec_b64 s[0:1], vcc
	s_cbranch_execz .LBB219_27
; %bb.26:
	v_bfe_u32 v3, v5, 16, 1
	s_movk_i32 s2, 0x7fff
	v_add3_u32 v3, v5, v3, s2
	v_cmp_o_f32_e32 vcc, v5, v5
	v_mov_b32_e32 v4, 0x7fc0
	v_mov_b32_e32 v5, 0
	v_cndmask_b32_sdwa v3, v4, v3, vcc dst_sel:DWORD dst_unused:UNUSED_PAD src0_sel:DWORD src1_sel:WORD_1
	v_add_u32_e32 v4, v0, v1
	v_lshl_add_u64 v[4:5], v[4:5], 1, s[12:13]
	global_store_short v[4:5], v3, off
.LBB219_27:
	s_or_b64 exec, exec, s[0:1]
	v_add_u32_e32 v1, 64, v2
	v_cmp_gt_u32_e32 vcc, s6, v1
	s_and_saveexec_b64 s[0:1], vcc
	s_cbranch_execz .LBB219_29
; %bb.28:
	v_bfe_u32 v3, v6, 16, 1
	s_movk_i32 s2, 0x7fff
	v_add3_u32 v3, v6, v3, s2
	v_cmp_o_f32_e32 vcc, v6, v6
	v_mov_b32_e32 v4, 0x7fc0
	v_mov_b32_e32 v5, 0
	v_cndmask_b32_sdwa v3, v4, v3, vcc dst_sel:DWORD dst_unused:UNUSED_PAD src0_sel:DWORD src1_sel:WORD_1
	v_add_u32_e32 v4, v0, v1
	v_lshl_add_u64 v[4:5], v[4:5], 1, s[12:13]
	global_store_short v[4:5], v3, off
.LBB219_29:
	s_or_b64 exec, exec, s[0:1]
	v_add_u32_e32 v1, 0x60, v2
	v_cmp_gt_u32_e32 vcc, s6, v1
	s_and_b64 exec, exec, vcc
	s_cbranch_execz .LBB219_31
; %bb.30:
	v_bfe_u32 v2, v7, 16, 1
	s_movk_i32 s0, 0x7fff
	v_add3_u32 v2, v7, v2, s0
	v_cmp_o_f32_e32 vcc, v7, v7
	v_mov_b32_e32 v3, 0x7fc0
	v_add_u32_e32 v0, v0, v1
	v_mov_b32_e32 v1, 0
	v_cndmask_b32_sdwa v2, v3, v2, vcc dst_sel:DWORD dst_unused:UNUSED_PAD src0_sel:DWORD src1_sel:WORD_1
	v_lshl_add_u64 v[0:1], v[0:1], 1, s[12:13]
	global_store_short v[0:1], v2, off
.LBB219_31:
	s_endpgm
	.section	.rodata,"a",@progbits
	.p2align	6, 0x0
	.amdhsa_kernel _ZL8moe_q4_1IN3c108BFloat16ELb0EEvPKvS3_PT_PKiS7_S7_iiiiiii
		.amdhsa_group_segment_fixed_size 22272
		.amdhsa_private_segment_fixed_size 0
		.amdhsa_kernarg_size 76
		.amdhsa_user_sgpr_count 2
		.amdhsa_user_sgpr_dispatch_ptr 0
		.amdhsa_user_sgpr_queue_ptr 0
		.amdhsa_user_sgpr_kernarg_segment_ptr 1
		.amdhsa_user_sgpr_dispatch_id 0
		.amdhsa_user_sgpr_kernarg_preload_length 0
		.amdhsa_user_sgpr_kernarg_preload_offset 0
		.amdhsa_user_sgpr_private_segment_size 0
		.amdhsa_uses_dynamic_stack 0
		.amdhsa_enable_private_segment 0
		.amdhsa_system_sgpr_workgroup_id_x 1
		.amdhsa_system_sgpr_workgroup_id_y 1
		.amdhsa_system_sgpr_workgroup_id_z 0
		.amdhsa_system_sgpr_workgroup_info 0
		.amdhsa_system_vgpr_workitem_id 1
		.amdhsa_next_free_vgpr 98
		.amdhsa_next_free_sgpr 75
		.amdhsa_accum_offset 100
		.amdhsa_reserve_vcc 1
		.amdhsa_float_round_mode_32 0
		.amdhsa_float_round_mode_16_64 0
		.amdhsa_float_denorm_mode_32 3
		.amdhsa_float_denorm_mode_16_64 3
		.amdhsa_dx10_clamp 1
		.amdhsa_ieee_mode 1
		.amdhsa_fp16_overflow 0
		.amdhsa_tg_split 0
		.amdhsa_exception_fp_ieee_invalid_op 0
		.amdhsa_exception_fp_denorm_src 0
		.amdhsa_exception_fp_ieee_div_zero 0
		.amdhsa_exception_fp_ieee_overflow 0
		.amdhsa_exception_fp_ieee_underflow 0
		.amdhsa_exception_fp_ieee_inexact 0
		.amdhsa_exception_int_div_zero 0
	.end_amdhsa_kernel
	.section	.text._ZL8moe_q4_1IN3c108BFloat16ELb0EEvPKvS3_PT_PKiS7_S7_iiiiiii,"axG",@progbits,_ZL8moe_q4_1IN3c108BFloat16ELb0EEvPKvS3_PT_PKiS7_S7_iiiiiii,comdat
.Lfunc_end219:
	.size	_ZL8moe_q4_1IN3c108BFloat16ELb0EEvPKvS3_PT_PKiS7_S7_iiiiiii, .Lfunc_end219-_ZL8moe_q4_1IN3c108BFloat16ELb0EEvPKvS3_PT_PKiS7_S7_iiiiiii
                                        ; -- End function
	.set _ZL8moe_q4_1IN3c108BFloat16ELb0EEvPKvS3_PT_PKiS7_S7_iiiiiii.num_vgpr, 98
	.set _ZL8moe_q4_1IN3c108BFloat16ELb0EEvPKvS3_PT_PKiS7_S7_iiiiiii.num_agpr, 0
	.set _ZL8moe_q4_1IN3c108BFloat16ELb0EEvPKvS3_PT_PKiS7_S7_iiiiiii.numbered_sgpr, 24
	.set _ZL8moe_q4_1IN3c108BFloat16ELb0EEvPKvS3_PT_PKiS7_S7_iiiiiii.num_named_barrier, 0
	.set _ZL8moe_q4_1IN3c108BFloat16ELb0EEvPKvS3_PT_PKiS7_S7_iiiiiii.private_seg_size, 0
	.set _ZL8moe_q4_1IN3c108BFloat16ELb0EEvPKvS3_PT_PKiS7_S7_iiiiiii.uses_vcc, 1
	.set _ZL8moe_q4_1IN3c108BFloat16ELb0EEvPKvS3_PT_PKiS7_S7_iiiiiii.uses_flat_scratch, 0
	.set _ZL8moe_q4_1IN3c108BFloat16ELb0EEvPKvS3_PT_PKiS7_S7_iiiiiii.has_dyn_sized_stack, 0
	.set _ZL8moe_q4_1IN3c108BFloat16ELb0EEvPKvS3_PT_PKiS7_S7_iiiiiii.has_recursion, 0
	.set _ZL8moe_q4_1IN3c108BFloat16ELb0EEvPKvS3_PT_PKiS7_S7_iiiiiii.has_indirect_call, 0
	.section	.AMDGPU.csdata,"",@progbits
; Kernel info:
; codeLenInByte = 4240
; TotalNumSgprs: 30
; NumVgprs: 98
; NumAgprs: 0
; TotalNumVgprs: 98
; ScratchSize: 0
; MemoryBound: 0
; FloatMode: 240
; IeeeMode: 1
; LDSByteSize: 22272 bytes/workgroup (compile time only)
; SGPRBlocks: 10
; VGPRBlocks: 12
; NumSGPRsForWavesPerEU: 81
; NumVGPRsForWavesPerEU: 98
; AccumOffset: 100
; Occupancy: 4
; WaveLimiterHint : 1
; COMPUTE_PGM_RSRC2:SCRATCH_EN: 0
; COMPUTE_PGM_RSRC2:USER_SGPR: 2
; COMPUTE_PGM_RSRC2:TRAP_HANDLER: 0
; COMPUTE_PGM_RSRC2:TGID_X_EN: 1
; COMPUTE_PGM_RSRC2:TGID_Y_EN: 1
; COMPUTE_PGM_RSRC2:TGID_Z_EN: 0
; COMPUTE_PGM_RSRC2:TIDIG_COMP_CNT: 1
; COMPUTE_PGM_RSRC3_GFX90A:ACCUM_OFFSET: 24
; COMPUTE_PGM_RSRC3_GFX90A:TG_SPLIT: 0
	.section	.text._ZL8moe_q4_1IN3c108BFloat16ELb1EEvPKvS3_PT_PKiS7_S7_iiiiiii,"axG",@progbits,_ZL8moe_q4_1IN3c108BFloat16ELb1EEvPKvS3_PT_PKiS7_S7_iiiiiii,comdat
	.globl	_ZL8moe_q4_1IN3c108BFloat16ELb1EEvPKvS3_PT_PKiS7_S7_iiiiiii ; -- Begin function _ZL8moe_q4_1IN3c108BFloat16ELb1EEvPKvS3_PT_PKiS7_S7_iiiiiii
	.p2align	8
	.type	_ZL8moe_q4_1IN3c108BFloat16ELb1EEvPKvS3_PT_PKiS7_S7_iiiiiii,@function
_ZL8moe_q4_1IN3c108BFloat16ELb1EEvPKvS3_PT_PKiS7_S7_iiiiiii: ; @_ZL8moe_q4_1IN3c108BFloat16ELb1EEvPKvS3_PT_PKiS7_S7_iiiiiii
; %bb.0:
	s_load_dwordx4 s[4:7], s[0:1], 0x18
	s_mov_b32 s8, s3
	s_mov_b32 s9, 0
	s_lshl_b64 s[10:11], s[8:9], 2
	s_waitcnt lgkmcnt(0)
	s_add_u32 s6, s6, s10
	s_addc_u32 s7, s7, s11
	s_load_dword s3, s[6:7], 0x0
	s_waitcnt lgkmcnt(0)
	s_cmpk_gt_u32 s3, 0xff
	s_cbranch_scc1 .LBB220_31
; %bb.1:
	s_load_dwordx2 s[6:7], s[0:1], 0x28
	s_waitcnt lgkmcnt(0)
	s_load_dword s7, s[6:7], 0x0
	s_lshl_b32 s6, s8, 3
	s_waitcnt lgkmcnt(0)
	s_cmp_gt_u32 s6, s7
	s_cbranch_scc1 .LBB220_31
; %bb.2:
	v_bfe_u32 v4, v0, 10, 10
	v_mov_b32_e32 v6, s4
	v_mov_b32_e32 v7, s5
	v_add_u32_e32 v2, s6, v4
	v_mov_b32_e32 v3, 0
	v_lshl_add_u64 v[6:7], v[2:3], 2, v[6:7]
	global_load_dword v1, v[6:7], off
	s_load_dwordx8 s[4:11], s[0:1], 0x30
	s_load_dwordx2 s[16:17], s[0:1], 0x10
	s_waitcnt lgkmcnt(0)
	s_lshl_b32 s11, s2, 7
	s_mov_b32 s20, 0
	s_cmp_lt_i32 s5, 32
	s_cbranch_scc1 .LBB220_21
; %bb.3:
	s_load_dwordx4 s[12:15], s[0:1], 0x0
	s_ashr_i32 s0, s5, 31
	s_lshr_b32 s0, s0, 27
	s_add_i32 s0, s5, s0
	s_ashr_i32 s21, s0, 5
	s_ashr_i32 s0, s8, 31
	s_lshr_b32 s0, s0, 27
	s_add_i32 s0, s8, s0
	s_mul_i32 s3, s3, s4
	s_ashr_i32 s8, s0, 5
	s_ashr_i32 s0, s3, 31
	s_waitcnt lgkmcnt(0)
	s_add_u32 s1, s12, s3
	s_mul_i32 s2, s21, s11
	s_addc_u32 s0, s13, s0
	s_mul_hi_i32 s3, s2, 20
	s_mul_i32 s2, s2, 20
	s_add_u32 s4, s1, s2
	s_addc_u32 s22, s0, s3
	s_not_b32 s0, s11
	s_add_i32 s0, s6, s0
	v_add_u32_e32 v5, 8, v4
	v_min_i32_e32 v9, s0, v5
	v_add_u32_e32 v5, 16, v4
	v_min_i32_e32 v10, s0, v5
	;; [unrolled: 2-line block ×5, first 2 shown]
	v_add_u32_e32 v5, 48, v4
	v_and_b32_e32 v41, 0x3ff, v0
	v_min_i32_e32 v14, s0, v5
	v_add_u32_e32 v5, 56, v4
	v_lshlrev_b32_e32 v6, 2, v41
	s_movk_i32 s2, 0x84
	v_min_i32_e32 v15, s0, v5
	v_add_u32_e32 v5, 64, v4
	v_mad_u64_u32 v[26:27], s[12:13], v13, s2, v[6:7]
	v_min_i32_e32 v59, s0, v5
	v_add_u32_e32 v5, 0x48, v4
	s_abs_i32 s3, s10
	v_min_i32_e32 v61, s0, v5
	v_add_u32_e32 v5, 0x50, v4
	v_cvt_f32_u32_e32 v27, s3
	v_min_i32_e32 v63, s0, v5
	v_add_u32_e32 v5, 0x58, v4
	v_min_i32_e32 v8, s0, v4
	v_min_i32_e32 v65, s0, v5
	v_add_u32_e32 v5, 0x60, v4
	v_mad_u64_u32 v[16:17], s[12:13], v8, s2, v[6:7]
	v_min_i32_e32 v67, s0, v5
	v_add_u32_e32 v5, 0x68, v4
	v_min_i32_e32 v69, s0, v5
	v_add_u32_e32 v5, 0x70, v4
	v_bfe_u32 v17, v0, 3, 7
	v_rcp_iflag_f32_e32 v27, v27
	v_mad_u64_u32 v[22:23], s[12:13], v11, s2, v[6:7]
	v_mad_u64_u32 v[24:25], s[12:13], v12, s2, v[6:7]
	v_min_i32_e32 v71, s0, v5
	v_lshl_add_u32 v5, v4, 2, v17
	v_min_i32_e32 v73, s0, v5
	v_add_u32_e32 v23, 32, v5
	v_add_u32_e32 v25, 64, v5
	;; [unrolled: 1-line block ×3, first 2 shown]
	v_min_i32_e32 v75, s0, v23
	v_min_i32_e32 v77, s0, v25
	;; [unrolled: 1-line block ×3, first 2 shown]
	v_mad_u64_u32 v[18:19], s[12:13], v9, s2, v[6:7]
	v_mad_u64_u32 v[20:21], s[12:13], v10, s2, v[6:7]
	;; [unrolled: 1-line block ×8, first 2 shown]
	v_ashrrev_i32_e32 v7, 31, v73
	v_ashrrev_i32_e32 v23, 31, v75
	;; [unrolled: 1-line block ×4, first 2 shown]
	v_mul_f32_e32 v27, 0x4f7ffffe, v27
	v_lshrrev_b32_e32 v7, 30, v7
	v_lshrrev_b32_e32 v23, 30, v23
	v_lshrrev_b32_e32 v25, 30, v25
	v_lshrrev_b32_e32 v5, 30, v5
	v_cvt_u32_f32_e32 v27, v27
	v_and_b32_e32 v40, 7, v0
	v_add_u32_e32 v7, v73, v7
	v_add_u32_e32 v23, v75, v23
	;; [unrolled: 1-line block ×4, first 2 shown]
	v_and_b32_e32 v7, -4, v7
	v_lshlrev_b32_e32 v19, 2, v40
	s_movk_i32 s1, 0x4200
	v_and_b32_e32 v23, -4, v23
	v_and_b32_e32 v25, -4, v25
	;; [unrolled: 1-line block ×3, first 2 shown]
	v_add3_u32 v7, v7, v19, s1
	v_add3_u32 v23, v23, v19, s1
	;; [unrolled: 1-line block ×4, first 2 shown]
	s_sub_i32 s1, 0, s3
	v_mul_lo_u32 v37, s1, v27
	s_waitcnt vmcnt(0)
	v_sub_u32_e32 v33, 0, v1
	v_mul_hi_u32 v37, v27, v37
	v_max_i32_e32 v33, v1, v33
	v_add_u32_e32 v27, v27, v37
	v_mul_hi_u32 v27, v33, v27
	v_mul_lo_u32 v37, v27, s3
	v_sub_u32_e32 v33, v33, v37
	v_add_u32_e32 v37, 1, v27
	v_cmp_le_u32_e32 vcc, s3, v33
	v_xor_b32_e32 v31, s10, v1
	v_ashrrev_i32_e32 v31, 31, v31
	v_cndmask_b32_e32 v27, v27, v37, vcc
	v_subrev_u32_e32 v37, s3, v33
	v_cndmask_b32_e32 v33, v33, v37, vcc
	v_add_u32_e32 v37, 1, v27
	v_cmp_le_u32_e32 vcc, s3, v33
	v_add_u32_e32 v19, 64, v41
	v_add_u32_e32 v35, 32, v41
	v_cndmask_b32_e32 v27, v27, v37, vcc
	v_xor_b32_e32 v27, v27, v31
	v_sub_u32_e32 v37, v27, v31
	v_lshlrev_b32_e32 v27, 5, v41
	v_and_b32_e32 v19, 0x1fc, v19
	v_add_u32_e32 v29, 0x60, v41
	v_add_u32_e32 v54, v27, v19
	v_and_b32_e32 v19, 0x1fc, v35
	v_and_b32_e32 v29, 0x1fc, v29
	v_add_u32_e32 v55, v27, v19
	v_and_b32_e32 v19, 0xfc, v0
	v_lshlrev_b32_e32 v21, 5, v73
	v_add_u32_e32 v39, v27, v29
	v_add_u32_e32 v56, v27, v19
	v_lshlrev_b32_e32 v27, 5, v75
	v_add_u32_e32 v19, v7, v21
	v_lshlrev_b32_e32 v7, 5, v77
	;; [unrolled: 2-line block ×3, first 2 shown]
	v_add_u32_e32 v23, v25, v7
	v_mov_b32_e32 v7, 0x5280
	v_add_u32_e32 v27, v5, v27
	v_mov_b32_e32 v5, 0x5680
	v_lshl_add_u32 v25, v4, 7, v7
	v_lshl_add_u32 v29, v4, 4, v5
	v_add_u32_e32 v4, 0x78, v4
	v_min_i32_e32 v81, s0, v4
	v_mad_u64_u32 v[42:43], s[0:1], v67, s2, v[6:7]
	v_mad_u64_u32 v[44:45], s[0:1], v69, s2, v[6:7]
	;; [unrolled: 1-line block ×4, first 2 shown]
	v_and_b32_e32 v2, 12, v6
	v_add_u32_e32 v31, v29, v6
	v_and_b32_e32 v4, 28, v6
	v_mov_b32_e32 v5, v3
	v_and_b32_e32 v6, 31, v0
	v_cmp_gt_u32_e32 vcc, 4, v41
	v_cmp_gt_i32_e64 s[0:1], s7, v37
	v_mul_lo_u32 v52, v37, s8
	v_lshl_or_b32 v33, v6, 2, v25
	v_lshrrev_b32_e32 v35, 3, v35
	v_lshl_add_u64 v[50:51], s[14:15], 0, v[4:5]
	s_and_b64 s[12:13], vcc, s[0:1]
	v_ashrrev_i32_e32 v53, 31, v52
	v_add_u32_e32 v37, 0x4e00, v39
	v_add_u32_e32 v39, 0x4e10, v39
	;; [unrolled: 1-line block ×8, first 2 shown]
	v_mov_b32_e32 v4, v3
	v_mov_b32_e32 v6, v3
	;; [unrolled: 1-line block ×3, first 2 shown]
	v_mul_lo_u32 v54, v8, s21
	v_mul_lo_u32 v56, v9, s21
	;; [unrolled: 1-line block ×20, first 2 shown]
	v_mul_u32_u24_e32 v59, 0x84, v41
	v_mad_u32_u24 v61, v41, s2, 64
	v_bfe_u32 v94, v0, 2, 8
	s_branch .LBB220_5
.LBB220_4:                              ;   in Loop: Header=BB220_5 Depth=1
	s_add_i32 s20, s20, 8
	s_cmp_ge_i32 s20, s21
	s_cbranch_scc1 .LBB220_22
.LBB220_5:                              ; =>This Loop Header: Depth=1
                                        ;     Child Loop BB220_11 Depth 2
                                        ;     Child Loop BB220_19 Depth 2
	s_mul_i32 s2, s20, 20
	s_mul_hi_u32 s3, s20, 20
	s_add_u32 s2, s4, s2
	s_addc_u32 s3, s22, s3
	v_mad_u64_u32 v[8:9], s[18:19], v94, 20, s[2:3]
	v_mad_i64_i32 v[10:11], s[18:19], v54, 20, v[8:9]
	v_mad_i64_i32 v[12:13], s[18:19], v56, 20, v[8:9]
	;; [unrolled: 1-line block ×7, first 2 shown]
	v_lshl_add_u64 v[10:11], v[10:11], 0, v[2:3]
	v_lshl_add_u64 v[12:13], v[12:13], 0, v[2:3]
	v_lshl_add_u64 v[14:15], v[14:15], 0, v[2:3]
	v_lshl_add_u64 v[96:97], v[96:97], 0, v[2:3]
	v_lshl_add_u64 v[98:99], v[98:99], 0, v[2:3]
	v_lshl_add_u64 v[100:101], v[100:101], 0, v[2:3]
	v_lshl_add_u64 v[102:103], v[102:103], 0, v[2:3]
	v_mad_i64_i32 v[104:105], s[18:19], v68, 20, v[8:9]
	v_lshl_add_u64 v[104:105], v[104:105], 0, v[2:3]
	global_load_dword v63, v[10:11], off offset:4
	global_load_dword v65, v[12:13], off offset:4
	;; [unrolled: 1-line block ×8, first 2 shown]
	v_mad_i64_i32 v[10:11], s[18:19], v70, 20, v[8:9]
	v_mad_i64_i32 v[12:13], s[18:19], v72, 20, v[8:9]
	;; [unrolled: 1-line block ×8, first 2 shown]
	v_lshl_add_u64 v[10:11], v[10:11], 0, v[2:3]
	v_lshl_add_u64 v[8:9], v[8:9], 0, v[2:3]
	;; [unrolled: 1-line block ×8, first 2 shown]
	global_load_dword v79, v[10:11], off offset:4
	global_load_dword v81, v[12:13], off offset:4
	;; [unrolled: 1-line block ×8, first 2 shown]
	v_mad_u64_u32 v[8:9], s[2:3], v40, 20, s[2:3]
	v_mad_i64_i32 v[10:11], s[2:3], v86, 20, v[8:9]
	v_mad_i64_i32 v[12:13], s[2:3], v88, 20, v[8:9]
	;; [unrolled: 1-line block ×4, first 2 shown]
	global_load_dword v95, v[10:11], off
	global_load_dword v96, v[12:13], off
	global_load_dword v97, v[14:15], off
	s_lshl_b32 s6, s20, 5
	global_load_dword v8, v[8:9], off
	s_cmp_lt_i32 s6, s5
	s_waitcnt vmcnt(19)
	ds_write_b32 v16, v63
	s_waitcnt vmcnt(18)
	ds_write_b32 v18, v65
	;; [unrolled: 2-line block ×20, first 2 shown]
	s_cbranch_scc0 .LBB220_4
; %bb.6:                                ;   in Loop: Header=BB220_5 Depth=1
	v_add_u32_e32 v8, s20, v17
	v_cmp_gt_i32_e64 s[2:3], s8, v8
	s_and_b64 s[18:19], s[0:1], s[2:3]
	s_and_saveexec_b64 s[2:3], s[18:19]
	s_cbranch_execz .LBB220_8
; %bb.7:                                ;   in Loop: Header=BB220_5 Depth=1
	v_add_u32_e32 v8, v52, v8
	v_mad_i64_i32 v[8:9], s[18:19], v8, 36, v[50:51]
	global_load_dword v8, v[8:9], off offset:4
	s_waitcnt vmcnt(0)
	ds_write_b32 v33, v8
.LBB220_8:                              ;   in Loop: Header=BB220_5 Depth=1
	s_or_b64 exec, exec, s[2:3]
	v_add_u32_e32 v96, s20, v41
	v_cmp_gt_i32_e64 s[2:3], s8, v96
	s_and_b64 s[18:19], s[12:13], s[2:3]
	s_and_saveexec_b64 s[2:3], s[18:19]
	s_cbranch_execz .LBB220_10
; %bb.9:                                ;   in Loop: Header=BB220_5 Depth=1
	v_add_u32_e32 v8, v52, v96
	v_mad_i64_i32 v[8:9], s[18:19], v8, 36, s[14:15]
	global_load_dword v8, v[8:9], off
	s_waitcnt vmcnt(0)
	ds_write_b32 v31, v8
.LBB220_10:                             ;   in Loop: Header=BB220_5 Depth=1
	s_or_b64 exec, exec, s[2:3]
	s_mov_b32 s2, -4
	v_mov_b32_e32 v63, v25
	v_mov_b32_e32 v65, v29
	;; [unrolled: 1-line block ×7, first 2 shown]
	s_waitcnt lgkmcnt(0)
	s_barrier
.LBB220_11:                             ;   Parent Loop BB220_5 Depth=1
                                        ; =>  This Inner Loop Header: Depth=2
	ds_read_b128 v[8:11], v63
	ds_read_b128 v[12:15], v63 offset:16
	ds_read_b32 v77, v65
	ds_read_b32 v79, v67
	ds_read2_b32 v[98:99], v75 offset1:1
	v_mov_b32_e32 v85, 0
	v_mov_b32_e32 v89, 0
	;; [unrolled: 1-line block ×3, first 2 shown]
	s_waitcnt lgkmcnt(1)
	v_pk_mul_f16 v79, v77, v79
	s_waitcnt lgkmcnt(0)
	v_and_b32_e32 v81, 0xf0f0f0f, v98
	v_lshrrev_b32_e32 v83, 4, v98
	v_and_b32_e32 v83, 0xf0f0f0f, v83
	v_dot4c_i32_i8_e32 v85, v81, v8
	v_dot4c_i32_i8_e32 v85, v83, v12
	v_and_b32_e32 v81, 0xf0f0f0f, v99
	v_lshrrev_b32_e32 v83, 4, v99
	ds_read2_b32 v[98:99], v75 offset0:2 offset1:3
	v_and_b32_e32 v83, 0xf0f0f0f, v83
	v_dot4c_i32_i8_e32 v85, v81, v9
	v_dot4c_i32_i8_e32 v85, v83, v13
	v_cvt_f32_f16_sdwa v100, v79 dst_sel:DWORD dst_unused:UNUSED_PAD src0_sel:WORD_1
	s_waitcnt lgkmcnt(0)
	v_and_b32_e32 v81, 0xf0f0f0f, v98
	v_lshrrev_b32_e32 v83, 4, v98
	v_and_b32_e32 v83, 0xf0f0f0f, v83
	v_dot4c_i32_i8_e32 v85, v81, v10
	v_dot4c_i32_i8_e32 v85, v83, v14
	v_and_b32_e32 v81, 0xf0f0f0f, v99
	v_lshrrev_b32_e32 v83, 4, v99
	v_and_b32_e32 v83, 0xf0f0f0f, v83
	v_dot4c_i32_i8_e32 v85, v81, v11
	v_dot4c_i32_i8_e32 v85, v83, v15
	v_add_u32_e32 v81, 0x1080, v75
	ds_read_b32 v83, v69
	ds_read2_b32 v[98:99], v81 offset1:1
	s_add_i32 s2, s2, 4
	v_add_u32_e32 v69, 4, v69
	v_add_u32_e32 v67, 4, v67
	;; [unrolled: 1-line block ×3, first 2 shown]
	s_waitcnt lgkmcnt(0)
	v_and_b32_e32 v81, 0xf0f0f0f, v98
	v_lshrrev_b32_e32 v87, 4, v98
	v_and_b32_e32 v87, 0xf0f0f0f, v87
	v_dot4c_i32_i8_e32 v89, v81, v8
	v_dot4c_i32_i8_e32 v89, v87, v12
	v_and_b32_e32 v81, 0xf0f0f0f, v99
	v_dot4c_i32_i8_e32 v89, v81, v9
	v_add_u32_e32 v81, 0x1088, v75
	v_lshrrev_b32_e32 v87, 4, v99
	ds_read2_b32 v[98:99], v81 offset1:1
	v_and_b32_e32 v87, 0xf0f0f0f, v87
	v_dot4c_i32_i8_e32 v89, v87, v13
	v_add_u32_e32 v63, 32, v63
	s_cmp_lt_u32 s2, 12
	s_waitcnt lgkmcnt(0)
	v_and_b32_e32 v81, 0xf0f0f0f, v98
	v_lshrrev_b32_e32 v87, 4, v98
	v_and_b32_e32 v87, 0xf0f0f0f, v87
	v_dot4c_i32_i8_e32 v89, v81, v10
	v_dot4c_i32_i8_e32 v89, v87, v14
	v_and_b32_e32 v81, 0xf0f0f0f, v99
	v_dot4c_i32_i8_e32 v89, v81, v11
	v_pk_mul_f16 v81, v77, v83
	v_lshrrev_b32_e32 v87, 4, v99
	v_cvt_f32_f16_e32 v99, v81
	v_cvt_f32_f16_e32 v98, v79
	v_cvt_f32_f16_sdwa v101, v81 dst_sel:DWORD dst_unused:UNUSED_PAD src0_sel:WORD_1
	v_add_u32_e32 v79, 0x2100, v75
	ds_read_b32 v81, v71
	ds_read2_b32 v[102:103], v79 offset1:1
	v_and_b32_e32 v87, 0xf0f0f0f, v87
	v_dot4c_i32_i8_e32 v89, v87, v15
	v_mov_b32_e32 v87, 0
	v_add_u32_e32 v71, 4, v71
	s_waitcnt lgkmcnt(0)
	v_and_b32_e32 v79, 0xf0f0f0f, v102
	v_lshrrev_b32_e32 v83, 4, v102
	v_and_b32_e32 v83, 0xf0f0f0f, v83
	v_dot4c_i32_i8_e32 v87, v79, v8
	v_dot4c_i32_i8_e32 v87, v83, v12
	v_and_b32_e32 v79, 0xf0f0f0f, v103
	v_dot4c_i32_i8_e32 v87, v79, v9
	v_add_u32_e32 v79, 0x2108, v75
	v_lshrrev_b32_e32 v83, 4, v103
	ds_read2_b32 v[102:103], v79 offset1:1
	v_and_b32_e32 v83, 0xf0f0f0f, v83
	v_dot4c_i32_i8_e32 v87, v83, v13
	s_waitcnt lgkmcnt(0)
	v_and_b32_e32 v79, 0xf0f0f0f, v102
	v_lshrrev_b32_e32 v83, 4, v102
	v_and_b32_e32 v83, 0xf0f0f0f, v83
	v_dot4c_i32_i8_e32 v87, v79, v10
	v_dot4c_i32_i8_e32 v87, v83, v14
	v_and_b32_e32 v79, 0xf0f0f0f, v103
	v_lshrrev_b32_e32 v83, 4, v103
	v_and_b32_e32 v83, 0xf0f0f0f, v83
	v_dot4c_i32_i8_e32 v87, v79, v11
	v_dot4c_i32_i8_e32 v87, v83, v15
	v_pk_mul_f16 v79, v77, v81
	v_add_u32_e32 v81, 0x3180, v75
	ds_read_b32 v83, v73
	ds_read2_b32 v[102:103], v81 offset1:1
	v_add_u32_e32 v73, 4, v73
	s_waitcnt lgkmcnt(0)
	v_and_b32_e32 v81, 0xf0f0f0f, v102
	v_lshrrev_b32_e32 v91, 4, v102
	v_and_b32_e32 v91, 0xf0f0f0f, v91
	v_dot4c_i32_i8_e32 v93, v81, v8
	v_dot4c_i32_i8_e32 v93, v91, v12
	v_and_b32_e32 v8, 0xf0f0f0f, v103
	v_dot4c_i32_i8_e32 v93, v8, v9
	v_add_u32_e32 v8, 0x3188, v75
	ds_read2_b32 v[8:9], v8 offset1:1
	v_lshrrev_b32_e32 v12, 4, v103
	v_and_b32_e32 v12, 0xf0f0f0f, v12
	v_dot4c_i32_i8_e32 v93, v12, v13
	v_add_u32_e32 v75, 16, v75
	s_waitcnt lgkmcnt(0)
	v_and_b32_e32 v12, 0xf0f0f0f, v8
	v_lshrrev_b32_e32 v8, 4, v8
	v_and_b32_e32 v8, 0xf0f0f0f, v8
	v_dot4c_i32_i8_e32 v93, v12, v10
	v_dot4c_i32_i8_e32 v93, v8, v14
	v_and_b32_e32 v8, 0xf0f0f0f, v9
	v_lshrrev_b32_e32 v9, 4, v9
	v_and_b32_e32 v9, 0xf0f0f0f, v9
	v_dot4c_i32_i8_e32 v93, v8, v11
	v_dot4c_i32_i8_e32 v93, v9, v15
	v_pk_mul_f16 v10, v77, v83
	v_cvt_f32_f16_e32 v8, v79
	v_cvt_f32_f16_e32 v9, v10
	v_cvt_f32_f16_sdwa v11, v10 dst_sel:DWORD dst_unused:UNUSED_PAD src0_sel:WORD_1
	v_cvt_f32_f16_sdwa v10, v79 dst_sel:DWORD dst_unused:UNUSED_PAD src0_sel:WORD_1
	v_cvt_f32_i32_e32 v13, v93
	v_cvt_f32_i32_e32 v12, v87
	;; [unrolled: 1-line block ×4, first 2 shown]
	v_pk_fma_f32 v[8:9], v[8:9], v[12:13], v[10:11]
	s_nop 0
	v_pk_add_f32 v[6:7], v[6:7], v[8:9]
	v_pk_fma_f32 v[14:15], v[98:99], v[14:15], v[100:101]
	s_nop 0
	v_pk_add_f32 v[4:5], v[4:5], v[14:15]
	s_cbranch_scc1 .LBB220_11
; %bb.12:                               ;   in Loop: Header=BB220_5 Depth=1
	s_bitset1_b32 s6, 7
	s_cmp_ge_i32 s6, s5
	s_barrier
	s_cbranch_scc1 .LBB220_4
; %bb.13:                               ;   in Loop: Header=BB220_5 Depth=1
	v_add_u32_e32 v8, s20, v35
	v_cmp_gt_i32_e64 s[2:3], s8, v8
	s_and_b64 s[18:19], s[0:1], s[2:3]
	s_and_saveexec_b64 s[2:3], s[18:19]
	s_cbranch_execz .LBB220_15
; %bb.14:                               ;   in Loop: Header=BB220_5 Depth=1
	v_add_u32_e32 v8, v52, v8
	v_mad_i64_i32 v[8:9], s[18:19], v8, 36, v[50:51]
	global_load_dword v8, v[8:9], off offset:4
	s_waitcnt vmcnt(0)
	ds_write_b32 v33, v8
.LBB220_15:                             ;   in Loop: Header=BB220_5 Depth=1
	s_or_b64 exec, exec, s[2:3]
	s_and_saveexec_b64 s[18:19], vcc
	s_cbranch_execz .LBB220_18
; %bb.16:                               ;   in Loop: Header=BB220_5 Depth=1
	v_or_b32_e32 v8, 4, v96
	v_cmp_gt_i32_e64 s[2:3], s8, v8
	s_and_b64 s[2:3], s[0:1], s[2:3]
	s_and_b64 exec, exec, s[2:3]
	s_cbranch_execz .LBB220_18
; %bb.17:                               ;   in Loop: Header=BB220_5 Depth=1
	v_ashrrev_i32_e32 v97, 31, v96
	v_lshl_add_u64 v[8:9], v[52:53], 0, v[96:97]
	v_mad_u64_u32 v[10:11], s[2:3], v8, 36, s[14:15]
	v_mad_i32_i24 v11, v9, 36, v11
	global_load_dword v8, v[10:11], off offset:144
	s_waitcnt vmcnt(0)
	ds_write_b32 v31, v8
.LBB220_18:                             ;   in Loop: Header=BB220_5 Depth=1
	s_or_b64 exec, exec, s[18:19]
	s_mov_b32 s2, 12
	v_mov_b32_e32 v8, v29
	v_mov_b32_e32 v9, v25
	;; [unrolled: 1-line block ×7, first 2 shown]
	s_waitcnt lgkmcnt(0)
	s_barrier
.LBB220_19:                             ;   Parent Loop BB220_5 Depth=1
                                        ; =>  This Inner Loop Header: Depth=2
	ds_read_b128 v[96:99], v9
	ds_read_b128 v[100:103], v9 offset:16
	ds_read_b32 v15, v8
	ds_read_b32 v63, v10
	ds_read2_b32 v[104:105], v14 offset1:1
	v_mov_b32_e32 v69, 0
	v_mov_b32_e32 v73, 0
	v_mov_b32_e32 v77, 0
	s_waitcnt lgkmcnt(1)
	v_pk_mul_f16 v63, v15, v63
	s_waitcnt lgkmcnt(0)
	v_and_b32_e32 v65, 0xf0f0f0f, v104
	v_lshrrev_b32_e32 v67, 4, v104
	v_and_b32_e32 v67, 0xf0f0f0f, v67
	v_dot4c_i32_i8_e32 v69, v65, v96
	v_dot4c_i32_i8_e32 v69, v67, v100
	v_and_b32_e32 v65, 0xf0f0f0f, v105
	v_lshrrev_b32_e32 v67, 4, v105
	ds_read2_b32 v[104:105], v14 offset0:2 offset1:3
	v_and_b32_e32 v67, 0xf0f0f0f, v67
	v_dot4c_i32_i8_e32 v69, v65, v97
	v_dot4c_i32_i8_e32 v69, v67, v101
	v_cvt_f32_f16_sdwa v106, v63 dst_sel:DWORD dst_unused:UNUSED_PAD src0_sel:WORD_1
	s_waitcnt lgkmcnt(0)
	v_and_b32_e32 v65, 0xf0f0f0f, v104
	v_lshrrev_b32_e32 v67, 4, v104
	v_and_b32_e32 v67, 0xf0f0f0f, v67
	v_dot4c_i32_i8_e32 v69, v65, v98
	v_dot4c_i32_i8_e32 v69, v67, v102
	v_and_b32_e32 v65, 0xf0f0f0f, v105
	v_lshrrev_b32_e32 v67, 4, v105
	v_and_b32_e32 v67, 0xf0f0f0f, v67
	v_dot4c_i32_i8_e32 v69, v65, v99
	v_dot4c_i32_i8_e32 v69, v67, v103
	v_add_u32_e32 v65, 0x1080, v14
	ds_read_b32 v67, v11
	ds_read2_b32 v[104:105], v65 offset1:1
	s_add_i32 s2, s2, 4
	v_add_u32_e32 v11, 4, v11
	v_add_u32_e32 v10, 4, v10
	;; [unrolled: 1-line block ×3, first 2 shown]
	s_waitcnt lgkmcnt(0)
	v_and_b32_e32 v65, 0xf0f0f0f, v104
	v_lshrrev_b32_e32 v71, 4, v104
	v_and_b32_e32 v71, 0xf0f0f0f, v71
	v_dot4c_i32_i8_e32 v73, v65, v96
	v_dot4c_i32_i8_e32 v73, v71, v100
	v_and_b32_e32 v65, 0xf0f0f0f, v105
	v_dot4c_i32_i8_e32 v73, v65, v97
	v_add_u32_e32 v65, 0x1088, v14
	v_lshrrev_b32_e32 v71, 4, v105
	ds_read2_b32 v[104:105], v65 offset1:1
	v_and_b32_e32 v71, 0xf0f0f0f, v71
	v_dot4c_i32_i8_e32 v73, v71, v101
	v_add_u32_e32 v8, 4, v8
	s_cmp_lt_u32 s2, 28
	s_waitcnt lgkmcnt(0)
	v_and_b32_e32 v65, 0xf0f0f0f, v104
	v_lshrrev_b32_e32 v71, 4, v104
	v_and_b32_e32 v71, 0xf0f0f0f, v71
	v_dot4c_i32_i8_e32 v73, v65, v98
	v_dot4c_i32_i8_e32 v73, v71, v102
	v_and_b32_e32 v65, 0xf0f0f0f, v105
	v_dot4c_i32_i8_e32 v73, v65, v99
	v_pk_mul_f16 v65, v15, v67
	v_lshrrev_b32_e32 v71, 4, v105
	v_cvt_f32_f16_e32 v105, v65
	v_cvt_f32_f16_e32 v104, v63
	v_cvt_f32_f16_sdwa v107, v65 dst_sel:DWORD dst_unused:UNUSED_PAD src0_sel:WORD_1
	v_add_u32_e32 v63, 0x2100, v14
	ds_read_b32 v65, v12
	ds_read2_b32 v[108:109], v63 offset1:1
	v_and_b32_e32 v71, 0xf0f0f0f, v71
	v_dot4c_i32_i8_e32 v73, v71, v103
	v_mov_b32_e32 v71, 0
	v_add_u32_e32 v12, 4, v12
	s_waitcnt lgkmcnt(0)
	v_and_b32_e32 v63, 0xf0f0f0f, v108
	v_lshrrev_b32_e32 v67, 4, v108
	v_and_b32_e32 v67, 0xf0f0f0f, v67
	v_dot4c_i32_i8_e32 v71, v63, v96
	v_dot4c_i32_i8_e32 v71, v67, v100
	v_and_b32_e32 v63, 0xf0f0f0f, v109
	v_dot4c_i32_i8_e32 v71, v63, v97
	v_add_u32_e32 v63, 0x2108, v14
	v_lshrrev_b32_e32 v67, 4, v109
	ds_read2_b32 v[108:109], v63 offset1:1
	v_and_b32_e32 v67, 0xf0f0f0f, v67
	v_dot4c_i32_i8_e32 v71, v67, v101
	s_waitcnt lgkmcnt(0)
	v_and_b32_e32 v63, 0xf0f0f0f, v108
	v_lshrrev_b32_e32 v67, 4, v108
	v_and_b32_e32 v67, 0xf0f0f0f, v67
	v_dot4c_i32_i8_e32 v71, v63, v98
	v_dot4c_i32_i8_e32 v71, v67, v102
	v_and_b32_e32 v63, 0xf0f0f0f, v109
	v_lshrrev_b32_e32 v67, 4, v109
	v_and_b32_e32 v67, 0xf0f0f0f, v67
	v_dot4c_i32_i8_e32 v71, v63, v99
	v_dot4c_i32_i8_e32 v71, v67, v103
	v_pk_mul_f16 v63, v15, v65
	v_add_u32_e32 v65, 0x3180, v14
	ds_read_b32 v67, v13
	ds_read2_b32 v[108:109], v65 offset1:1
	v_add_u32_e32 v13, 4, v13
	s_waitcnt lgkmcnt(1)
	v_pk_mul_f16 v15, v15, v67
	s_waitcnt lgkmcnt(0)
	v_and_b32_e32 v65, 0xf0f0f0f, v108
	v_lshrrev_b32_e32 v75, 4, v108
	v_and_b32_e32 v75, 0xf0f0f0f, v75
	v_dot4c_i32_i8_e32 v77, v65, v96
	v_dot4c_i32_i8_e32 v77, v75, v100
	v_and_b32_e32 v65, 0xf0f0f0f, v109
	v_dot4c_i32_i8_e32 v77, v65, v97
	v_add_u32_e32 v65, 0x3188, v14
	ds_read2_b32 v[96:97], v65 offset1:1
	v_lshrrev_b32_e32 v75, 4, v109
	v_and_b32_e32 v75, 0xf0f0f0f, v75
	v_dot4c_i32_i8_e32 v77, v75, v101
	v_cvt_f32_i32_e32 v100, v71
	s_waitcnt lgkmcnt(0)
	v_and_b32_e32 v65, 0xf0f0f0f, v96
	v_lshrrev_b32_e32 v75, 4, v96
	v_and_b32_e32 v75, 0xf0f0f0f, v75
	v_dot4c_i32_i8_e32 v77, v65, v98
	v_dot4c_i32_i8_e32 v77, v75, v102
	v_and_b32_e32 v65, 0xf0f0f0f, v97
	v_lshrrev_b32_e32 v75, 4, v97
	v_and_b32_e32 v75, 0xf0f0f0f, v75
	v_dot4c_i32_i8_e32 v77, v65, v99
	v_dot4c_i32_i8_e32 v77, v75, v103
	v_cvt_f32_f16_e32 v97, v15
	v_cvt_f32_f16_e32 v96, v63
	v_cvt_f32_f16_sdwa v99, v15 dst_sel:DWORD dst_unused:UNUSED_PAD src0_sel:WORD_1
	v_cvt_f32_f16_sdwa v98, v63 dst_sel:DWORD dst_unused:UNUSED_PAD src0_sel:WORD_1
	v_cvt_f32_i32_e32 v101, v77
	v_cvt_f32_i32_e32 v102, v69
	;; [unrolled: 1-line block ×3, first 2 shown]
	v_add_u32_e32 v14, 16, v14
	v_pk_fma_f32 v[96:97], v[96:97], v[100:101], v[98:99]
	v_pk_fma_f32 v[102:103], v[104:105], v[102:103], v[106:107]
	v_pk_add_f32 v[6:7], v[6:7], v[96:97]
	v_pk_add_f32 v[4:5], v[4:5], v[102:103]
	s_cbranch_scc1 .LBB220_19
; %bb.20:                               ;   in Loop: Header=BB220_5 Depth=1
	s_barrier
	s_branch .LBB220_4
.LBB220_21:
	v_mov_b32_e32 v4, v3
	v_mov_b32_e32 v5, v3
	;; [unrolled: 1-line block ×3, first 2 shown]
	v_mov_b64_e32 v[6:7], v[4:5]
	v_mov_b64_e32 v[4:5], v[2:3]
.LBB220_22:
	s_mul_i32 s0, s10, s7
	s_waitcnt vmcnt(0)
	v_cmp_gt_i32_e32 vcc, s0, v1
	s_and_saveexec_b64 s[0:1], vcc
	s_cbranch_execz .LBB220_31
; %bb.23:
	v_and_b32_e32 v0, 0x3ff, v0
	v_add_u32_e32 v2, s11, v0
	v_mul_lo_u32 v0, v1, s9
	v_cmp_gt_u32_e32 vcc, s9, v2
	s_and_saveexec_b64 s[0:1], vcc
	s_cbranch_execz .LBB220_25
; %bb.24:
	v_bfe_u32 v1, v4, 16, 1
	s_movk_i32 s2, 0x7fff
	v_add3_u32 v1, v4, v1, s2
	v_cmp_o_f32_e32 vcc, v4, v4
	v_mov_b32_e32 v3, 0x7fc0
	v_add_u32_e32 v8, v0, v2
	v_mov_b32_e32 v9, 0
	v_cndmask_b32_sdwa v1, v3, v1, vcc dst_sel:DWORD dst_unused:UNUSED_PAD src0_sel:DWORD src1_sel:WORD_1
	v_lshl_add_u64 v[8:9], v[8:9], 1, s[16:17]
	global_store_short v[8:9], v1, off
.LBB220_25:
	s_or_b64 exec, exec, s[0:1]
	v_add_u32_e32 v1, 32, v2
	v_cmp_gt_u32_e32 vcc, s9, v1
	s_and_saveexec_b64 s[0:1], vcc
	s_cbranch_execz .LBB220_27
; %bb.26:
	v_bfe_u32 v3, v5, 16, 1
	s_movk_i32 s2, 0x7fff
	v_add3_u32 v3, v5, v3, s2
	v_cmp_o_f32_e32 vcc, v5, v5
	v_mov_b32_e32 v4, 0x7fc0
	v_mov_b32_e32 v5, 0
	v_cndmask_b32_sdwa v3, v4, v3, vcc dst_sel:DWORD dst_unused:UNUSED_PAD src0_sel:DWORD src1_sel:WORD_1
	v_add_u32_e32 v4, v0, v1
	v_lshl_add_u64 v[4:5], v[4:5], 1, s[16:17]
	global_store_short v[4:5], v3, off
.LBB220_27:
	s_or_b64 exec, exec, s[0:1]
	v_add_u32_e32 v1, 64, v2
	v_cmp_gt_u32_e32 vcc, s9, v1
	s_and_saveexec_b64 s[0:1], vcc
	s_cbranch_execz .LBB220_29
; %bb.28:
	v_bfe_u32 v3, v6, 16, 1
	s_movk_i32 s2, 0x7fff
	v_add3_u32 v3, v6, v3, s2
	v_cmp_o_f32_e32 vcc, v6, v6
	v_mov_b32_e32 v4, 0x7fc0
	v_mov_b32_e32 v5, 0
	v_cndmask_b32_sdwa v3, v4, v3, vcc dst_sel:DWORD dst_unused:UNUSED_PAD src0_sel:DWORD src1_sel:WORD_1
	v_add_u32_e32 v4, v0, v1
	v_lshl_add_u64 v[4:5], v[4:5], 1, s[16:17]
	global_store_short v[4:5], v3, off
.LBB220_29:
	s_or_b64 exec, exec, s[0:1]
	v_add_u32_e32 v1, 0x60, v2
	v_cmp_gt_u32_e32 vcc, s9, v1
	s_and_b64 exec, exec, vcc
	s_cbranch_execz .LBB220_31
; %bb.30:
	v_bfe_u32 v2, v7, 16, 1
	s_movk_i32 s0, 0x7fff
	v_add3_u32 v2, v7, v2, s0
	v_cmp_o_f32_e32 vcc, v7, v7
	v_mov_b32_e32 v3, 0x7fc0
	v_add_u32_e32 v0, v0, v1
	v_mov_b32_e32 v1, 0
	v_cndmask_b32_sdwa v2, v3, v2, vcc dst_sel:DWORD dst_unused:UNUSED_PAD src0_sel:DWORD src1_sel:WORD_1
	v_lshl_add_u64 v[0:1], v[0:1], 1, s[16:17]
	global_store_short v[0:1], v2, off
.LBB220_31:
	s_endpgm
	.section	.rodata,"a",@progbits
	.p2align	6, 0x0
	.amdhsa_kernel _ZL8moe_q4_1IN3c108BFloat16ELb1EEvPKvS3_PT_PKiS7_S7_iiiiiii
		.amdhsa_group_segment_fixed_size 22272
		.amdhsa_private_segment_fixed_size 0
		.amdhsa_kernarg_size 76
		.amdhsa_user_sgpr_count 2
		.amdhsa_user_sgpr_dispatch_ptr 0
		.amdhsa_user_sgpr_queue_ptr 0
		.amdhsa_user_sgpr_kernarg_segment_ptr 1
		.amdhsa_user_sgpr_dispatch_id 0
		.amdhsa_user_sgpr_kernarg_preload_length 0
		.amdhsa_user_sgpr_kernarg_preload_offset 0
		.amdhsa_user_sgpr_private_segment_size 0
		.amdhsa_uses_dynamic_stack 0
		.amdhsa_enable_private_segment 0
		.amdhsa_system_sgpr_workgroup_id_x 1
		.amdhsa_system_sgpr_workgroup_id_y 1
		.amdhsa_system_sgpr_workgroup_id_z 0
		.amdhsa_system_sgpr_workgroup_info 0
		.amdhsa_system_vgpr_workitem_id 1
		.amdhsa_next_free_vgpr 110
		.amdhsa_next_free_sgpr 75
		.amdhsa_accum_offset 112
		.amdhsa_reserve_vcc 1
		.amdhsa_float_round_mode_32 0
		.amdhsa_float_round_mode_16_64 0
		.amdhsa_float_denorm_mode_32 3
		.amdhsa_float_denorm_mode_16_64 3
		.amdhsa_dx10_clamp 1
		.amdhsa_ieee_mode 1
		.amdhsa_fp16_overflow 0
		.amdhsa_tg_split 0
		.amdhsa_exception_fp_ieee_invalid_op 0
		.amdhsa_exception_fp_denorm_src 0
		.amdhsa_exception_fp_ieee_div_zero 0
		.amdhsa_exception_fp_ieee_overflow 0
		.amdhsa_exception_fp_ieee_underflow 0
		.amdhsa_exception_fp_ieee_inexact 0
		.amdhsa_exception_int_div_zero 0
	.end_amdhsa_kernel
	.section	.text._ZL8moe_q4_1IN3c108BFloat16ELb1EEvPKvS3_PT_PKiS7_S7_iiiiiii,"axG",@progbits,_ZL8moe_q4_1IN3c108BFloat16ELb1EEvPKvS3_PT_PKiS7_S7_iiiiiii,comdat
.Lfunc_end220:
	.size	_ZL8moe_q4_1IN3c108BFloat16ELb1EEvPKvS3_PT_PKiS7_S7_iiiiiii, .Lfunc_end220-_ZL8moe_q4_1IN3c108BFloat16ELb1EEvPKvS3_PT_PKiS7_S7_iiiiiii
                                        ; -- End function
	.set _ZL8moe_q4_1IN3c108BFloat16ELb1EEvPKvS3_PT_PKiS7_S7_iiiiiii.num_vgpr, 110
	.set _ZL8moe_q4_1IN3c108BFloat16ELb1EEvPKvS3_PT_PKiS7_S7_iiiiiii.num_agpr, 0
	.set _ZL8moe_q4_1IN3c108BFloat16ELb1EEvPKvS3_PT_PKiS7_S7_iiiiiii.numbered_sgpr, 23
	.set _ZL8moe_q4_1IN3c108BFloat16ELb1EEvPKvS3_PT_PKiS7_S7_iiiiiii.num_named_barrier, 0
	.set _ZL8moe_q4_1IN3c108BFloat16ELb1EEvPKvS3_PT_PKiS7_S7_iiiiiii.private_seg_size, 0
	.set _ZL8moe_q4_1IN3c108BFloat16ELb1EEvPKvS3_PT_PKiS7_S7_iiiiiii.uses_vcc, 1
	.set _ZL8moe_q4_1IN3c108BFloat16ELb1EEvPKvS3_PT_PKiS7_S7_iiiiiii.uses_flat_scratch, 0
	.set _ZL8moe_q4_1IN3c108BFloat16ELb1EEvPKvS3_PT_PKiS7_S7_iiiiiii.has_dyn_sized_stack, 0
	.set _ZL8moe_q4_1IN3c108BFloat16ELb1EEvPKvS3_PT_PKiS7_S7_iiiiiii.has_recursion, 0
	.set _ZL8moe_q4_1IN3c108BFloat16ELb1EEvPKvS3_PT_PKiS7_S7_iiiiiii.has_indirect_call, 0
	.section	.AMDGPU.csdata,"",@progbits
; Kernel info:
; codeLenInByte = 4488
; TotalNumSgprs: 29
; NumVgprs: 110
; NumAgprs: 0
; TotalNumVgprs: 110
; ScratchSize: 0
; MemoryBound: 0
; FloatMode: 240
; IeeeMode: 1
; LDSByteSize: 22272 bytes/workgroup (compile time only)
; SGPRBlocks: 10
; VGPRBlocks: 13
; NumSGPRsForWavesPerEU: 81
; NumVGPRsForWavesPerEU: 110
; AccumOffset: 112
; Occupancy: 4
; WaveLimiterHint : 1
; COMPUTE_PGM_RSRC2:SCRATCH_EN: 0
; COMPUTE_PGM_RSRC2:USER_SGPR: 2
; COMPUTE_PGM_RSRC2:TRAP_HANDLER: 0
; COMPUTE_PGM_RSRC2:TGID_X_EN: 1
; COMPUTE_PGM_RSRC2:TGID_Y_EN: 1
; COMPUTE_PGM_RSRC2:TGID_Z_EN: 0
; COMPUTE_PGM_RSRC2:TIDIG_COMP_CNT: 1
; COMPUTE_PGM_RSRC3_GFX90A:ACCUM_OFFSET: 27
; COMPUTE_PGM_RSRC3_GFX90A:TG_SPLIT: 0
	.section	.text._ZL8moe_q5_0IN3c108BFloat16ELb0EEvPKvS3_PT_PKiS7_S7_iiiiiii,"axG",@progbits,_ZL8moe_q5_0IN3c108BFloat16ELb0EEvPKvS3_PT_PKiS7_S7_iiiiiii,comdat
	.globl	_ZL8moe_q5_0IN3c108BFloat16ELb0EEvPKvS3_PT_PKiS7_S7_iiiiiii ; -- Begin function _ZL8moe_q5_0IN3c108BFloat16ELb0EEvPKvS3_PT_PKiS7_S7_iiiiiii
	.p2align	8
	.type	_ZL8moe_q5_0IN3c108BFloat16ELb0EEvPKvS3_PT_PKiS7_S7_iiiiiii,@function
_ZL8moe_q5_0IN3c108BFloat16ELb0EEvPKvS3_PT_PKiS7_S7_iiiiiii: ; @_ZL8moe_q5_0IN3c108BFloat16ELb0EEvPKvS3_PT_PKiS7_S7_iiiiiii
; %bb.0:
	s_load_dwordx4 s[4:7], s[0:1], 0x18
	s_mov_b32 s8, s3
	s_mov_b32 s9, 0
	s_lshl_b64 s[10:11], s[8:9], 2
	s_waitcnt lgkmcnt(0)
	s_add_u32 s6, s6, s10
	s_addc_u32 s7, s7, s11
	s_load_dword s3, s[6:7], 0x0
	s_waitcnt lgkmcnt(0)
	s_cmpk_gt_u32 s3, 0xff
	s_cbranch_scc1 .LBB221_26
; %bb.1:
	s_load_dwordx2 s[6:7], s[0:1], 0x28
	s_waitcnt lgkmcnt(0)
	s_load_dword s7, s[6:7], 0x0
	s_lshl_b32 s6, s8, 3
	s_waitcnt lgkmcnt(0)
	s_cmp_gt_u32 s6, s7
	s_cbranch_scc1 .LBB221_26
; %bb.2:
	v_bfe_u32 v2, v0, 10, 10
	v_mov_b32_e32 v4, s4
	v_mov_b32_e32 v5, s5
	v_add_u32_e32 v74, s6, v2
	v_mov_b32_e32 v75, 0
	v_lshl_add_u64 v[4:5], v[74:75], 2, v[4:5]
	global_load_dword v1, v[4:5], off
	s_load_dwordx2 s[14:15], s[0:1], 0x30
	s_load_dwordx2 s[12:13], s[0:1], 0x10
	s_load_dwordx4 s[4:7], s[0:1], 0x3c
	s_lshl_b32 s24, s2, 7
	v_mov_b32_e32 v74, v75
	s_waitcnt lgkmcnt(0)
	s_cmp_lt_i32 s15, 32
	v_mov_b32_e32 v105, v75
	v_mov_b32_e32 v104, v75
	s_cbranch_scc1 .LBB221_17
; %bb.3:
	s_load_dwordx4 s[8:11], s[0:1], 0x0
	s_ashr_i32 s0, s15, 31
	s_ashr_i32 s1, s5, 31
	s_lshr_b32 s0, s0, 27
	s_lshr_b32 s1, s1, 27
	s_add_i32 s0, s15, s0
	s_add_i32 s1, s5, s1
	v_and_b32_e32 v22, 0x3ff, v0
	s_ashr_i32 s25, s0, 5
	s_ashr_i32 s5, s1, 5
	v_lshlrev_b32_e32 v4, 3, v22
	s_movk_i32 s1, 0x104
	v_mul_lo_u32 v9, s25, v2
	v_mad_u32_u24 v112, v2, s1, v4
	s_lshl_b32 s1, s25, 3
	v_add_u32_e32 v10, s1, v9
	v_add_u32_e32 v11, s1, v10
	;; [unrolled: 1-line block ×13, first 2 shown]
	v_bfe_u32 v128, v0, 3, 7
	v_add_u32_e32 v75, s1, v74
	v_and_b32_e32 v102, 7, v0
	v_lshl_add_u32 v4, v2, 2, v128
	v_add_u32_e32 v92, s1, v75
	v_and_b32_e32 v5, 0x1ffc, v4
	v_lshlrev_b32_e32 v6, 2, v102
	s_mov_b32 s1, 0x8200
	v_add3_u32 v104, v5, v6, s1
	v_add_u32_e32 v5, 32, v4
	v_and_b32_e32 v7, 0x3ffc, v5
	v_lshlrev_b32_e32 v107, 5, v5
	v_add_u32_e32 v5, 64, v4
	v_mul_lo_u32 v96, s25, v4
	v_lshlrev_b32_e32 v105, 5, v4
	v_add3_u32 v106, v7, v6, s1
	v_and_b32_e32 v7, 0x3ffc, v5
	v_add_u32_e32 v4, 0x60, v4
	v_add3_u32 v108, v7, v6, s1
	v_lshlrev_b32_e32 v109, 5, v5
	v_and_b32_e32 v5, 0x3ffc, v4
	v_mov_b32_e32 v7, 0x9280
	s_mul_i32 s16, s3, s14
	v_add3_u32 v110, v5, v6, s1
	v_and_b32_e32 v6, 31, v0
	v_lshl_add_u32 v129, v2, 7, v7
	s_abs_i32 s3, s7
	v_lshl_or_b32 v130, v6, 2, v129
	v_mov_b32_e32 v6, 0x9680
	v_cvt_f32_u32_e32 v7, s3
	v_lshlrev_b32_e32 v3, 2, v22
	v_lshl_add_u32 v131, v2, 4, v6
	v_and_b32_e32 v24, 12, v3
	v_lshlrev_b32_e32 v111, 5, v4
	v_and_b32_e32 v4, 28, v3
	v_add_u32_e32 v132, v131, v3
	v_and_b32_e32 v2, 0xfc, v0
	v_lshlrev_b32_e32 v3, 5, v22
	v_add3_u32 v134, v3, v2, s1
	v_add_u32_e32 v2, 32, v22
	v_and_b32_e32 v3, 0x1fc, v2
	v_lshlrev_b32_e32 v6, 5, v2
	v_lshrrev_b32_e32 v138, 3, v2
	v_rcp_iflag_f32_e32 v2, v7
	s_andn2_b32 s0, s0, 31
	v_add_u32_e32 v98, s0, v96
	v_add3_u32 v135, v6, v3, s1
	v_mul_f32_e32 v2, 0x4f7ffffe, v2
	v_cvt_u32_f32_e32 v2, v2
	v_add_u32_e32 v3, 64, v22
	v_add_u32_e32 v100, s0, v98
	v_and_b32_e32 v6, 0x1fc, v3
	v_lshlrev_b32_e32 v3, 5, v3
	v_add_u32_e32 v103, s0, v100
	v_add3_u32 v136, v3, v6, s1
	v_add_u32_e32 v3, 0x60, v22
	s_sub_i32 s0, 0, s3
	v_and_b32_e32 v6, 0x1fc, v3
	v_lshlrev_b32_e32 v3, 5, v3
	v_mul_lo_u32 v7, s0, v2
	v_add3_u32 v137, v3, v6, s1
	s_waitcnt vmcnt(0)
	v_sub_u32_e32 v6, 0, v1
	v_mul_hi_u32 v7, v2, v7
	v_max_i32_e32 v6, v1, v6
	v_add_u32_e32 v2, v2, v7
	v_mul_hi_u32 v2, v6, v2
	v_mul_lo_u32 v7, v2, s3
	v_sub_u32_e32 v6, v6, v7
	v_add_u32_e32 v7, 1, v2
	v_cmp_le_u32_e64 s[0:1], s3, v6
	v_xor_b32_e32 v3, s7, v1
	v_ashrrev_i32_e32 v3, 31, v3
	v_cndmask_b32_e64 v2, v2, v7, s[0:1]
	v_subrev_u32_e32 v7, s3, v6
	v_cndmask_b32_e64 v6, v6, v7, s[0:1]
	v_add_u32_e32 v7, 1, v2
	v_cmp_le_u32_e64 s[0:1], s3, v6
	v_mov_b32_e32 v25, 0
	v_mov_b32_e32 v5, v25
	v_cndmask_b32_e64 v2, v2, v7, s[0:1]
	v_xor_b32_e32 v2, v2, v3
	v_sub_u32_e32 v2, v2, v3
	v_cmp_gt_i32_e64 s[0:1], s4, v2
	v_mul_lo_u32 v2, v2, s5
	v_ashrrev_i32_e32 v3, 31, v2
	v_mov_b32_e32 v23, v25
	s_waitcnt lgkmcnt(0)
	v_lshl_add_u64 v[26:27], s[10:11], 0, v[4:5]
	v_lshl_add_u64 v[4:5], v[2:3], 0, v[22:23]
	v_mad_u64_u32 v[6:7], s[20:21], v4, 36, s[10:11]
	s_mul_i32 s2, s25, s24
	v_mad_i32_i24 v7, v5, 36, v7
	s_mov_b64 s[20:21], 0x90
	v_lshl_add_u64 v[28:29], v[6:7], 0, s[20:21]
	s_mul_hi_i32 s3, s2, 22
	s_mul_i32 s20, s2, 22
	v_bfe_u32 v8, v0, 2, 8
	v_add_u32_e32 v139, v138, v2
	v_add_u32_e32 v140, v128, v2
	;; [unrolled: 1-line block ×3, first 2 shown]
	v_mov_b32_e32 v2, s20
	v_mov_b32_e32 v3, s3
	v_mad_u64_u32 v[2:3], s[20:21], v8, 22, v[2:3]
	v_mad_u64_u32 v[4:5], s[20:21], v9, 22, v[2:3]
	v_lshl_add_u64 v[6:7], v[4:5], 0, v[24:25]
	v_lshl_add_u64 v[6:7], s[8:9], 0, v[6:7]
	v_lshl_add_u64 v[32:33], s[8:9], 0, v[4:5]
	v_mad_u64_u32 v[4:5], s[20:21], v10, 22, v[2:3]
	v_lshl_add_u64 v[30:31], v[6:7], 0, 6
	v_lshl_add_u64 v[6:7], v[4:5], 0, v[24:25]
	v_lshl_add_u64 v[4:5], s[8:9], 0, v[4:5]
	v_lshl_add_u64 v[6:7], s[8:9], 0, v[6:7]
	v_lshl_add_u64 v[36:37], v[4:5], 0, 2
	v_mad_u64_u32 v[4:5], s[20:21], v11, 22, v[2:3]
	v_lshl_add_u64 v[34:35], v[6:7], 0, 6
	v_lshl_add_u64 v[6:7], v[4:5], 0, v[24:25]
	;; [unrolled: 6-line block ×14, first 2 shown]
	v_lshl_add_u64 v[4:5], s[8:9], 0, v[4:5]
	v_mad_u64_u32 v[2:3], s[20:21], v92, 22, v[2:3]
	v_lshl_add_u64 v[90:91], v[4:5], 0, 2
	v_lshl_add_u64 v[4:5], v[2:3], 0, v[24:25]
	;; [unrolled: 1-line block ×4, first 2 shown]
	v_mad_u64_u32 v[2:3], s[20:21], v96, 22, 0
	v_mad_i64_i32 v[2:3], s[20:21], s2, 22, v[2:3]
	v_mad_u64_u32 v[2:3], s[20:21], v102, 22, v[2:3]
	v_lshl_add_u64 v[96:97], s[8:9], 0, v[2:3]
	v_mad_u64_u32 v[2:3], s[20:21], v98, 22, 0
	v_mad_i64_i32 v[2:3], s[20:21], s2, 22, v[2:3]
	v_mad_u64_u32 v[2:3], s[20:21], v102, 22, v[2:3]
	v_lshl_add_u64 v[98:99], s[8:9], 0, v[2:3]
	;; [unrolled: 4-line block ×3, first 2 shown]
	v_mad_u64_u32 v[2:3], s[20:21], v103, 22, 0
	v_mad_i64_i32 v[2:3], s[2:3], s2, 22, v[2:3]
	v_cmp_gt_u32_e32 vcc, 4, v22
	v_lshl_add_u64 v[6:7], s[8:9], 0, v[6:7]
	v_lshl_add_u64 v[4:5], s[8:9], 0, v[4:5]
	v_mad_u64_u32 v[2:3], s[2:3], v102, 22, v[2:3]
	s_ashr_i32 s17, s16, 31
	v_add_u32_e32 v113, 0x820, v112
	v_add_u32_e32 v114, 0x1040, v112
	;; [unrolled: 1-line block ×15, first 2 shown]
	v_mul_u32_u24_e32 v133, 0x104, v22
	s_mov_b32 s14, 0
	s_and_b64 s[18:19], vcc, s[0:1]
	v_lshl_add_u64 v[88:89], v[6:7], 0, 6
	v_lshl_add_u64 v[92:93], v[4:5], 0, 6
	;; [unrolled: 1-line block ×3, first 2 shown]
	s_movk_i32 s26, 0x80
	s_movk_i32 s27, 0x1f00
	s_mov_b32 s28, 0xc0c0105
	v_add_u32_e32 v141, v104, v105
	v_add_u32_e32 v142, v106, v107
	;; [unrolled: 1-line block ×4, first 2 shown]
	s_mov_b64 s[8:9], 0x120
	s_mov_b64 s[20:21], 0xb0
	v_mov_b32_e32 v145, 8
	v_mov_b32_e32 v104, v25
	;; [unrolled: 1-line block ×5, first 2 shown]
	s_branch .LBB221_6
.LBB221_4:                              ;   in Loop: Header=BB221_6 Depth=1
	s_or_b64 exec, exec, s[22:23]
	s_waitcnt lgkmcnt(0)
	s_barrier
	ds_read_b128 v[14:17], v129
	ds_read_b128 v[18:21], v129 offset:16
	ds_read2_b32 v[106:107], v133 offset0:32 offset1:33
	ds_read_b128 v[2:5], v129 offset:32
	ds_read_b128 v[6:9], v129 offset:48
	ds_read_b128 v[10:13], v131
	ds_read2_b32 v[110:111], v133 offset0:34 offset1:35
	v_mov_b32_e32 v25, 0
	s_waitcnt lgkmcnt(4)
	v_dot4c_i32_i8_e32 v25, v106, v14
	v_dot4c_i32_i8_e32 v25, v107, v18
	ds_read2_b32 v[106:107], v133 offset0:36 offset1:37
	ds_read2_b32 v[146:147], v133 offset0:38 offset1:39
	;; [unrolled: 1-line block ×3, first 2 shown]
	s_waitcnt lgkmcnt(3)
	v_dot4c_i32_i8_e32 v25, v110, v15
	v_dot4c_i32_i8_e32 v25, v111, v19
	s_waitcnt lgkmcnt(2)
	v_dot4c_i32_i8_e32 v25, v106, v16
	v_add_u32_e32 v106, 0x2100, v133
	v_dot4c_i32_i8_e32 v25, v107, v20
	ds_read2_b32 v[148:149], v106 offset1:1
	s_waitcnt lgkmcnt(2)
	v_dot4c_i32_i8_e32 v25, v146, v17
	v_add_u32_e32 v146, 0x2108, v133
	v_dot4c_i32_i8_e32 v25, v147, v21
	ds_read2_b32 v[106:107], v137 offset0:4 offset1:5
	ds_read2_b32 v[110:111], v137 offset0:6 offset1:7
	ds_read2_b32 v[146:147], v146 offset1:1
	v_mov_b32_e32 v156, 0
	s_waitcnt lgkmcnt(3)
	v_dot4c_i32_i8_e32 v156, v148, v14
	v_add_u32_e32 v148, 0x2110, v133
	v_add_u32_e32 v150, 0x2118, v133
	;; [unrolled: 1-line block ×3, first 2 shown]
	v_dot4c_i32_i8_e32 v156, v149, v18
	ds_read2_b32 v[148:149], v148 offset1:1
	ds_read2_b32 v[150:151], v150 offset1:1
	;; [unrolled: 1-line block ×3, first 2 shown]
	s_waitcnt lgkmcnt(3)
	v_dot4c_i32_i8_e32 v156, v146, v15
	v_dot4c_i32_i8_e32 v156, v147, v19
	s_waitcnt lgkmcnt(2)
	v_dot4c_i32_i8_e32 v156, v148, v16
	v_dot4c_i32_i8_e32 v156, v149, v20
	v_mov_b32_e32 v157, 0
	s_waitcnt lgkmcnt(1)
	v_dot4c_i32_i8_e32 v156, v150, v17
	s_waitcnt lgkmcnt(0)
	v_dot4c_i32_i8_e32 v157, v152, v14
	v_add_u32_e32 v148, 0x4188, v133
	v_add_u32_e32 v150, 0x4190, v133
	;; [unrolled: 1-line block ×4, first 2 shown]
	v_dot4c_i32_i8_e32 v156, v151, v21
	ds_read2_b32 v[146:147], v136 offset0:4 offset1:5
	ds_read2_b32 v[148:149], v148 offset1:1
	v_dot4c_i32_i8_e32 v157, v153, v18
	ds_read2_b32 v[150:151], v150 offset1:1
	ds_read2_b32 v[152:153], v152 offset1:1
	;; [unrolled: 1-line block ×3, first 2 shown]
	v_mov_b32_e32 v158, 0
	v_mov_b32_e32 v159, 0
	s_waitcnt lgkmcnt(3)
	v_dot4c_i32_i8_e32 v157, v148, v15
	v_dot4c_i32_i8_e32 v157, v149, v19
	s_waitcnt lgkmcnt(0)
	v_dot4c_i32_i8_e32 v158, v154, v14
	v_add_u32_e32 v14, 0x6208, v133
	ds_read2_b32 v[148:149], v14 offset1:1
	v_dot4c_i32_i8_e32 v157, v150, v16
	v_dot4c_i32_i8_e32 v157, v151, v20
	;; [unrolled: 1-line block ×3, first 2 shown]
	v_add_u32_e32 v14, 0x6210, v133
	v_add_u32_e32 v154, 0x2120, v133
	v_dot4c_i32_i8_e32 v157, v153, v21
	v_dot4c_i32_i8_e32 v158, v155, v18
	v_add_u32_e32 v18, 0x6218, v133
	ds_read2_b32 v[150:151], v14 offset1:1
	ds_read2_b32 v[152:153], v18 offset1:1
	;; [unrolled: 1-line block ×3, first 2 shown]
	s_waitcnt lgkmcnt(3)
	v_dot4c_i32_i8_e32 v158, v148, v15
	v_dot4c_i32_i8_e32 v158, v149, v19
	ds_read2_b32 v[14:15], v133 offset0:42 offset1:43
	s_waitcnt lgkmcnt(3)
	v_dot4c_i32_i8_e32 v158, v150, v16
	v_dot4c_i32_i8_e32 v158, v151, v20
	s_waitcnt lgkmcnt(2)
	v_dot4c_i32_i8_e32 v158, v152, v17
	v_dot4c_i32_i8_e32 v159, v108, v2
	;; [unrolled: 1-line block ×4, first 2 shown]
	ds_read2_b32 v[16:17], v133 offset0:44 offset1:45
	ds_read2_b32 v[18:19], v133 offset0:46 offset1:47
	;; [unrolled: 1-line block ×3, first 2 shown]
	s_waitcnt lgkmcnt(3)
	v_dot4c_i32_i8_e32 v159, v14, v3
	v_add_u32_e32 v14, 0x2128, v133
	v_dot4c_i32_i8_e32 v159, v15, v7
	ds_read2_b32 v[14:15], v14 offset1:1
	s_waitcnt lgkmcnt(3)
	v_dot4c_i32_i8_e32 v159, v16, v4
	v_dot4c_i32_i8_e32 v159, v17, v8
	v_mov_b32_e32 v160, 0
	s_waitcnt lgkmcnt(2)
	v_dot4c_i32_i8_e32 v159, v18, v5
	v_dot4c_i32_i8_e32 v160, v154, v2
	v_add_u32_e32 v16, 0x2130, v133
	v_add_u32_e32 v18, 0x2138, v133
	;; [unrolled: 1-line block ×3, first 2 shown]
	v_dot4c_i32_i8_e32 v159, v19, v9
	v_dot4c_i32_i8_e32 v160, v155, v6
	ds_read2_b32 v[16:17], v16 offset1:1
	ds_read2_b32 v[18:19], v18 offset1:1
	;; [unrolled: 1-line block ×3, first 2 shown]
	s_waitcnt lgkmcnt(3)
	v_dot4c_i32_i8_e32 v160, v14, v3
	v_add_u32_e32 v14, 0x41a8, v133
	v_dot4c_i32_i8_e32 v160, v15, v7
	ds_read2_b32 v[14:15], v14 offset1:1
	s_waitcnt lgkmcnt(3)
	v_dot4c_i32_i8_e32 v160, v16, v4
	v_dot4c_i32_i8_e32 v160, v17, v8
	v_mov_b32_e32 v148, 0
	s_waitcnt lgkmcnt(2)
	v_dot4c_i32_i8_e32 v160, v18, v5
	s_waitcnt lgkmcnt(1)
	v_dot4c_i32_i8_e32 v148, v108, v2
	v_add_u32_e32 v16, 0x41b0, v133
	v_add_u32_e32 v18, 0x41b8, v133
	;; [unrolled: 1-line block ×3, first 2 shown]
	v_dot4c_i32_i8_e32 v160, v19, v9
	v_dot4c_i32_i8_e32 v148, v109, v6
	ds_read2_b32 v[16:17], v16 offset1:1
	ds_read2_b32 v[18:19], v18 offset1:1
	;; [unrolled: 1-line block ×3, first 2 shown]
	s_waitcnt lgkmcnt(3)
	v_dot4c_i32_i8_e32 v148, v14, v3
	v_dot4c_i32_i8_e32 v148, v15, v7
	s_waitcnt lgkmcnt(2)
	v_dot4c_i32_i8_e32 v148, v16, v4
	v_dot4c_i32_i8_e32 v148, v17, v8
	;; [unrolled: 3-line block ×3, first 2 shown]
	v_cvt_f32_i32_e32 v157, v157
	v_mov_b32_e32 v167, 0
	s_nop 0
	v_cvt_f32_i32_e32 v150, v148
	v_mov_b32_e32 v148, 0
	s_waitcnt lgkmcnt(0)
	v_dot4c_i32_i8_e32 v148, v108, v2
	v_add_u32_e32 v2, 0x6228, v133
	ds_read2_b32 v[14:15], v2 offset1:1
	v_add_u32_e32 v2, 0x6230, v133
	v_add_u32_e32 v108, 0x2140, v133
	v_dot4c_i32_i8_e32 v148, v109, v6
	v_add_u32_e32 v6, 0x6238, v133
	ds_read2_b32 v[16:17], v2 offset1:1
	ds_read2_b32 v[18:19], v6 offset1:1
	;; [unrolled: 1-line block ×3, first 2 shown]
	s_waitcnt lgkmcnt(3)
	v_dot4c_i32_i8_e32 v148, v14, v3
	v_dot4c_i32_i8_e32 v148, v15, v7
	s_waitcnt lgkmcnt(2)
	v_dot4c_i32_i8_e32 v148, v16, v4
	v_dot4c_i32_i8_e32 v148, v17, v8
	;; [unrolled: 3-line block ×3, first 2 shown]
	v_cvt_f32_i32_e32 v2, v158
	v_mul_f32_e32 v4, v10, v146
	v_mul_f32_e32 v18, v4, v157
	v_cvt_f32_i32_e32 v3, v148
	v_pk_mul_f32 v[4:5], v[10:11], v[106:107]
	ds_read2_b32 v[14:15], v135 offset0:4 offset1:5
	ds_read2_b32 v[16:17], v135 offset0:6 offset1:7
	v_mul_f32_e32 v19, v11, v147
	v_pk_mul_f32 v[106:107], v[4:5], v[2:3]
	ds_read_b128 v[2:5], v129 offset:64
	ds_read_b128 v[6:9], v129 offset:80
	ds_read2_b32 v[148:149], v136 offset0:6 offset1:7
	v_mul_f32_e32 v146, v19, v150
	ds_read2_b32 v[150:151], v133 offset0:50 offset1:51
	v_mov_b32_e32 v19, 0
	s_waitcnt lgkmcnt(3)
	v_dot4c_i32_i8_e32 v19, v20, v2
	s_waitcnt lgkmcnt(2)
	v_dot4c_i32_i8_e32 v19, v21, v6
	ds_read2_b32 v[20:21], v133 offset0:52 offset1:53
	ds_read2_b32 v[152:153], v133 offset0:54 offset1:55
	;; [unrolled: 1-line block ×3, first 2 shown]
	s_waitcnt lgkmcnt(3)
	v_dot4c_i32_i8_e32 v19, v150, v3
	v_dot4c_i32_i8_e32 v19, v151, v7
	s_waitcnt lgkmcnt(2)
	v_dot4c_i32_i8_e32 v19, v20, v4
	v_add_u32_e32 v20, 0x2148, v133
	v_dot4c_i32_i8_e32 v19, v21, v8
	ds_read2_b32 v[20:21], v20 offset1:1
	v_mov_b32_e32 v147, 0
	s_waitcnt lgkmcnt(2)
	v_dot4c_i32_i8_e32 v19, v152, v5
	v_dot4c_i32_i8_e32 v147, v108, v2
	v_add_u32_e32 v108, 0x2150, v133
	v_add_u32_e32 v150, 0x2158, v133
	;; [unrolled: 1-line block ×3, first 2 shown]
	v_dot4c_i32_i8_e32 v19, v153, v9
	v_dot4c_i32_i8_e32 v147, v109, v6
	ds_read2_b32 v[108:109], v108 offset1:1
	ds_read2_b32 v[150:151], v150 offset1:1
	;; [unrolled: 1-line block ×3, first 2 shown]
	s_waitcnt lgkmcnt(3)
	v_dot4c_i32_i8_e32 v147, v20, v3
	v_dot4c_i32_i8_e32 v147, v21, v7
	s_waitcnt lgkmcnt(2)
	v_dot4c_i32_i8_e32 v147, v108, v4
	v_dot4c_i32_i8_e32 v147, v109, v8
	v_mov_b32_e32 v157, 0
	s_waitcnt lgkmcnt(1)
	v_dot4c_i32_i8_e32 v147, v150, v5
	s_waitcnt lgkmcnt(0)
	v_dot4c_i32_i8_e32 v157, v152, v2
	v_add_u32_e32 v20, 0x41c8, v133
	v_add_u32_e32 v108, 0x41d0, v133
	;; [unrolled: 1-line block ×4, first 2 shown]
	v_dot4c_i32_i8_e32 v147, v151, v9
	v_dot4c_i32_i8_e32 v157, v153, v6
	ds_read2_b32 v[20:21], v20 offset1:1
	ds_read2_b32 v[108:109], v108 offset1:1
	;; [unrolled: 1-line block ×4, first 2 shown]
	v_mov_b32_e32 v163, v14
	s_waitcnt lgkmcnt(3)
	v_dot4c_i32_i8_e32 v157, v20, v3
	s_waitcnt lgkmcnt(0)
	v_dot4c_i32_i8_e32 v167, v152, v2
	v_add_u32_e32 v2, 0x6248, v133
	v_dot4c_i32_i8_e32 v157, v21, v7
	ds_read2_b32 v[20:21], v2 offset1:1
	v_dot4c_i32_i8_e32 v157, v108, v4
	v_dot4c_i32_i8_e32 v157, v109, v8
	;; [unrolled: 1-line block ×3, first 2 shown]
	v_add_u32_e32 v2, 0x6250, v133
	v_add_u32_e32 v152, 0x2160, v133
	v_dot4c_i32_i8_e32 v157, v151, v9
	v_dot4c_i32_i8_e32 v167, v153, v6
	v_add_u32_e32 v6, 0x6258, v133
	ds_read2_b32 v[108:109], v2 offset1:1
	ds_read2_b32 v[150:151], v6 offset1:1
	;; [unrolled: 1-line block ×3, first 2 shown]
	s_waitcnt lgkmcnt(3)
	v_dot4c_i32_i8_e32 v167, v20, v3
	v_dot4c_i32_i8_e32 v167, v21, v7
	s_waitcnt lgkmcnt(2)
	v_dot4c_i32_i8_e32 v167, v108, v4
	v_dot4c_i32_i8_e32 v167, v109, v8
	;; [unrolled: 3-line block ×3, first 2 shown]
	ds_read_b128 v[2:5], v129 offset:96
	ds_read_b128 v[6:9], v129 offset:112
	ds_read2_b32 v[108:109], v134 offset0:4 offset1:5
	v_cvt_f32_i32_e32 v166, v157
	v_cvt_f32_i32_e32 v21, v156
	;; [unrolled: 1-line block ×4, first 2 shown]
	s_waitcnt lgkmcnt(0)
	v_mov_b32_e32 v162, v108
	v_mov_b32_e32 v14, v109
	v_add_u32_e32 v108, 0x2168, v133
	ds_read2_b32 v[156:157], v133 offset0:58 offset1:59
	ds_read2_b32 v[158:159], v133 offset0:60 offset1:61
	;; [unrolled: 1-line block ×4, first 2 shown]
	ds_read2_b32 v[108:109], v108 offset1:1
	v_pk_mul_f32 v[162:163], v[10:11], v[162:163] op_sel_hi:[0,1]
	v_pk_mul_f32 v[10:11], v[10:11], v[14:15] op_sel:[1,0]
	v_cvt_f32_i32_e32 v14, v19
	v_mov_b32_e32 v19, 0
	v_dot4c_i32_i8_e32 v19, v154, v2
	v_cvt_f32_i32_e32 v20, v25
	v_dot4c_i32_i8_e32 v19, v155, v6
	v_mov_b32_e32 v25, 0
	v_cvt_f32_i32_e32 v15, v147
	s_waitcnt lgkmcnt(4)
	v_dot4c_i32_i8_e32 v19, v156, v3
	v_dot4c_i32_i8_e32 v25, v152, v2
	v_add_u32_e32 v147, 0x2170, v133
	v_add_u32_e32 v154, 0x2178, v133
	;; [unrolled: 1-line block ×3, first 2 shown]
	v_dot4c_i32_i8_e32 v19, v157, v7
	v_dot4c_i32_i8_e32 v25, v153, v6
	ds_read2_b32 v[152:153], v147 offset1:1
	ds_read2_b32 v[154:155], v154 offset1:1
	;; [unrolled: 1-line block ×3, first 2 shown]
	s_waitcnt lgkmcnt(3)
	v_dot4c_i32_i8_e32 v25, v108, v3
	v_dot4c_i32_i8_e32 v25, v109, v7
	;; [unrolled: 1-line block ×3, first 2 shown]
	s_waitcnt lgkmcnt(2)
	v_dot4c_i32_i8_e32 v25, v152, v4
	v_dot4c_i32_i8_e32 v19, v159, v8
	;; [unrolled: 1-line block ×4, first 2 shown]
	s_waitcnt lgkmcnt(1)
	v_dot4c_i32_i8_e32 v25, v154, v5
	v_dot4c_i32_i8_e32 v19, v161, v9
	;; [unrolled: 1-line block ×3, first 2 shown]
	v_add_u32_e32 v158, 0x6260, v133
	v_add_u32_e32 v147, 0x41f8, v133
	v_cvt_f32_i32_e32 v108, v19
	v_cvt_f32_i32_e32 v109, v25
	v_mov_b32_e32 v19, 0
	v_add_u32_e32 v25, 0x41e8, v133
	s_waitcnt lgkmcnt(0)
	v_dot4c_i32_i8_e32 v19, v156, v2
	ds_read2_b32 v[152:153], v25 offset1:1
	v_add_u32_e32 v25, 0x41f0, v133
	v_dot4c_i32_i8_e32 v19, v157, v6
	ds_read2_b32 v[154:155], v25 offset1:1
	ds_read2_b32 v[156:157], v147 offset1:1
	;; [unrolled: 1-line block ×3, first 2 shown]
	v_mov_b32_e32 v25, 0
	s_waitcnt lgkmcnt(3)
	v_dot4c_i32_i8_e32 v19, v152, v3
	v_dot4c_i32_i8_e32 v19, v153, v7
	s_waitcnt lgkmcnt(2)
	v_dot4c_i32_i8_e32 v19, v154, v4
	s_waitcnt lgkmcnt(0)
	v_dot4c_i32_i8_e32 v25, v158, v2
	v_add_u32_e32 v2, 0x6268, v133
	ds_read2_b32 v[152:153], v2 offset1:1
	v_add_u32_e32 v2, 0x6270, v133
	v_dot4c_i32_i8_e32 v19, v155, v8
	ds_read2_b32 v[154:155], v2 offset1:1
	v_dot4c_i32_i8_e32 v19, v156, v5
	v_add_u32_e32 v2, 0x6278, v133
	v_dot4c_i32_i8_e32 v19, v157, v9
	v_dot4c_i32_i8_e32 v25, v159, v6
	ds_read2_b32 v[156:157], v2 offset1:1
	s_waitcnt lgkmcnt(2)
	v_dot4c_i32_i8_e32 v25, v152, v3
	v_dot4c_i32_i8_e32 v25, v153, v7
	s_waitcnt lgkmcnt(1)
	v_dot4c_i32_i8_e32 v25, v154, v4
	v_dot4c_i32_i8_e32 v25, v155, v8
	;; [unrolled: 3-line block ×3, first 2 shown]
	v_cvt_f32_i32_e32 v19, v19
	v_cvt_f32_i32_e32 v4, v167
	v_mov_b32_e32 v2, v164
	v_cvt_f32_i32_e32 v5, v25
	v_mov_b32_e32 v3, v16
	v_pk_mul_f32 v[8:9], v[12:13], v[110:111]
	v_mul_f32_e32 v7, v13, v149
	v_pk_mul_f32 v[2:3], v[12:13], v[2:3] op_sel_hi:[0,1]
	v_mul_f32_e32 v6, v12, v148
	v_pk_mul_f32 v[4:5], v[8:9], v[4:5]
	v_mov_b32_e32 v8, v13
	v_mov_b32_e32 v16, v165
	v_mul_f32_e32 v12, v7, v19
	v_mov_b32_e32 v19, v106
	v_pk_mul_f32 v[8:9], v[8:9], v[16:17] op_sel_hi:[0,1]
	v_mov_b32_e32 v147, v107
	v_mov_b32_e32 v7, v4
	;; [unrolled: 1-line block ×3, first 2 shown]
	v_pk_fma_f32 v[4:5], v[162:163], v[20:21], v[104:105]
	v_pk_add_f32 v[16:17], v[74:75], v[18:19]
	v_mul_f32_e32 v6, v6, v166
	v_pk_fma_f32 v[4:5], v[10:11], v[150:151], v[4:5]
	v_pk_add_f32 v[10:11], v[16:17], v[146:147]
	v_pk_fma_f32 v[2:3], v[2:3], v[14:15], v[4:5]
	v_pk_add_f32 v[4:5], v[10:11], v[6:7]
	;; [unrolled: 2-line block ×3, first 2 shown]
	s_barrier
.LBB221_5:                              ;   in Loop: Header=BB221_6 Depth=1
	s_add_i32 s14, s14, 8
	s_addk_i32 s26, 0x100
	v_lshl_add_u64 v[28:29], v[28:29], 0, s[8:9]
	v_lshl_add_u64 v[30:31], v[30:31], 0, s[20:21]
	;; [unrolled: 1-line block ×36, first 2 shown]
	s_cmp_ge_i32 s14, s25
	v_lshl_add_u64 v[102:103], v[102:103], 0, s[20:21]
	s_cbranch_scc1 .LBB221_17
.LBB221_6:                              ; =>This Inner Loop Header: Depth=1
	v_lshl_add_u64 v[2:3], v[30:31], 0, s[16:17]
	global_load_dword v4, v[2:3], off
	v_lshl_add_u64 v[2:3], v[32:33], 0, s[16:17]
	global_load_dword v2, v[2:3], off offset:2
	s_add_i32 s2, s26, 0xffffff80
	s_cmp_lt_i32 s2, s15
	s_waitcnt vmcnt(1)
	v_and_b32_e32 v3, 0xf0f0f0f, v4
	v_lshrrev_b32_e32 v4, 4, v4
	s_waitcnt vmcnt(0)
	v_ashrrev_i32_e32 v2, v24, v2
	v_lshlrev_b32_e32 v5, 4, v2
	v_lshlrev_b32_e32 v6, 11, v2
	v_and_b32_e32 v5, 16, v5
	v_and_b32_e32 v6, 0x1000, v6
	v_or3_b32 v5, v5, v3, v6
	v_lshlrev_b32_e32 v6, 18, v2
	v_lshlrev_b32_e32 v7, 25, v2
	v_and_b32_e32 v6, 0x100000, v6
	v_and_b32_e32 v7, 0x10000000, v7
	v_or3_b32 v3, v3, v6, v7
	v_and_b32_e32 v6, 0x1f00, v5
	v_lshlrev_b16_e32 v5, 8, v5
	v_add_u16_e32 v6, 0xf000, v6
	v_add_u16_e32 v5, 0xf000, v5
	v_perm_b32 v5, v5, v6, s28
	v_and_b32_sdwa v6, v3, s27 dst_sel:DWORD dst_unused:UNUSED_PAD src0_sel:WORD_1 src1_sel:DWORD
	v_lshlrev_b16_sdwa v3, v145, v3 dst_sel:DWORD dst_unused:UNUSED_PAD src0_sel:DWORD src1_sel:WORD_1
	v_add_u16_e32 v6, 0xf000, v6
	v_add_u16_e32 v3, 0xf000, v3
	v_perm_b32 v3, v3, v6, s28
	v_lshl_or_b32 v3, v3, 16, v5
	v_lshrrev_b32_e32 v5, 12, v2
	v_lshrrev_b32_e32 v6, 5, v2
	v_and_b32_e32 v4, 0xf0f0f0f, v4
	v_and_b32_e32 v5, 16, v5
	v_and_b32_e32 v6, 0x1000, v6
	v_or3_b32 v5, v5, v4, v6
	v_lshlrev_b32_e32 v6, 2, v2
	v_lshlrev_b32_e32 v2, 9, v2
	v_and_b32_e32 v6, 0x100000, v6
	v_and_b32_e32 v2, 0x10000000, v2
	v_or3_b32 v2, v4, v6, v2
	v_and_b32_sdwa v4, v2, s27 dst_sel:DWORD dst_unused:UNUSED_PAD src0_sel:WORD_1 src1_sel:DWORD
	v_lshlrev_b16_sdwa v2, v145, v2 dst_sel:DWORD dst_unused:UNUSED_PAD src0_sel:DWORD src1_sel:WORD_1
	v_add_u16_e32 v4, 0xf000, v4
	v_add_u16_e32 v2, 0xf000, v2
	v_perm_b32 v2, v2, v4, s28
	v_lshlrev_b16_e32 v4, 8, v5
	v_add_u16_e32 v4, 0xf000, v4
	v_lshrrev_b16_e32 v4, 8, v4
	v_bitop3_b16 v4, v5, v4, s27 bitop3:0xec
	v_add_u16_e32 v4, 0xf000, v4
	v_lshl_or_b32 v2, v2, 16, v4
	ds_write2_b32 v112, v3, v2 offset1:1
	v_lshl_add_u64 v[2:3], v[34:35], 0, s[16:17]
	global_load_dword v4, v[2:3], off
	v_lshl_add_u64 v[2:3], v[36:37], 0, s[16:17]
	global_load_dword v2, v[2:3], off
	s_waitcnt vmcnt(1)
	v_and_b32_e32 v3, 0xf0f0f0f, v4
	v_lshrrev_b32_e32 v4, 4, v4
	s_waitcnt vmcnt(0)
	v_ashrrev_i32_e32 v2, v24, v2
	v_lshlrev_b32_e32 v5, 4, v2
	v_lshlrev_b32_e32 v6, 11, v2
	v_and_b32_e32 v5, 16, v5
	v_and_b32_e32 v6, 0x1000, v6
	v_or3_b32 v5, v5, v3, v6
	v_lshlrev_b32_e32 v6, 18, v2
	v_lshlrev_b32_e32 v7, 25, v2
	v_and_b32_e32 v6, 0x100000, v6
	v_and_b32_e32 v7, 0x10000000, v7
	v_or3_b32 v3, v3, v6, v7
	v_and_b32_e32 v6, 0x1f00, v5
	v_lshlrev_b16_e32 v5, 8, v5
	v_add_u16_e32 v6, 0xf000, v6
	v_add_u16_e32 v5, 0xf000, v5
	v_perm_b32 v5, v5, v6, s28
	v_and_b32_sdwa v6, v3, s27 dst_sel:DWORD dst_unused:UNUSED_PAD src0_sel:WORD_1 src1_sel:DWORD
	v_lshlrev_b16_sdwa v3, v145, v3 dst_sel:DWORD dst_unused:UNUSED_PAD src0_sel:DWORD src1_sel:WORD_1
	v_add_u16_e32 v6, 0xf000, v6
	v_add_u16_e32 v3, 0xf000, v3
	v_perm_b32 v3, v3, v6, s28
	v_lshl_or_b32 v3, v3, 16, v5
	v_lshrrev_b32_e32 v5, 12, v2
	v_lshrrev_b32_e32 v6, 5, v2
	v_and_b32_e32 v4, 0xf0f0f0f, v4
	v_and_b32_e32 v5, 16, v5
	v_and_b32_e32 v6, 0x1000, v6
	v_or3_b32 v5, v5, v4, v6
	v_lshlrev_b32_e32 v6, 2, v2
	v_lshlrev_b32_e32 v2, 9, v2
	v_and_b32_e32 v6, 0x100000, v6
	v_and_b32_e32 v2, 0x10000000, v2
	v_or3_b32 v2, v4, v6, v2
	v_and_b32_sdwa v4, v2, s27 dst_sel:DWORD dst_unused:UNUSED_PAD src0_sel:WORD_1 src1_sel:DWORD
	v_lshlrev_b16_sdwa v2, v145, v2 dst_sel:DWORD dst_unused:UNUSED_PAD src0_sel:DWORD src1_sel:WORD_1
	v_add_u16_e32 v4, 0xf000, v4
	v_add_u16_e32 v2, 0xf000, v2
	v_perm_b32 v2, v2, v4, s28
	v_lshlrev_b16_e32 v4, 8, v5
	v_add_u16_e32 v4, 0xf000, v4
	v_lshrrev_b16_e32 v4, 8, v4
	v_bitop3_b16 v4, v5, v4, s27 bitop3:0xec
	v_add_u16_e32 v4, 0xf000, v4
	v_lshl_or_b32 v2, v2, 16, v4
	ds_write2_b32 v113, v3, v2 offset1:1
	v_lshl_add_u64 v[2:3], v[38:39], 0, s[16:17]
	global_load_dword v4, v[2:3], off
	v_lshl_add_u64 v[2:3], v[40:41], 0, s[16:17]
	global_load_dword v2, v[2:3], off
	;; [unrolled: 53-line block ×15, first 2 shown]
	s_waitcnt vmcnt(1)
	v_and_b32_e32 v3, 0xf0f0f0f, v4
	v_lshrrev_b32_e32 v4, 4, v4
	s_waitcnt vmcnt(0)
	v_ashrrev_i32_e32 v2, v24, v2
	v_lshlrev_b32_e32 v5, 4, v2
	v_lshlrev_b32_e32 v6, 11, v2
	v_and_b32_e32 v5, 16, v5
	v_and_b32_e32 v6, 0x1000, v6
	v_or3_b32 v5, v5, v3, v6
	v_lshlrev_b32_e32 v6, 18, v2
	v_lshlrev_b32_e32 v7, 25, v2
	v_and_b32_e32 v6, 0x100000, v6
	v_and_b32_e32 v7, 0x10000000, v7
	v_or3_b32 v3, v3, v6, v7
	v_and_b32_e32 v6, 0x1f00, v5
	v_lshlrev_b16_e32 v5, 8, v5
	v_add_u16_e32 v6, 0xf000, v6
	v_add_u16_e32 v5, 0xf000, v5
	v_perm_b32 v5, v5, v6, s28
	v_and_b32_sdwa v6, v3, s27 dst_sel:DWORD dst_unused:UNUSED_PAD src0_sel:WORD_1 src1_sel:DWORD
	v_lshlrev_b16_sdwa v3, v145, v3 dst_sel:DWORD dst_unused:UNUSED_PAD src0_sel:DWORD src1_sel:WORD_1
	v_add_u16_e32 v6, 0xf000, v6
	v_add_u16_e32 v3, 0xf000, v3
	v_perm_b32 v3, v3, v6, s28
	v_lshl_or_b32 v3, v3, 16, v5
	v_lshrrev_b32_e32 v5, 12, v2
	v_lshrrev_b32_e32 v6, 5, v2
	v_and_b32_e32 v4, 0xf0f0f0f, v4
	v_and_b32_e32 v5, 16, v5
	;; [unrolled: 1-line block ×3, first 2 shown]
	v_or3_b32 v5, v5, v4, v6
	v_lshlrev_b32_e32 v6, 2, v2
	v_lshlrev_b32_e32 v2, 9, v2
	v_and_b32_e32 v6, 0x100000, v6
	v_and_b32_e32 v2, 0x10000000, v2
	v_or3_b32 v2, v4, v6, v2
	v_and_b32_sdwa v4, v2, s27 dst_sel:DWORD dst_unused:UNUSED_PAD src0_sel:WORD_1 src1_sel:DWORD
	v_lshlrev_b16_sdwa v2, v145, v2 dst_sel:DWORD dst_unused:UNUSED_PAD src0_sel:DWORD src1_sel:WORD_1
	v_add_u16_e32 v4, 0xf000, v4
	v_add_u16_e32 v2, 0xf000, v2
	v_perm_b32 v2, v2, v4, s28
	v_lshlrev_b16_e32 v4, 8, v5
	v_add_u16_e32 v4, 0xf000, v4
	v_lshrrev_b16_e32 v4, 8, v4
	v_bitop3_b16 v4, v5, v4, s27 bitop3:0xec
	v_add_u16_e32 v4, 0xf000, v4
	v_lshl_or_b32 v2, v2, 16, v4
	ds_write2_b32 v127, v3, v2 offset1:1
	v_lshl_add_u64 v[2:3], v[96:97], 0, s[16:17]
	global_load_ushort v2, v[2:3], off
	s_waitcnt vmcnt(0)
	v_cvt_f32_f16_e32 v2, v2
	ds_write_b32 v141, v2
	v_lshl_add_u64 v[2:3], v[98:99], 0, s[16:17]
	global_load_ushort v2, v[2:3], off
	s_waitcnt vmcnt(0)
	v_cvt_f32_f16_e32 v2, v2
	ds_write_b32 v142, v2
	;; [unrolled: 5-line block ×4, first 2 shown]
	s_cbranch_scc0 .LBB221_5
; %bb.7:                                ;   in Loop: Header=BB221_6 Depth=1
	v_add_u32_e32 v2, s14, v128
	v_cmp_gt_i32_e64 s[2:3], s5, v2
	s_and_b64 s[22:23], s[0:1], s[2:3]
	s_and_saveexec_b64 s[2:3], s[22:23]
	s_cbranch_execz .LBB221_9
; %bb.8:                                ;   in Loop: Header=BB221_6 Depth=1
	v_add_u32_e32 v2, s14, v140
	v_mad_i64_i32 v[2:3], s[22:23], v2, 36, v[26:27]
	global_load_dword v2, v[2:3], off offset:4
	s_waitcnt vmcnt(0)
	ds_write_b32 v130, v2
.LBB221_9:                              ;   in Loop: Header=BB221_6 Depth=1
	s_or_b64 exec, exec, s[2:3]
	v_add_u32_e32 v25, s14, v22
	v_cmp_gt_i32_e64 s[2:3], s5, v25
	s_and_b64 s[22:23], s[18:19], s[2:3]
	s_and_saveexec_b64 s[2:3], s[22:23]
	s_cbranch_execz .LBB221_11
; %bb.10:                               ;   in Loop: Header=BB221_6 Depth=1
	v_add_u32_e32 v2, s14, v23
	v_mad_i64_i32 v[2:3], s[22:23], v2, 36, s[10:11]
	global_load_dword v2, v[2:3], off
	s_waitcnt vmcnt(0)
	v_cvt_f32_f16_e32 v2, v2
	ds_write_b32 v132, v2
.LBB221_11:                             ;   in Loop: Header=BB221_6 Depth=1
	s_or_b64 exec, exec, s[2:3]
	s_waitcnt lgkmcnt(0)
	s_barrier
	ds_read_b128 v[14:17], v129
	ds_read_b128 v[18:21], v129 offset:16
	ds_read2_b32 v[106:107], v133 offset1:1
	ds_read_b128 v[2:5], v129 offset:32
	ds_read_b128 v[6:9], v129 offset:48
	ds_read_b128 v[10:13], v131
	ds_read2_b32 v[110:111], v133 offset0:2 offset1:3
	v_mov_b32_e32 v146, 0
	s_waitcnt lgkmcnt(4)
	v_dot4c_i32_i8_e32 v146, v106, v14
	v_dot4c_i32_i8_e32 v146, v107, v18
	ds_read2_b32 v[106:107], v133 offset0:4 offset1:5
	ds_read2_b32 v[148:149], v133 offset0:6 offset1:7
	;; [unrolled: 1-line block ×3, first 2 shown]
	s_waitcnt lgkmcnt(3)
	v_dot4c_i32_i8_e32 v146, v110, v15
	v_dot4c_i32_i8_e32 v146, v111, v19
	s_waitcnt lgkmcnt(2)
	v_dot4c_i32_i8_e32 v146, v106, v16
	v_add_u32_e32 v106, 0x2080, v133
	v_dot4c_i32_i8_e32 v146, v107, v20
	ds_read2_b32 v[150:151], v106 offset1:1
	s_waitcnt lgkmcnt(2)
	v_dot4c_i32_i8_e32 v146, v148, v17
	v_add_u32_e32 v148, 0x2088, v133
	v_dot4c_i32_i8_e32 v146, v149, v21
	ds_read2_b32 v[106:107], v137 offset1:1
	ds_read2_b32 v[110:111], v137 offset0:2 offset1:3
	ds_read2_b32 v[148:149], v148 offset1:1
	v_mov_b32_e32 v147, 0
	s_waitcnt lgkmcnt(3)
	v_dot4c_i32_i8_e32 v147, v150, v14
	v_add_u32_e32 v150, 0x2090, v133
	v_add_u32_e32 v152, 0x2098, v133
	;; [unrolled: 1-line block ×3, first 2 shown]
	v_dot4c_i32_i8_e32 v147, v151, v18
	ds_read2_b32 v[150:151], v150 offset1:1
	ds_read2_b32 v[152:153], v152 offset1:1
	;; [unrolled: 1-line block ×3, first 2 shown]
	s_waitcnt lgkmcnt(3)
	v_dot4c_i32_i8_e32 v147, v148, v15
	v_dot4c_i32_i8_e32 v147, v149, v19
	s_waitcnt lgkmcnt(2)
	v_dot4c_i32_i8_e32 v147, v150, v16
	v_dot4c_i32_i8_e32 v147, v151, v20
	v_mov_b32_e32 v158, 0
	s_waitcnt lgkmcnt(1)
	v_dot4c_i32_i8_e32 v147, v152, v17
	s_waitcnt lgkmcnt(0)
	v_dot4c_i32_i8_e32 v158, v154, v14
	v_add_u32_e32 v150, 0x4108, v133
	v_add_u32_e32 v152, 0x4110, v133
	;; [unrolled: 1-line block ×4, first 2 shown]
	v_dot4c_i32_i8_e32 v147, v153, v21
	ds_read2_b32 v[148:149], v136 offset1:1
	ds_read2_b32 v[150:151], v150 offset1:1
	v_dot4c_i32_i8_e32 v158, v155, v18
	ds_read2_b32 v[152:153], v152 offset1:1
	ds_read2_b32 v[154:155], v154 offset1:1
	;; [unrolled: 1-line block ×3, first 2 shown]
	v_mov_b32_e32 v159, 0
	v_mov_b32_e32 v160, 0
	s_waitcnt lgkmcnt(3)
	v_dot4c_i32_i8_e32 v158, v150, v15
	v_dot4c_i32_i8_e32 v158, v151, v19
	s_waitcnt lgkmcnt(0)
	v_dot4c_i32_i8_e32 v159, v156, v14
	v_add_u32_e32 v14, 0x6188, v133
	ds_read2_b32 v[150:151], v14 offset1:1
	v_dot4c_i32_i8_e32 v158, v152, v16
	v_dot4c_i32_i8_e32 v158, v153, v20
	;; [unrolled: 1-line block ×3, first 2 shown]
	v_add_u32_e32 v14, 0x6190, v133
	v_add_u32_e32 v156, 0x20a0, v133
	v_dot4c_i32_i8_e32 v158, v155, v21
	v_dot4c_i32_i8_e32 v159, v157, v18
	v_add_u32_e32 v18, 0x6198, v133
	ds_read2_b32 v[152:153], v14 offset1:1
	ds_read2_b32 v[154:155], v18 offset1:1
	;; [unrolled: 1-line block ×3, first 2 shown]
	s_waitcnt lgkmcnt(3)
	v_dot4c_i32_i8_e32 v159, v150, v15
	v_dot4c_i32_i8_e32 v159, v151, v19
	ds_read2_b32 v[14:15], v133 offset0:10 offset1:11
	s_waitcnt lgkmcnt(3)
	v_dot4c_i32_i8_e32 v159, v152, v16
	v_dot4c_i32_i8_e32 v159, v153, v20
	s_waitcnt lgkmcnt(2)
	v_dot4c_i32_i8_e32 v159, v154, v17
	v_dot4c_i32_i8_e32 v160, v108, v2
	;; [unrolled: 1-line block ×4, first 2 shown]
	ds_read2_b32 v[16:17], v133 offset0:12 offset1:13
	ds_read2_b32 v[18:19], v133 offset0:14 offset1:15
	;; [unrolled: 1-line block ×3, first 2 shown]
	s_waitcnt lgkmcnt(3)
	v_dot4c_i32_i8_e32 v160, v14, v3
	v_add_u32_e32 v14, 0x20a8, v133
	v_dot4c_i32_i8_e32 v160, v15, v7
	ds_read2_b32 v[14:15], v14 offset1:1
	s_waitcnt lgkmcnt(3)
	v_dot4c_i32_i8_e32 v160, v16, v4
	v_dot4c_i32_i8_e32 v160, v17, v8
	v_mov_b32_e32 v161, 0
	s_waitcnt lgkmcnt(2)
	v_dot4c_i32_i8_e32 v160, v18, v5
	v_dot4c_i32_i8_e32 v161, v156, v2
	v_add_u32_e32 v16, 0x20b0, v133
	v_add_u32_e32 v18, 0x20b8, v133
	;; [unrolled: 1-line block ×3, first 2 shown]
	v_dot4c_i32_i8_e32 v160, v19, v9
	v_dot4c_i32_i8_e32 v161, v157, v6
	ds_read2_b32 v[16:17], v16 offset1:1
	ds_read2_b32 v[18:19], v18 offset1:1
	;; [unrolled: 1-line block ×3, first 2 shown]
	s_waitcnt lgkmcnt(3)
	v_dot4c_i32_i8_e32 v161, v14, v3
	v_add_u32_e32 v14, 0x4128, v133
	v_dot4c_i32_i8_e32 v161, v15, v7
	ds_read2_b32 v[14:15], v14 offset1:1
	s_waitcnt lgkmcnt(3)
	v_dot4c_i32_i8_e32 v161, v16, v4
	v_dot4c_i32_i8_e32 v161, v17, v8
	v_mov_b32_e32 v150, 0
	s_waitcnt lgkmcnt(2)
	v_dot4c_i32_i8_e32 v161, v18, v5
	s_waitcnt lgkmcnt(1)
	v_dot4c_i32_i8_e32 v150, v108, v2
	v_add_u32_e32 v16, 0x4130, v133
	v_add_u32_e32 v18, 0x4138, v133
	;; [unrolled: 1-line block ×3, first 2 shown]
	v_dot4c_i32_i8_e32 v161, v19, v9
	v_dot4c_i32_i8_e32 v150, v109, v6
	ds_read2_b32 v[16:17], v16 offset1:1
	ds_read2_b32 v[18:19], v18 offset1:1
	ds_read2_b32 v[108:109], v108 offset1:1
	s_waitcnt lgkmcnt(3)
	v_dot4c_i32_i8_e32 v150, v14, v3
	v_dot4c_i32_i8_e32 v150, v15, v7
	s_waitcnt lgkmcnt(2)
	v_dot4c_i32_i8_e32 v150, v16, v4
	v_dot4c_i32_i8_e32 v150, v17, v8
	;; [unrolled: 3-line block ×3, first 2 shown]
	v_cvt_f32_i32_e32 v158, v158
	v_mov_b32_e32 v167, 0
	s_cmp_ge_i32 s26, s15
	v_cvt_f32_i32_e32 v152, v150
	v_mov_b32_e32 v150, 0
	s_waitcnt lgkmcnt(0)
	v_dot4c_i32_i8_e32 v150, v108, v2
	v_add_u32_e32 v2, 0x61a8, v133
	ds_read2_b32 v[14:15], v2 offset1:1
	v_add_u32_e32 v2, 0x61b0, v133
	v_add_u32_e32 v108, 0x20c0, v133
	v_dot4c_i32_i8_e32 v150, v109, v6
	v_add_u32_e32 v6, 0x61b8, v133
	ds_read2_b32 v[16:17], v2 offset1:1
	ds_read2_b32 v[18:19], v6 offset1:1
	;; [unrolled: 1-line block ×3, first 2 shown]
	s_waitcnt lgkmcnt(3)
	v_dot4c_i32_i8_e32 v150, v14, v3
	v_dot4c_i32_i8_e32 v150, v15, v7
	s_waitcnt lgkmcnt(2)
	v_dot4c_i32_i8_e32 v150, v16, v4
	v_dot4c_i32_i8_e32 v150, v17, v8
	;; [unrolled: 3-line block ×3, first 2 shown]
	v_cvt_f32_i32_e32 v2, v159
	v_mul_f32_e32 v4, v10, v148
	v_mul_f32_e32 v18, v4, v158
	v_cvt_f32_i32_e32 v3, v150
	v_pk_mul_f32 v[4:5], v[10:11], v[106:107]
	ds_read2_b32 v[14:15], v135 offset1:1
	ds_read2_b32 v[16:17], v135 offset0:2 offset1:3
	v_mul_f32_e32 v19, v11, v149
	v_pk_mul_f32 v[106:107], v[4:5], v[2:3]
	ds_read_b128 v[2:5], v129 offset:64
	ds_read_b128 v[6:9], v129 offset:80
	ds_read2_b32 v[150:151], v136 offset0:2 offset1:3
	v_mul_f32_e32 v148, v19, v152
	ds_read2_b32 v[152:153], v133 offset0:18 offset1:19
	v_mov_b32_e32 v19, 0
	s_waitcnt lgkmcnt(3)
	v_dot4c_i32_i8_e32 v19, v20, v2
	s_waitcnt lgkmcnt(2)
	v_dot4c_i32_i8_e32 v19, v21, v6
	ds_read2_b32 v[20:21], v133 offset0:20 offset1:21
	ds_read2_b32 v[154:155], v133 offset0:22 offset1:23
	;; [unrolled: 1-line block ×3, first 2 shown]
	s_waitcnt lgkmcnt(3)
	v_dot4c_i32_i8_e32 v19, v152, v3
	v_dot4c_i32_i8_e32 v19, v153, v7
	s_waitcnt lgkmcnt(2)
	v_dot4c_i32_i8_e32 v19, v20, v4
	v_add_u32_e32 v20, 0x20c8, v133
	v_dot4c_i32_i8_e32 v19, v21, v8
	ds_read2_b32 v[20:21], v20 offset1:1
	v_mov_b32_e32 v149, 0
	s_waitcnt lgkmcnt(2)
	v_dot4c_i32_i8_e32 v19, v154, v5
	v_dot4c_i32_i8_e32 v149, v108, v2
	v_add_u32_e32 v108, 0x20d0, v133
	v_add_u32_e32 v152, 0x20d8, v133
	;; [unrolled: 1-line block ×3, first 2 shown]
	v_dot4c_i32_i8_e32 v19, v155, v9
	v_dot4c_i32_i8_e32 v149, v109, v6
	ds_read2_b32 v[108:109], v108 offset1:1
	ds_read2_b32 v[152:153], v152 offset1:1
	;; [unrolled: 1-line block ×3, first 2 shown]
	s_waitcnt lgkmcnt(3)
	v_dot4c_i32_i8_e32 v149, v20, v3
	v_dot4c_i32_i8_e32 v149, v21, v7
	s_waitcnt lgkmcnt(2)
	v_dot4c_i32_i8_e32 v149, v108, v4
	v_dot4c_i32_i8_e32 v149, v109, v8
	v_mov_b32_e32 v158, 0
	s_waitcnt lgkmcnt(1)
	v_dot4c_i32_i8_e32 v149, v152, v5
	s_waitcnt lgkmcnt(0)
	v_dot4c_i32_i8_e32 v158, v154, v2
	v_add_u32_e32 v20, 0x4148, v133
	v_add_u32_e32 v108, 0x4150, v133
	;; [unrolled: 1-line block ×4, first 2 shown]
	v_dot4c_i32_i8_e32 v149, v153, v9
	v_dot4c_i32_i8_e32 v158, v155, v6
	ds_read2_b32 v[20:21], v20 offset1:1
	ds_read2_b32 v[108:109], v108 offset1:1
	;; [unrolled: 1-line block ×4, first 2 shown]
	v_mov_b32_e32 v163, v14
	s_waitcnt lgkmcnt(3)
	v_dot4c_i32_i8_e32 v158, v20, v3
	s_waitcnt lgkmcnt(0)
	v_dot4c_i32_i8_e32 v167, v154, v2
	v_add_u32_e32 v2, 0x61c8, v133
	v_dot4c_i32_i8_e32 v158, v21, v7
	ds_read2_b32 v[20:21], v2 offset1:1
	v_dot4c_i32_i8_e32 v158, v108, v4
	v_dot4c_i32_i8_e32 v158, v109, v8
	;; [unrolled: 1-line block ×3, first 2 shown]
	v_add_u32_e32 v2, 0x61d0, v133
	v_add_u32_e32 v154, 0x20e0, v133
	v_dot4c_i32_i8_e32 v158, v153, v9
	v_dot4c_i32_i8_e32 v167, v155, v6
	v_add_u32_e32 v6, 0x61d8, v133
	ds_read2_b32 v[108:109], v2 offset1:1
	ds_read2_b32 v[152:153], v6 offset1:1
	;; [unrolled: 1-line block ×3, first 2 shown]
	s_waitcnt lgkmcnt(3)
	v_dot4c_i32_i8_e32 v167, v20, v3
	v_dot4c_i32_i8_e32 v167, v21, v7
	s_waitcnt lgkmcnt(2)
	v_dot4c_i32_i8_e32 v167, v108, v4
	v_dot4c_i32_i8_e32 v167, v109, v8
	;; [unrolled: 3-line block ×3, first 2 shown]
	ds_read_b128 v[2:5], v129 offset:96
	ds_read_b128 v[6:9], v129 offset:112
	ds_read2_b32 v[108:109], v134 offset1:1
	v_cvt_f32_i32_e32 v21, v147
	v_cvt_f32_i32_e32 v20, v146
	v_cvt_f32_i32_e32 v147, v161
	v_cvt_f32_i32_e32 v146, v160
	s_waitcnt lgkmcnt(0)
	v_mov_b32_e32 v162, v108
	v_pk_mul_f32 v[162:163], v[10:11], v[162:163] op_sel_hi:[0,1]
	v_mov_b32_e32 v14, v109
	v_pk_fma_f32 v[20:21], v[162:163], v[20:21], v[104:105]
	v_pk_mul_f32 v[10:11], v[10:11], v[14:15] op_sel:[1,0]
	v_cvt_f32_i32_e32 v166, v158
	v_pk_fma_f32 v[10:11], v[10:11], v[146:147], v[20:21]
	v_add_u32_e32 v20, 0x20e8, v133
	ds_read2_b32 v[152:153], v133 offset0:26 offset1:27
	ds_read2_b32 v[158:159], v133 offset0:28 offset1:29
	;; [unrolled: 1-line block ×4, first 2 shown]
	ds_read2_b32 v[20:21], v20 offset1:1
	v_cvt_f32_i32_e32 v14, v19
	v_mov_b32_e32 v19, 0
	v_dot4c_i32_i8_e32 v19, v156, v2
	v_cvt_f32_i32_e32 v15, v149
	v_dot4c_i32_i8_e32 v19, v157, v6
	v_mov_b32_e32 v149, 0
	s_waitcnt lgkmcnt(4)
	v_dot4c_i32_i8_e32 v19, v152, v3
	v_dot4c_i32_i8_e32 v149, v154, v2
	v_add_u32_e32 v104, 0x20f0, v133
	v_add_u32_e32 v108, 0x20f8, v133
	;; [unrolled: 1-line block ×3, first 2 shown]
	v_dot4c_i32_i8_e32 v19, v153, v7
	v_dot4c_i32_i8_e32 v149, v155, v6
	ds_read2_b32 v[104:105], v104 offset1:1
	ds_read2_b32 v[108:109], v108 offset1:1
	;; [unrolled: 1-line block ×3, first 2 shown]
	s_waitcnt lgkmcnt(6)
	v_dot4c_i32_i8_e32 v19, v158, v4
	s_waitcnt lgkmcnt(3)
	v_dot4c_i32_i8_e32 v149, v20, v3
	v_dot4c_i32_i8_e32 v19, v159, v8
	;; [unrolled: 1-line block ×4, first 2 shown]
	s_waitcnt lgkmcnt(2)
	v_dot4c_i32_i8_e32 v149, v104, v4
	v_dot4c_i32_i8_e32 v19, v161, v9
	;; [unrolled: 1-line block ×3, first 2 shown]
	s_waitcnt lgkmcnt(1)
	v_dot4c_i32_i8_e32 v149, v108, v5
	v_dot4c_i32_i8_e32 v149, v109, v9
	v_cvt_f32_i32_e32 v20, v19
	v_mov_b32_e32 v19, 0
	s_waitcnt lgkmcnt(0)
	v_dot4c_i32_i8_e32 v19, v146, v2
	v_add_u32_e32 v104, 0x4168, v133
	v_add_u32_e32 v108, 0x4170, v133
	;; [unrolled: 1-line block ×3, first 2 shown]
	v_cvt_f32_i32_e32 v21, v149
	v_dot4c_i32_i8_e32 v19, v147, v6
	ds_read2_b32 v[104:105], v104 offset1:1
	v_add_u32_e32 v149, 0x61e0, v133
	ds_read2_b32 v[108:109], v108 offset1:1
	ds_read2_b32 v[146:147], v146 offset1:1
	;; [unrolled: 1-line block ×3, first 2 shown]
	v_mov_b32_e32 v149, 0
	s_waitcnt lgkmcnt(3)
	v_dot4c_i32_i8_e32 v19, v104, v3
	v_dot4c_i32_i8_e32 v19, v105, v7
	s_waitcnt lgkmcnt(0)
	v_dot4c_i32_i8_e32 v149, v152, v2
	v_add_u32_e32 v2, 0x61e8, v133
	ds_read2_b32 v[104:105], v2 offset1:1
	v_dot4c_i32_i8_e32 v19, v108, v4
	v_add_u32_e32 v2, 0x61f0, v133
	v_dot4c_i32_i8_e32 v19, v109, v8
	ds_read2_b32 v[108:109], v2 offset1:1
	v_dot4c_i32_i8_e32 v19, v146, v5
	v_add_u32_e32 v2, 0x61f8, v133
	v_dot4c_i32_i8_e32 v19, v147, v9
	v_dot4c_i32_i8_e32 v149, v153, v6
	ds_read2_b32 v[146:147], v2 offset1:1
	s_waitcnt lgkmcnt(2)
	v_dot4c_i32_i8_e32 v149, v104, v3
	v_dot4c_i32_i8_e32 v149, v105, v7
	s_waitcnt lgkmcnt(1)
	v_dot4c_i32_i8_e32 v149, v108, v4
	v_dot4c_i32_i8_e32 v149, v109, v8
	;; [unrolled: 3-line block ×3, first 2 shown]
	v_cvt_f32_i32_e32 v4, v167
	v_cvt_f32_i32_e32 v19, v19
	v_mov_b32_e32 v2, v164
	v_cvt_f32_i32_e32 v5, v149
	v_mov_b32_e32 v3, v16
	v_pk_mul_f32 v[8:9], v[12:13], v[110:111]
	v_pk_mul_f32 v[2:3], v[12:13], v[2:3] op_sel_hi:[0,1]
	v_pk_mul_f32 v[4:5], v[8:9], v[4:5]
	v_mov_b32_e32 v8, v13
	v_mov_b32_e32 v16, v165
	v_pk_fma_f32 v[2:3], v[2:3], v[14:15], v[10:11]
	v_pk_mul_f32 v[8:9], v[8:9], v[16:17] op_sel_hi:[0,1]
	v_pk_fma_f32 v[104:105], v[8:9], v[20:21], v[2:3]
	v_mul_f32_e32 v2, v13, v151
	v_mul_f32_e32 v2, v2, v19
	v_mov_b32_e32 v19, v106
	v_mul_f32_e32 v6, v12, v150
	v_pk_add_f32 v[8:9], v[74:75], v[18:19]
	v_mov_b32_e32 v149, v107
	v_mul_f32_e32 v6, v6, v166
	v_pk_add_f32 v[8:9], v[8:9], v[148:149]
	v_mov_b32_e32 v7, v4
	v_pk_add_f32 v[6:7], v[8:9], v[6:7]
	v_mov_b32_e32 v3, v5
	v_pk_add_f32 v[74:75], v[6:7], v[2:3]
	s_barrier
	s_cbranch_scc1 .LBB221_5
; %bb.12:                               ;   in Loop: Header=BB221_6 Depth=1
	v_add_u32_e32 v2, s14, v138
	v_cmp_gt_i32_e64 s[2:3], s5, v2
	s_and_b64 s[22:23], s[0:1], s[2:3]
	s_and_saveexec_b64 s[2:3], s[22:23]
	s_cbranch_execz .LBB221_14
; %bb.13:                               ;   in Loop: Header=BB221_6 Depth=1
	v_add_u32_e32 v2, s14, v139
	v_mad_i64_i32 v[2:3], s[22:23], v2, 36, v[26:27]
	global_load_dword v2, v[2:3], off offset:4
	s_waitcnt vmcnt(0)
	ds_write_b32 v130, v2
.LBB221_14:                             ;   in Loop: Header=BB221_6 Depth=1
	s_or_b64 exec, exec, s[2:3]
	s_and_saveexec_b64 s[22:23], vcc
	s_cbranch_execz .LBB221_4
; %bb.15:                               ;   in Loop: Header=BB221_6 Depth=1
	v_add_u32_e32 v2, 4, v25
	v_cmp_gt_i32_e64 s[2:3], s5, v2
	s_and_b64 s[2:3], s[0:1], s[2:3]
	s_and_b64 exec, exec, s[2:3]
	s_cbranch_execz .LBB221_4
; %bb.16:                               ;   in Loop: Header=BB221_6 Depth=1
	global_load_dword v2, v[28:29], off
	s_waitcnt vmcnt(0)
	v_cvt_f32_f16_e32 v2, v2
	ds_write_b32 v132, v2
	s_branch .LBB221_4
.LBB221_17:
	s_mul_i32 s0, s7, s4
	s_waitcnt vmcnt(0)
	v_cmp_gt_i32_e32 vcc, s0, v1
	s_and_saveexec_b64 s[0:1], vcc
	s_cbranch_execz .LBB221_26
; %bb.18:
	v_and_b32_e32 v0, 0x3ff, v0
	v_add_u32_e32 v2, s24, v0
	v_mul_lo_u32 v0, v1, s6
	v_cmp_gt_u32_e32 vcc, s6, v2
	s_and_saveexec_b64 s[0:1], vcc
	s_cbranch_execz .LBB221_20
; %bb.19:
	v_bfe_u32 v1, v104, 16, 1
	s_movk_i32 s2, 0x7fff
	v_add3_u32 v1, v104, v1, s2
	v_cmp_o_f32_e32 vcc, v104, v104
	v_mov_b32_e32 v3, 0x7fc0
	v_add_u32_e32 v4, v0, v2
	v_mov_b32_e32 v5, 0
	v_cndmask_b32_sdwa v1, v3, v1, vcc dst_sel:DWORD dst_unused:UNUSED_PAD src0_sel:DWORD src1_sel:WORD_1
	v_lshl_add_u64 v[4:5], v[4:5], 1, s[12:13]
	global_store_short v[4:5], v1, off
.LBB221_20:
	s_or_b64 exec, exec, s[0:1]
	v_add_u32_e32 v1, 32, v2
	v_cmp_gt_u32_e32 vcc, s6, v1
	s_and_saveexec_b64 s[0:1], vcc
	s_cbranch_execz .LBB221_22
; %bb.21:
	v_bfe_u32 v3, v105, 16, 1
	s_movk_i32 s2, 0x7fff
	v_add3_u32 v3, v105, v3, s2
	v_cmp_o_f32_e32 vcc, v105, v105
	v_mov_b32_e32 v4, 0x7fc0
	v_mov_b32_e32 v5, 0
	v_cndmask_b32_sdwa v3, v4, v3, vcc dst_sel:DWORD dst_unused:UNUSED_PAD src0_sel:DWORD src1_sel:WORD_1
	v_add_u32_e32 v4, v0, v1
	v_lshl_add_u64 v[4:5], v[4:5], 1, s[12:13]
	global_store_short v[4:5], v3, off
.LBB221_22:
	s_or_b64 exec, exec, s[0:1]
	v_add_u32_e32 v1, 64, v2
	v_cmp_gt_u32_e32 vcc, s6, v1
	s_and_saveexec_b64 s[0:1], vcc
	s_cbranch_execz .LBB221_24
; %bb.23:
	v_bfe_u32 v3, v74, 16, 1
	s_movk_i32 s2, 0x7fff
	v_add3_u32 v3, v74, v3, s2
	v_cmp_o_f32_e32 vcc, v74, v74
	v_mov_b32_e32 v4, 0x7fc0
	v_mov_b32_e32 v5, 0
	v_cndmask_b32_sdwa v3, v4, v3, vcc dst_sel:DWORD dst_unused:UNUSED_PAD src0_sel:DWORD src1_sel:WORD_1
	v_add_u32_e32 v4, v0, v1
	v_lshl_add_u64 v[4:5], v[4:5], 1, s[12:13]
	global_store_short v[4:5], v3, off
.LBB221_24:
	s_or_b64 exec, exec, s[0:1]
	v_add_u32_e32 v1, 0x60, v2
	v_cmp_gt_u32_e32 vcc, s6, v1
	s_and_b64 exec, exec, vcc
	s_cbranch_execz .LBB221_26
; %bb.25:
	v_bfe_u32 v2, v75, 16, 1
	s_movk_i32 s0, 0x7fff
	v_add3_u32 v2, v75, v2, s0
	v_cmp_o_f32_e32 vcc, v75, v75
	v_mov_b32_e32 v3, 0x7fc0
	v_add_u32_e32 v0, v0, v1
	v_mov_b32_e32 v1, 0
	v_cndmask_b32_sdwa v2, v3, v2, vcc dst_sel:DWORD dst_unused:UNUSED_PAD src0_sel:DWORD src1_sel:WORD_1
	v_lshl_add_u64 v[0:1], v[0:1], 1, s[12:13]
	global_store_short v[0:1], v2, off
.LBB221_26:
	s_endpgm
	.section	.rodata,"a",@progbits
	.p2align	6, 0x0
	.amdhsa_kernel _ZL8moe_q5_0IN3c108BFloat16ELb0EEvPKvS3_PT_PKiS7_S7_iiiiiii
		.amdhsa_group_segment_fixed_size 38656
		.amdhsa_private_segment_fixed_size 0
		.amdhsa_kernarg_size 76
		.amdhsa_user_sgpr_count 2
		.amdhsa_user_sgpr_dispatch_ptr 0
		.amdhsa_user_sgpr_queue_ptr 0
		.amdhsa_user_sgpr_kernarg_segment_ptr 1
		.amdhsa_user_sgpr_dispatch_id 0
		.amdhsa_user_sgpr_kernarg_preload_length 0
		.amdhsa_user_sgpr_kernarg_preload_offset 0
		.amdhsa_user_sgpr_private_segment_size 0
		.amdhsa_uses_dynamic_stack 0
		.amdhsa_enable_private_segment 0
		.amdhsa_system_sgpr_workgroup_id_x 1
		.amdhsa_system_sgpr_workgroup_id_y 1
		.amdhsa_system_sgpr_workgroup_id_z 0
		.amdhsa_system_sgpr_workgroup_info 0
		.amdhsa_system_vgpr_workitem_id 1
		.amdhsa_next_free_vgpr 168
		.amdhsa_next_free_sgpr 96
		.amdhsa_accum_offset 168
		.amdhsa_reserve_vcc 1
		.amdhsa_float_round_mode_32 0
		.amdhsa_float_round_mode_16_64 0
		.amdhsa_float_denorm_mode_32 3
		.amdhsa_float_denorm_mode_16_64 3
		.amdhsa_dx10_clamp 1
		.amdhsa_ieee_mode 1
		.amdhsa_fp16_overflow 0
		.amdhsa_tg_split 0
		.amdhsa_exception_fp_ieee_invalid_op 0
		.amdhsa_exception_fp_denorm_src 0
		.amdhsa_exception_fp_ieee_div_zero 0
		.amdhsa_exception_fp_ieee_overflow 0
		.amdhsa_exception_fp_ieee_underflow 0
		.amdhsa_exception_fp_ieee_inexact 0
		.amdhsa_exception_int_div_zero 0
	.end_amdhsa_kernel
	.section	.text._ZL8moe_q5_0IN3c108BFloat16ELb0EEvPKvS3_PT_PKiS7_S7_iiiiiii,"axG",@progbits,_ZL8moe_q5_0IN3c108BFloat16ELb0EEvPKvS3_PT_PKiS7_S7_iiiiiii,comdat
.Lfunc_end221:
	.size	_ZL8moe_q5_0IN3c108BFloat16ELb0EEvPKvS3_PT_PKiS7_S7_iiiiiii, .Lfunc_end221-_ZL8moe_q5_0IN3c108BFloat16ELb0EEvPKvS3_PT_PKiS7_S7_iiiiiii
                                        ; -- End function
	.set _ZL8moe_q5_0IN3c108BFloat16ELb0EEvPKvS3_PT_PKiS7_S7_iiiiiii.num_vgpr, 168
	.set _ZL8moe_q5_0IN3c108BFloat16ELb0EEvPKvS3_PT_PKiS7_S7_iiiiiii.num_agpr, 0
	.set _ZL8moe_q5_0IN3c108BFloat16ELb0EEvPKvS3_PT_PKiS7_S7_iiiiiii.numbered_sgpr, 29
	.set _ZL8moe_q5_0IN3c108BFloat16ELb0EEvPKvS3_PT_PKiS7_S7_iiiiiii.num_named_barrier, 0
	.set _ZL8moe_q5_0IN3c108BFloat16ELb0EEvPKvS3_PT_PKiS7_S7_iiiiiii.private_seg_size, 0
	.set _ZL8moe_q5_0IN3c108BFloat16ELb0EEvPKvS3_PT_PKiS7_S7_iiiiiii.uses_vcc, 1
	.set _ZL8moe_q5_0IN3c108BFloat16ELb0EEvPKvS3_PT_PKiS7_S7_iiiiiii.uses_flat_scratch, 0
	.set _ZL8moe_q5_0IN3c108BFloat16ELb0EEvPKvS3_PT_PKiS7_S7_iiiiiii.has_dyn_sized_stack, 0
	.set _ZL8moe_q5_0IN3c108BFloat16ELb0EEvPKvS3_PT_PKiS7_S7_iiiiiii.has_recursion, 0
	.set _ZL8moe_q5_0IN3c108BFloat16ELb0EEvPKvS3_PT_PKiS7_S7_iiiiiii.has_indirect_call, 0
	.section	.AMDGPU.csdata,"",@progbits
; Kernel info:
; codeLenInByte = 13012
; TotalNumSgprs: 35
; NumVgprs: 168
; NumAgprs: 0
; TotalNumVgprs: 168
; ScratchSize: 0
; MemoryBound: 0
; FloatMode: 240
; IeeeMode: 1
; LDSByteSize: 38656 bytes/workgroup (compile time only)
; SGPRBlocks: 12
; VGPRBlocks: 20
; NumSGPRsForWavesPerEU: 102
; NumVGPRsForWavesPerEU: 168
; AccumOffset: 168
; Occupancy: 3
; WaveLimiterHint : 1
; COMPUTE_PGM_RSRC2:SCRATCH_EN: 0
; COMPUTE_PGM_RSRC2:USER_SGPR: 2
; COMPUTE_PGM_RSRC2:TRAP_HANDLER: 0
; COMPUTE_PGM_RSRC2:TGID_X_EN: 1
; COMPUTE_PGM_RSRC2:TGID_Y_EN: 1
; COMPUTE_PGM_RSRC2:TGID_Z_EN: 0
; COMPUTE_PGM_RSRC2:TIDIG_COMP_CNT: 1
; COMPUTE_PGM_RSRC3_GFX90A:ACCUM_OFFSET: 41
; COMPUTE_PGM_RSRC3_GFX90A:TG_SPLIT: 0
	.section	.text._ZL8moe_q5_0IN3c108BFloat16ELb1EEvPKvS3_PT_PKiS7_S7_iiiiiii,"axG",@progbits,_ZL8moe_q5_0IN3c108BFloat16ELb1EEvPKvS3_PT_PKiS7_S7_iiiiiii,comdat
	.globl	_ZL8moe_q5_0IN3c108BFloat16ELb1EEvPKvS3_PT_PKiS7_S7_iiiiiii ; -- Begin function _ZL8moe_q5_0IN3c108BFloat16ELb1EEvPKvS3_PT_PKiS7_S7_iiiiiii
	.p2align	8
	.type	_ZL8moe_q5_0IN3c108BFloat16ELb1EEvPKvS3_PT_PKiS7_S7_iiiiiii,@function
_ZL8moe_q5_0IN3c108BFloat16ELb1EEvPKvS3_PT_PKiS7_S7_iiiiiii: ; @_ZL8moe_q5_0IN3c108BFloat16ELb1EEvPKvS3_PT_PKiS7_S7_iiiiiii
; %bb.0:
	s_load_dwordx4 s[4:7], s[0:1], 0x18
	s_mov_b32 s8, s3
	s_mov_b32 s9, 0
	s_lshl_b64 s[10:11], s[8:9], 2
	s_waitcnt lgkmcnt(0)
	s_add_u32 s6, s6, s10
	s_addc_u32 s7, s7, s11
	s_load_dword s3, s[6:7], 0x0
	s_waitcnt lgkmcnt(0)
	s_cmpk_gt_u32 s3, 0xff
	s_cbranch_scc1 .LBB222_26
; %bb.1:
	s_load_dwordx2 s[6:7], s[0:1], 0x28
	s_waitcnt lgkmcnt(0)
	s_load_dword s7, s[6:7], 0x0
	s_lshl_b32 s6, s8, 3
	s_waitcnt lgkmcnt(0)
	s_cmp_gt_u32 s6, s7
	s_cbranch_scc1 .LBB222_26
; %bb.2:
	v_bfe_u32 v2, v0, 10, 10
	v_mov_b32_e32 v4, s4
	v_mov_b32_e32 v5, s5
	v_add_u32_e32 v102, s6, v2
	v_mov_b32_e32 v103, 0
	v_lshl_add_u64 v[4:5], v[102:103], 2, v[4:5]
	global_load_dword v1, v[4:5], off
	s_load_dwordx8 s[4:11], s[0:1], 0x30
	s_load_dwordx2 s[16:17], s[0:1], 0x10
	s_waitcnt lgkmcnt(0)
	s_lshl_b32 s11, s2, 7
	v_mov_b32_e32 v102, v103
	v_mov_b32_e32 v137, v103
	s_cmp_lt_i32 s5, 32
	v_mov_b32_e32 v136, v103
	s_cbranch_scc1 .LBB222_17
; %bb.3:
	s_load_dwordx4 s[12:15], s[0:1], 0x0
	s_ashr_i32 s0, s5, 31
	s_lshr_b32 s0, s0, 27
	s_add_i32 s0, s5, s0
	s_ashr_i32 s26, s0, 5
	s_ashr_i32 s0, s8, 31
	s_lshr_b32 s0, s0, 27
	s_add_i32 s0, s8, s0
	s_ashr_i32 s8, s0, 5
	s_not_b32 s0, s11
	s_mul_i32 s18, s3, s4
	s_add_i32 s3, s6, s0
	v_and_b32_e32 v22, 0x3ff, v0
	v_min_i32_e32 v5, s3, v2
	v_lshlrev_b32_e32 v4, 3, v22
	s_movk_i32 s4, 0x104
	v_mul_lo_u32 v9, v5, s26
	v_mad_u64_u32 v[26:27], s[0:1], v5, s4, v[4:5]
	v_add_u32_e32 v5, 8, v2
	v_min_i32_e32 v5, s3, v5
	v_mul_lo_u32 v10, v5, s26
	v_mad_u64_u32 v[28:29], s[0:1], v5, s4, v[4:5]
	v_add_u32_e32 v5, 16, v2
	v_min_i32_e32 v5, s3, v5
	;; [unrolled: 4-line block ×15, first 2 shown]
	v_bfe_u32 v27, v0, 3, 7
	v_mad_u64_u32 v[56:57], s[0:1], v5, s4, v[4:5]
	v_lshl_add_u32 v4, v2, 2, v27
	v_mul_lo_u32 v55, v5, s26
	v_min_i32_e32 v5, s3, v4
	v_ashrrev_i32_e32 v6, 31, v5
	v_lshrrev_b32_e32 v6, 30, v6
	v_and_b32_e32 v57, 7, v0
	v_mul_lo_u32 v102, v5, s26
	v_add_u32_e32 v6, v5, v6
	v_lshlrev_b32_e32 v104, 5, v5
	v_add_u32_e32 v5, 32, v4
	v_and_b32_e32 v6, -4, v6
	v_lshlrev_b32_e32 v7, 2, v57
	s_mov_b32 s0, 0x8200
	v_min_i32_e32 v5, s3, v5
	v_add3_u32 v103, v6, v7, s0
	v_ashrrev_i32_e32 v6, 31, v5
	v_lshrrev_b32_e32 v6, 30, v6
	v_mul_lo_u32 v105, v5, s26
	v_add_u32_e32 v6, v5, v6
	v_lshlrev_b32_e32 v109, 5, v5
	v_add_u32_e32 v5, 64, v4
	v_and_b32_e32 v6, -4, v6
	v_min_i32_e32 v5, s3, v5
	v_add3_u32 v108, v6, v7, s0
	v_ashrrev_i32_e32 v6, 31, v5
	v_add_u32_e32 v4, 0x60, v4
	v_lshrrev_b32_e32 v6, 30, v6
	v_min_i32_e32 v4, s3, v4
	v_mul_lo_u32 v106, v5, s26
	v_add_u32_e32 v6, v5, v6
	v_lshlrev_b32_e32 v111, 5, v5
	v_ashrrev_i32_e32 v5, 31, v4
	v_lshrrev_b32_e32 v5, 30, v5
	v_add_u32_e32 v5, v4, v5
	v_and_b32_e32 v6, -4, v6
	v_and_b32_e32 v5, -4, v5
	v_add3_u32 v110, v6, v7, s0
	v_add3_u32 v112, v5, v7, s0
	v_mov_b32_e32 v7, 0x9280
	v_and_b32_e32 v6, 31, v0
	v_lshl_add_u32 v29, v2, 7, v7
	s_abs_i32 s3, s10
	v_lshl_or_b32 v31, v6, 2, v29
	v_mov_b32_e32 v6, 0x9680
	v_cvt_f32_u32_e32 v7, s3
	v_lshlrev_b32_e32 v3, 2, v22
	v_lshl_add_u32 v33, v2, 4, v6
	v_and_b32_e32 v24, 12, v3
	v_mul_lo_u32 v107, v4, s26
	v_lshlrev_b32_e32 v113, 5, v4
	v_and_b32_e32 v4, 28, v3
	v_add_u32_e32 v35, v33, v3
	v_and_b32_e32 v2, 0xfc, v0
	v_lshlrev_b32_e32 v3, 5, v22
	v_add3_u32 v37, v3, v2, s0
	v_add_u32_e32 v2, 32, v22
	v_and_b32_e32 v3, 0x1fc, v2
	v_lshlrev_b32_e32 v6, 5, v2
	v_lshrrev_b32_e32 v45, 3, v2
	v_rcp_iflag_f32_e32 v2, v7
	v_add3_u32 v39, v6, v3, s0
	v_add_u32_e32 v3, 64, v22
	v_and_b32_e32 v6, 0x1fc, v3
	v_mul_f32_e32 v2, 0x4f7ffffe, v2
	v_lshlrev_b32_e32 v3, 5, v3
	v_cvt_u32_f32_e32 v2, v2
	v_add3_u32 v41, v3, v6, s0
	v_add_u32_e32 v3, 0x60, v22
	v_and_b32_e32 v6, 0x1fc, v3
	v_lshlrev_b32_e32 v3, 5, v3
	v_add3_u32 v43, v3, v6, s0
	s_sub_i32 s0, 0, s3
	v_mul_lo_u32 v7, s0, v2
	s_waitcnt vmcnt(0)
	v_sub_u32_e32 v6, 0, v1
	v_mul_hi_u32 v7, v2, v7
	v_max_i32_e32 v6, v1, v6
	v_add_u32_e32 v2, v2, v7
	v_mul_hi_u32 v2, v6, v2
	v_mul_lo_u32 v7, v2, s3
	v_sub_u32_e32 v6, v6, v7
	v_add_u32_e32 v7, 1, v2
	v_cmp_le_u32_e64 s[0:1], s3, v6
	v_xor_b32_e32 v3, s10, v1
	v_ashrrev_i32_e32 v3, 31, v3
	v_cndmask_b32_e64 v2, v2, v7, s[0:1]
	v_subrev_u32_e32 v7, s3, v6
	v_cndmask_b32_e64 v6, v6, v7, s[0:1]
	v_add_u32_e32 v7, 1, v2
	v_cmp_le_u32_e64 s[0:1], s3, v6
	v_mov_b32_e32 v25, 0
	v_mov_b32_e32 v5, v25
	v_cndmask_b32_e64 v2, v2, v7, s[0:1]
	v_xor_b32_e32 v2, v2, v3
	v_sub_u32_e32 v2, v2, v3
	v_cmp_gt_i32_e64 s[0:1], s7, v2
	v_mul_lo_u32 v2, v2, s8
	v_ashrrev_i32_e32 v3, 31, v2
	v_mov_b32_e32 v23, v25
	s_mul_i32 s2, s26, s11
	s_waitcnt lgkmcnt(0)
	v_lshl_add_u64 v[58:59], s[14:15], 0, v[4:5]
	v_lshl_add_u64 v[4:5], v[2:3], 0, v[22:23]
	v_mad_u64_u32 v[6:7], s[22:23], v4, 36, s[14:15]
	s_mul_hi_i32 s3, s2, 22
	s_mul_i32 s6, s2, 22
	v_bfe_u32 v8, v0, 2, 8
	v_add_u32_e32 v47, v45, v2
	v_add_u32_e32 v49, v27, v2
	v_mad_i32_i24 v7, v5, 36, v7
	s_mov_b64 s[22:23], 0x90
	v_add_u32_e32 v23, v22, v2
	v_mov_b32_e32 v2, s6
	v_mov_b32_e32 v3, s3
	v_lshl_add_u64 v[60:61], v[6:7], 0, s[22:23]
	v_mad_u64_u32 v[2:3], s[22:23], v8, 22, v[2:3]
	v_mad_i64_i32 v[4:5], s[22:23], v9, 22, v[2:3]
	v_lshl_add_u64 v[6:7], v[4:5], 0, v[24:25]
	v_lshl_add_u64 v[6:7], s[12:13], 0, v[6:7]
	v_lshl_add_u64 v[64:65], s[12:13], 0, v[4:5]
	v_mad_i64_i32 v[4:5], s[22:23], v10, 22, v[2:3]
	v_lshl_add_u64 v[62:63], v[6:7], 0, 6
	v_lshl_add_u64 v[6:7], v[4:5], 0, v[24:25]
	v_lshl_add_u64 v[4:5], s[12:13], 0, v[4:5]
	v_lshl_add_u64 v[6:7], s[12:13], 0, v[6:7]
	v_lshl_add_u64 v[68:69], v[4:5], 0, 2
	v_mad_i64_i32 v[4:5], s[22:23], v11, 22, v[2:3]
	v_lshl_add_u64 v[66:67], v[6:7], 0, 6
	v_lshl_add_u64 v[6:7], v[4:5], 0, v[24:25]
	;; [unrolled: 6-line block ×9, first 2 shown]
	v_lshl_add_u64 v[4:5], s[12:13], 0, v[4:5]
	v_lshl_add_u64 v[6:7], s[12:13], 0, v[6:7]
	;; [unrolled: 1-line block ×3, first 2 shown]
	v_mad_i64_i32 v[4:5], s[22:23], v19, 22, v[2:3]
	v_lshl_add_u64 v[98:99], v[6:7], 0, 6
	v_mad_i64_i32 v[6:7], s[22:23], v20, 22, v[2:3]
	v_mad_i64_i32 v[10:11], s[22:23], v51, 22, v[2:3]
	v_mad_i64_i32 v[14:15], s[22:23], v102, 22, 0
	v_add_u32_e32 v51, v103, v104
	v_lshl_add_u64 v[102:103], v[4:5], 0, v[24:25]
	v_lshl_add_u64 v[4:5], s[12:13], 0, v[4:5]
	v_mad_i64_i32 v[8:9], s[22:23], v21, 22, v[2:3]
	v_mad_i64_i32 v[18:19], s[22:23], v106, 22, 0
	v_mad_i64_i32 v[20:21], s[22:23], v107, 22, 0
	v_lshl_add_u64 v[106:107], v[4:5], 0, 2
	v_lshl_add_u64 v[4:5], v[6:7], 0, v[24:25]
	;; [unrolled: 1-line block ×3, first 2 shown]
	v_mad_i64_i32 v[12:13], s[22:23], v53, 22, v[2:3]
	v_add_u32_e32 v53, v108, v109
	v_lshl_add_u64 v[108:109], v[4:5], 0, 6
	v_lshl_add_u64 v[4:5], s[12:13], 0, v[6:7]
	v_mad_i64_i32 v[2:3], s[22:23], v55, 22, v[2:3]
	v_mad_i64_i32 v[16:17], s[22:23], v105, 22, 0
	v_add_u32_e32 v55, v110, v111
	v_lshl_add_u64 v[110:111], v[4:5], 0, 2
	v_lshl_add_u64 v[4:5], v[8:9], 0, v[24:25]
	v_mad_i64_i32 v[14:15], s[22:23], s2, 22, v[14:15]
	v_mad_i64_i32 v[16:17], s[22:23], s2, 22, v[16:17]
	;; [unrolled: 1-line block ×4, first 2 shown]
	v_lshl_add_u64 v[4:5], s[12:13], 0, v[4:5]
	v_mad_u64_u32 v[14:15], s[22:23], v57, 22, v[14:15]
	v_mad_u64_u32 v[16:17], s[22:23], v57, 22, v[16:17]
	v_mad_u64_u32 v[18:19], s[22:23], v57, 22, v[18:19]
	v_mad_u64_u32 v[20:21], s[2:3], v57, 22, v[20:21]
	v_add_u32_e32 v57, v112, v113
	v_lshl_add_u64 v[112:113], v[4:5], 0, 6
	v_lshl_add_u64 v[4:5], s[12:13], 0, v[8:9]
	;; [unrolled: 1-line block ×14, first 2 shown]
	v_cmp_gt_u32_e32 vcc, 4, v22
	v_lshl_add_u64 v[102:103], s[12:13], 0, v[102:103]
	v_lshl_add_u64 v[4:5], s[12:13], 0, v[4:5]
	;; [unrolled: 1-line block ×3, first 2 shown]
	s_ashr_i32 s19, s18, 31
	s_mov_b32 s4, 0
	s_and_b64 s[20:21], vcc, s[0:1]
	v_lshl_add_u64 v[104:105], v[102:103], 0, 6
	v_lshl_add_u64 v[124:125], v[4:5], 0, 6
	v_lshl_add_u64 v[126:127], v[2:3], 0, 2
	v_lshl_add_u64 v[128:129], s[12:13], 0, v[14:15]
	v_lshl_add_u64 v[130:131], s[12:13], 0, v[16:17]
	v_lshl_add_u64 v[132:133], s[12:13], 0, v[18:19]
	v_lshl_add_u64 v[134:135], s[12:13], 0, v[20:21]
	s_movk_i32 s6, 0x80
	s_movk_i32 s27, 0x1f00
	s_mov_b32 s28, 0xc0c0105
	s_mov_b64 s[12:13], 0x120
	s_mov_b64 s[22:23], 0xb0
	v_mov_b32_e32 v136, v25
	v_mov_b32_e32 v137, v25
	;; [unrolled: 1-line block ×4, first 2 shown]
	v_mul_u32_u24_e32 v25, 0x104, v22
	v_mov_b32_e32 v144, 8
	s_branch .LBB222_6
.LBB222_4:                              ;   in Loop: Header=BB222_6 Depth=1
	s_or_b64 exec, exec, s[24:25]
	s_waitcnt lgkmcnt(0)
	s_barrier
	ds_read_b128 v[14:17], v29
	ds_read_b128 v[18:21], v29 offset:16
	ds_read2_b32 v[138:139], v25 offset0:32 offset1:33
	ds_read_b128 v[2:5], v29 offset:32
	ds_read_b128 v[6:9], v29 offset:48
	ds_read_b128 v[10:13], v33
	ds_read2_b32 v[142:143], v25 offset0:34 offset1:35
	v_mov_b32_e32 v145, 0
	s_waitcnt lgkmcnt(4)
	v_dot4c_i32_i8_e32 v145, v138, v14
	v_dot4c_i32_i8_e32 v145, v139, v18
	ds_read2_b32 v[138:139], v25 offset0:36 offset1:37
	ds_read2_b32 v[146:147], v25 offset0:38 offset1:39
	;; [unrolled: 1-line block ×3, first 2 shown]
	s_waitcnt lgkmcnt(3)
	v_dot4c_i32_i8_e32 v145, v142, v15
	v_dot4c_i32_i8_e32 v145, v143, v19
	s_waitcnt lgkmcnt(2)
	v_dot4c_i32_i8_e32 v145, v138, v16
	v_add_u32_e32 v138, 0x2100, v25
	v_dot4c_i32_i8_e32 v145, v139, v20
	ds_read2_b32 v[148:149], v138 offset1:1
	s_waitcnt lgkmcnt(2)
	v_dot4c_i32_i8_e32 v145, v146, v17
	v_add_u32_e32 v146, 0x2108, v25
	v_dot4c_i32_i8_e32 v145, v147, v21
	ds_read2_b32 v[138:139], v43 offset0:4 offset1:5
	ds_read2_b32 v[142:143], v43 offset0:6 offset1:7
	ds_read2_b32 v[146:147], v146 offset1:1
	v_mov_b32_e32 v156, 0
	s_waitcnt lgkmcnt(3)
	v_dot4c_i32_i8_e32 v156, v148, v14
	v_add_u32_e32 v148, 0x2110, v25
	v_add_u32_e32 v150, 0x2118, v25
	;; [unrolled: 1-line block ×3, first 2 shown]
	v_dot4c_i32_i8_e32 v156, v149, v18
	ds_read2_b32 v[148:149], v148 offset1:1
	ds_read2_b32 v[150:151], v150 offset1:1
	;; [unrolled: 1-line block ×3, first 2 shown]
	s_waitcnt lgkmcnt(3)
	v_dot4c_i32_i8_e32 v156, v146, v15
	v_dot4c_i32_i8_e32 v156, v147, v19
	s_waitcnt lgkmcnt(2)
	v_dot4c_i32_i8_e32 v156, v148, v16
	v_dot4c_i32_i8_e32 v156, v149, v20
	v_mov_b32_e32 v157, 0
	s_waitcnt lgkmcnt(1)
	v_dot4c_i32_i8_e32 v156, v150, v17
	s_waitcnt lgkmcnt(0)
	v_dot4c_i32_i8_e32 v157, v152, v14
	v_add_u32_e32 v148, 0x4188, v25
	v_add_u32_e32 v150, 0x4190, v25
	;; [unrolled: 1-line block ×4, first 2 shown]
	v_dot4c_i32_i8_e32 v156, v151, v21
	ds_read2_b32 v[146:147], v41 offset0:4 offset1:5
	ds_read2_b32 v[148:149], v148 offset1:1
	v_dot4c_i32_i8_e32 v157, v153, v18
	ds_read2_b32 v[150:151], v150 offset1:1
	ds_read2_b32 v[152:153], v152 offset1:1
	;; [unrolled: 1-line block ×3, first 2 shown]
	v_mov_b32_e32 v158, 0
	v_mov_b32_e32 v159, 0
	s_waitcnt lgkmcnt(3)
	v_dot4c_i32_i8_e32 v157, v148, v15
	v_dot4c_i32_i8_e32 v157, v149, v19
	s_waitcnt lgkmcnt(0)
	v_dot4c_i32_i8_e32 v158, v154, v14
	v_add_u32_e32 v14, 0x6208, v25
	ds_read2_b32 v[148:149], v14 offset1:1
	v_dot4c_i32_i8_e32 v157, v150, v16
	v_dot4c_i32_i8_e32 v157, v151, v20
	;; [unrolled: 1-line block ×3, first 2 shown]
	v_add_u32_e32 v14, 0x6210, v25
	v_add_u32_e32 v154, 0x2120, v25
	v_dot4c_i32_i8_e32 v157, v153, v21
	v_dot4c_i32_i8_e32 v158, v155, v18
	v_add_u32_e32 v18, 0x6218, v25
	ds_read2_b32 v[150:151], v14 offset1:1
	ds_read2_b32 v[152:153], v18 offset1:1
	;; [unrolled: 1-line block ×3, first 2 shown]
	s_waitcnt lgkmcnt(3)
	v_dot4c_i32_i8_e32 v158, v148, v15
	v_dot4c_i32_i8_e32 v158, v149, v19
	ds_read2_b32 v[14:15], v25 offset0:42 offset1:43
	s_waitcnt lgkmcnt(3)
	v_dot4c_i32_i8_e32 v158, v150, v16
	v_dot4c_i32_i8_e32 v158, v151, v20
	s_waitcnt lgkmcnt(2)
	v_dot4c_i32_i8_e32 v158, v152, v17
	v_dot4c_i32_i8_e32 v159, v140, v2
	;; [unrolled: 1-line block ×4, first 2 shown]
	ds_read2_b32 v[16:17], v25 offset0:44 offset1:45
	ds_read2_b32 v[18:19], v25 offset0:46 offset1:47
	;; [unrolled: 1-line block ×3, first 2 shown]
	s_waitcnt lgkmcnt(3)
	v_dot4c_i32_i8_e32 v159, v14, v3
	v_add_u32_e32 v14, 0x2128, v25
	v_dot4c_i32_i8_e32 v159, v15, v7
	ds_read2_b32 v[14:15], v14 offset1:1
	s_waitcnt lgkmcnt(3)
	v_dot4c_i32_i8_e32 v159, v16, v4
	v_dot4c_i32_i8_e32 v159, v17, v8
	v_mov_b32_e32 v160, 0
	s_waitcnt lgkmcnt(2)
	v_dot4c_i32_i8_e32 v159, v18, v5
	v_dot4c_i32_i8_e32 v160, v154, v2
	v_add_u32_e32 v16, 0x2130, v25
	v_add_u32_e32 v18, 0x2138, v25
	;; [unrolled: 1-line block ×3, first 2 shown]
	v_dot4c_i32_i8_e32 v159, v19, v9
	v_dot4c_i32_i8_e32 v160, v155, v6
	ds_read2_b32 v[16:17], v16 offset1:1
	ds_read2_b32 v[18:19], v18 offset1:1
	;; [unrolled: 1-line block ×3, first 2 shown]
	s_waitcnt lgkmcnt(3)
	v_dot4c_i32_i8_e32 v160, v14, v3
	v_add_u32_e32 v14, 0x41a8, v25
	v_dot4c_i32_i8_e32 v160, v15, v7
	ds_read2_b32 v[14:15], v14 offset1:1
	s_waitcnt lgkmcnt(3)
	v_dot4c_i32_i8_e32 v160, v16, v4
	v_dot4c_i32_i8_e32 v160, v17, v8
	v_mov_b32_e32 v148, 0
	s_waitcnt lgkmcnt(2)
	v_dot4c_i32_i8_e32 v160, v18, v5
	s_waitcnt lgkmcnt(1)
	v_dot4c_i32_i8_e32 v148, v140, v2
	v_add_u32_e32 v16, 0x41b0, v25
	v_add_u32_e32 v18, 0x41b8, v25
	v_add_u32_e32 v140, 0x6220, v25
	v_dot4c_i32_i8_e32 v160, v19, v9
	v_dot4c_i32_i8_e32 v148, v141, v6
	ds_read2_b32 v[16:17], v16 offset1:1
	ds_read2_b32 v[18:19], v18 offset1:1
	;; [unrolled: 1-line block ×3, first 2 shown]
	s_waitcnt lgkmcnt(3)
	v_dot4c_i32_i8_e32 v148, v14, v3
	v_dot4c_i32_i8_e32 v148, v15, v7
	s_waitcnt lgkmcnt(2)
	v_dot4c_i32_i8_e32 v148, v16, v4
	v_dot4c_i32_i8_e32 v148, v17, v8
	;; [unrolled: 3-line block ×3, first 2 shown]
	v_cvt_f32_i32_e32 v157, v157
	v_mov_b32_e32 v167, 0
	s_nop 0
	v_cvt_f32_i32_e32 v150, v148
	v_mov_b32_e32 v148, 0
	s_waitcnt lgkmcnt(0)
	v_dot4c_i32_i8_e32 v148, v140, v2
	v_add_u32_e32 v2, 0x6228, v25
	ds_read2_b32 v[14:15], v2 offset1:1
	v_add_u32_e32 v2, 0x6230, v25
	v_add_u32_e32 v140, 0x2140, v25
	v_dot4c_i32_i8_e32 v148, v141, v6
	v_add_u32_e32 v6, 0x6238, v25
	ds_read2_b32 v[16:17], v2 offset1:1
	ds_read2_b32 v[18:19], v6 offset1:1
	;; [unrolled: 1-line block ×3, first 2 shown]
	s_waitcnt lgkmcnt(3)
	v_dot4c_i32_i8_e32 v148, v14, v3
	v_dot4c_i32_i8_e32 v148, v15, v7
	s_waitcnt lgkmcnt(2)
	v_dot4c_i32_i8_e32 v148, v16, v4
	v_dot4c_i32_i8_e32 v148, v17, v8
	;; [unrolled: 3-line block ×3, first 2 shown]
	v_cvt_f32_i32_e32 v2, v158
	v_mul_f32_e32 v4, v10, v146
	v_mul_f32_e32 v18, v4, v157
	v_cvt_f32_i32_e32 v3, v148
	v_pk_mul_f32 v[4:5], v[10:11], v[138:139]
	ds_read2_b32 v[14:15], v39 offset0:4 offset1:5
	ds_read2_b32 v[16:17], v39 offset0:6 offset1:7
	;; [unrolled: 1-line block ×3, first 2 shown]
	ds_read_b128 v[6:9], v29 offset:80
	v_pk_mul_f32 v[138:139], v[4:5], v[2:3]
	ds_read_b128 v[2:5], v29 offset:64
	v_mul_f32_e32 v19, v11, v147
	v_mul_f32_e32 v146, v19, v150
	ds_read2_b32 v[150:151], v25 offset0:50 offset1:51
	v_mov_b32_e32 v19, 0
	s_waitcnt lgkmcnt(1)
	v_dot4c_i32_i8_e32 v19, v20, v2
	v_dot4c_i32_i8_e32 v19, v21, v6
	ds_read2_b32 v[20:21], v25 offset0:52 offset1:53
	ds_read2_b32 v[152:153], v25 offset0:54 offset1:55
	;; [unrolled: 1-line block ×3, first 2 shown]
	s_waitcnt lgkmcnt(3)
	v_dot4c_i32_i8_e32 v19, v150, v3
	v_dot4c_i32_i8_e32 v19, v151, v7
	s_waitcnt lgkmcnt(2)
	v_dot4c_i32_i8_e32 v19, v20, v4
	v_add_u32_e32 v20, 0x2148, v25
	v_dot4c_i32_i8_e32 v19, v21, v8
	ds_read2_b32 v[20:21], v20 offset1:1
	v_mov_b32_e32 v147, 0
	s_waitcnt lgkmcnt(2)
	v_dot4c_i32_i8_e32 v19, v152, v5
	v_dot4c_i32_i8_e32 v147, v140, v2
	v_add_u32_e32 v140, 0x2150, v25
	v_add_u32_e32 v150, 0x2158, v25
	;; [unrolled: 1-line block ×3, first 2 shown]
	v_dot4c_i32_i8_e32 v19, v153, v9
	v_dot4c_i32_i8_e32 v147, v141, v6
	ds_read2_b32 v[140:141], v140 offset1:1
	ds_read2_b32 v[150:151], v150 offset1:1
	;; [unrolled: 1-line block ×3, first 2 shown]
	s_waitcnt lgkmcnt(3)
	v_dot4c_i32_i8_e32 v147, v20, v3
	v_dot4c_i32_i8_e32 v147, v21, v7
	s_waitcnt lgkmcnt(2)
	v_dot4c_i32_i8_e32 v147, v140, v4
	v_dot4c_i32_i8_e32 v147, v141, v8
	v_mov_b32_e32 v157, 0
	s_waitcnt lgkmcnt(1)
	v_dot4c_i32_i8_e32 v147, v150, v5
	s_waitcnt lgkmcnt(0)
	v_dot4c_i32_i8_e32 v157, v152, v2
	v_add_u32_e32 v20, 0x41c8, v25
	v_add_u32_e32 v140, 0x41d0, v25
	;; [unrolled: 1-line block ×4, first 2 shown]
	v_dot4c_i32_i8_e32 v147, v151, v9
	v_dot4c_i32_i8_e32 v157, v153, v6
	ds_read2_b32 v[20:21], v20 offset1:1
	ds_read2_b32 v[140:141], v140 offset1:1
	;; [unrolled: 1-line block ×4, first 2 shown]
	v_mov_b32_e32 v163, v14
	s_waitcnt lgkmcnt(3)
	v_dot4c_i32_i8_e32 v157, v20, v3
	s_waitcnt lgkmcnt(0)
	v_dot4c_i32_i8_e32 v167, v152, v2
	v_add_u32_e32 v2, 0x6248, v25
	v_dot4c_i32_i8_e32 v157, v21, v7
	ds_read2_b32 v[20:21], v2 offset1:1
	v_dot4c_i32_i8_e32 v157, v140, v4
	v_dot4c_i32_i8_e32 v157, v141, v8
	;; [unrolled: 1-line block ×3, first 2 shown]
	v_add_u32_e32 v2, 0x6250, v25
	v_add_u32_e32 v152, 0x2160, v25
	v_dot4c_i32_i8_e32 v157, v151, v9
	v_dot4c_i32_i8_e32 v167, v153, v6
	v_add_u32_e32 v6, 0x6258, v25
	ds_read2_b32 v[140:141], v2 offset1:1
	ds_read2_b32 v[150:151], v6 offset1:1
	;; [unrolled: 1-line block ×3, first 2 shown]
	s_waitcnt lgkmcnt(3)
	v_dot4c_i32_i8_e32 v167, v20, v3
	v_dot4c_i32_i8_e32 v167, v21, v7
	s_waitcnt lgkmcnt(2)
	v_dot4c_i32_i8_e32 v167, v140, v4
	v_dot4c_i32_i8_e32 v167, v141, v8
	;; [unrolled: 3-line block ×3, first 2 shown]
	ds_read_b128 v[2:5], v29 offset:96
	ds_read_b128 v[6:9], v29 offset:112
	ds_read2_b32 v[140:141], v37 offset0:4 offset1:5
	v_cvt_f32_i32_e32 v166, v157
	v_cvt_f32_i32_e32 v21, v156
	;; [unrolled: 1-line block ×4, first 2 shown]
	s_waitcnt lgkmcnt(0)
	v_mov_b32_e32 v162, v140
	v_mov_b32_e32 v14, v141
	v_add_u32_e32 v140, 0x2168, v25
	ds_read2_b32 v[156:157], v25 offset0:58 offset1:59
	ds_read2_b32 v[158:159], v25 offset0:60 offset1:61
	;; [unrolled: 1-line block ×4, first 2 shown]
	ds_read2_b32 v[140:141], v140 offset1:1
	v_pk_mul_f32 v[162:163], v[10:11], v[162:163] op_sel_hi:[0,1]
	v_pk_mul_f32 v[10:11], v[10:11], v[14:15] op_sel:[1,0]
	v_cvt_f32_i32_e32 v14, v19
	v_mov_b32_e32 v19, 0
	v_dot4c_i32_i8_e32 v19, v154, v2
	v_cvt_f32_i32_e32 v20, v145
	v_dot4c_i32_i8_e32 v19, v155, v6
	v_mov_b32_e32 v145, 0
	v_cvt_f32_i32_e32 v15, v147
	s_waitcnt lgkmcnt(4)
	v_dot4c_i32_i8_e32 v19, v156, v3
	v_dot4c_i32_i8_e32 v145, v152, v2
	v_add_u32_e32 v147, 0x2170, v25
	v_add_u32_e32 v154, 0x2178, v25
	;; [unrolled: 1-line block ×3, first 2 shown]
	v_dot4c_i32_i8_e32 v19, v157, v7
	v_dot4c_i32_i8_e32 v145, v153, v6
	ds_read2_b32 v[152:153], v147 offset1:1
	ds_read2_b32 v[154:155], v154 offset1:1
	ds_read2_b32 v[156:157], v156 offset1:1
	s_waitcnt lgkmcnt(3)
	v_dot4c_i32_i8_e32 v145, v140, v3
	v_dot4c_i32_i8_e32 v145, v141, v7
	;; [unrolled: 1-line block ×3, first 2 shown]
	s_waitcnt lgkmcnt(2)
	v_dot4c_i32_i8_e32 v145, v152, v4
	v_dot4c_i32_i8_e32 v19, v159, v8
	;; [unrolled: 1-line block ×4, first 2 shown]
	s_waitcnt lgkmcnt(1)
	v_dot4c_i32_i8_e32 v145, v154, v5
	v_dot4c_i32_i8_e32 v19, v161, v9
	;; [unrolled: 1-line block ×3, first 2 shown]
	v_add_u32_e32 v158, 0x6260, v25
	v_add_u32_e32 v147, 0x41f8, v25
	v_cvt_f32_i32_e32 v140, v19
	v_cvt_f32_i32_e32 v141, v145
	v_mov_b32_e32 v19, 0
	v_add_u32_e32 v145, 0x41e8, v25
	s_waitcnt lgkmcnt(0)
	v_dot4c_i32_i8_e32 v19, v156, v2
	ds_read2_b32 v[152:153], v145 offset1:1
	v_add_u32_e32 v145, 0x41f0, v25
	v_dot4c_i32_i8_e32 v19, v157, v6
	ds_read2_b32 v[154:155], v145 offset1:1
	ds_read2_b32 v[156:157], v147 offset1:1
	;; [unrolled: 1-line block ×3, first 2 shown]
	v_mov_b32_e32 v145, 0
	s_waitcnt lgkmcnt(3)
	v_dot4c_i32_i8_e32 v19, v152, v3
	v_dot4c_i32_i8_e32 v19, v153, v7
	s_waitcnt lgkmcnt(2)
	v_dot4c_i32_i8_e32 v19, v154, v4
	s_waitcnt lgkmcnt(0)
	v_dot4c_i32_i8_e32 v145, v158, v2
	v_add_u32_e32 v2, 0x6268, v25
	ds_read2_b32 v[152:153], v2 offset1:1
	v_add_u32_e32 v2, 0x6270, v25
	v_dot4c_i32_i8_e32 v19, v155, v8
	ds_read2_b32 v[154:155], v2 offset1:1
	v_dot4c_i32_i8_e32 v19, v156, v5
	v_add_u32_e32 v2, 0x6278, v25
	v_dot4c_i32_i8_e32 v19, v157, v9
	v_dot4c_i32_i8_e32 v145, v159, v6
	ds_read2_b32 v[156:157], v2 offset1:1
	s_waitcnt lgkmcnt(2)
	v_dot4c_i32_i8_e32 v145, v152, v3
	v_dot4c_i32_i8_e32 v145, v153, v7
	s_waitcnt lgkmcnt(1)
	v_dot4c_i32_i8_e32 v145, v154, v4
	v_dot4c_i32_i8_e32 v145, v155, v8
	;; [unrolled: 3-line block ×3, first 2 shown]
	v_cvt_f32_i32_e32 v19, v19
	v_cvt_f32_i32_e32 v4, v167
	v_mov_b32_e32 v2, v164
	v_cvt_f32_i32_e32 v5, v145
	v_mov_b32_e32 v3, v16
	v_pk_mul_f32 v[8:9], v[12:13], v[142:143]
	v_mul_f32_e32 v7, v13, v149
	v_pk_mul_f32 v[2:3], v[12:13], v[2:3] op_sel_hi:[0,1]
	v_mul_f32_e32 v6, v12, v148
	v_pk_mul_f32 v[4:5], v[8:9], v[4:5]
	v_mov_b32_e32 v8, v13
	v_mov_b32_e32 v16, v165
	v_mul_f32_e32 v12, v7, v19
	v_mov_b32_e32 v19, v138
	v_pk_mul_f32 v[8:9], v[8:9], v[16:17] op_sel_hi:[0,1]
	v_mov_b32_e32 v147, v139
	v_mov_b32_e32 v7, v4
	;; [unrolled: 1-line block ×3, first 2 shown]
	v_pk_fma_f32 v[4:5], v[162:163], v[20:21], v[136:137]
	v_pk_add_f32 v[16:17], v[102:103], v[18:19]
	v_mul_f32_e32 v6, v6, v166
	v_pk_fma_f32 v[4:5], v[10:11], v[150:151], v[4:5]
	v_pk_add_f32 v[10:11], v[16:17], v[146:147]
	v_pk_fma_f32 v[2:3], v[2:3], v[14:15], v[4:5]
	v_pk_add_f32 v[4:5], v[10:11], v[6:7]
	;; [unrolled: 2-line block ×3, first 2 shown]
	s_barrier
.LBB222_5:                              ;   in Loop: Header=BB222_6 Depth=1
	s_add_i32 s4, s4, 8
	s_addk_i32 s6, 0x100
	v_lshl_add_u64 v[60:61], v[60:61], 0, s[12:13]
	v_lshl_add_u64 v[62:63], v[62:63], 0, s[22:23]
	;; [unrolled: 1-line block ×36, first 2 shown]
	s_cmp_ge_i32 s4, s26
	v_lshl_add_u64 v[134:135], v[134:135], 0, s[22:23]
	s_cbranch_scc1 .LBB222_17
.LBB222_6:                              ; =>This Inner Loop Header: Depth=1
	v_lshl_add_u64 v[2:3], v[62:63], 0, s[18:19]
	global_load_dword v10, v[2:3], off
	v_lshl_add_u64 v[2:3], v[64:65], 0, s[18:19]
	global_load_dword v11, v[2:3], off offset:2
	v_lshl_add_u64 v[4:5], v[68:69], 0, s[18:19]
	v_lshl_add_u64 v[2:3], v[66:67], 0, s[18:19]
	global_load_dword v12, v[4:5], off
	global_load_dword v13, v[2:3], off
	v_lshl_add_u64 v[2:3], v[70:71], 0, s[18:19]
	v_lshl_add_u64 v[6:7], v[74:75], 0, s[18:19]
	;; [unrolled: 1-line block ×4, first 2 shown]
	global_load_dword v14, v[2:3], off
	s_nop 0
	global_load_dword v2, v[4:5], off
	s_nop 0
	;; [unrolled: 2-line block ×3, first 2 shown]
	global_load_dword v7, v[8:9], off
	s_add_i32 s2, s6, 0xffffff80
	s_cmp_lt_i32 s2, s5
	s_waitcnt vmcnt(7)
	v_and_b32_e32 v4, 0xf0f0f0f, v10
	v_lshrrev_b32_e32 v5, 4, v10
	s_waitcnt vmcnt(6)
	v_ashrrev_i32_e32 v3, v24, v11
	v_lshlrev_b32_e32 v11, 4, v3
	s_waitcnt vmcnt(5)
	v_ashrrev_i32_e32 v8, v24, v12
	s_waitcnt vmcnt(4)
	v_and_b32_e32 v9, 0xf0f0f0f, v13
	v_lshrrev_b32_e32 v10, 4, v13
	v_lshlrev_b32_e32 v12, 11, v3
	v_lshlrev_b32_e32 v13, 18, v3
	;; [unrolled: 1-line block ×3, first 2 shown]
	v_lshrrev_b32_e32 v16, 12, v3
	v_lshrrev_b32_e32 v17, 5, v3
	v_and_b32_e32 v5, 0xf0f0f0f, v5
	v_lshlrev_b32_e32 v18, 2, v3
	v_lshlrev_b32_e32 v3, 9, v3
	;; [unrolled: 1-line block ×6, first 2 shown]
	v_and_b32_e32 v11, 16, v11
	v_and_b32_e32 v12, 0x1000, v12
	;; [unrolled: 1-line block ×12, first 2 shown]
	v_or3_b32 v11, v11, v4, v12
	v_or3_b32 v4, v4, v13, v15
	;; [unrolled: 1-line block ×6, first 2 shown]
	v_and_b32_e32 v13, 0x1f00, v11
	v_lshlrev_b16_e32 v11, 8, v11
	v_and_b32_sdwa v15, v4, s27 dst_sel:DWORD dst_unused:UNUSED_PAD src0_sel:WORD_1 src1_sel:DWORD
	v_lshlrev_b16_sdwa v4, v144, v4 dst_sel:DWORD dst_unused:UNUSED_PAD src0_sel:DWORD src1_sel:WORD_1
	v_lshlrev_b16_e32 v17, 8, v12
	v_and_b32_e32 v18, 0x1f00, v5
	v_lshlrev_b16_e32 v5, 8, v5
	v_and_b32_sdwa v19, v9, s27 dst_sel:DWORD dst_unused:UNUSED_PAD src0_sel:WORD_1 src1_sel:DWORD
	v_lshlrev_b16_sdwa v9, v144, v9 dst_sel:DWORD dst_unused:UNUSED_PAD src0_sel:DWORD src1_sel:WORD_1
	v_add_u16_e32 v13, 0xf000, v13
	v_add_u16_e32 v11, 0xf000, v11
	;; [unrolled: 1-line block ×5, first 2 shown]
	v_and_b32_sdwa v16, v3, s27 dst_sel:DWORD dst_unused:UNUSED_PAD src0_sel:WORD_1 src1_sel:DWORD
	v_lshlrev_b16_sdwa v3, v144, v3 dst_sel:DWORD dst_unused:UNUSED_PAD src0_sel:DWORD src1_sel:WORD_1
	v_add_u16_e32 v18, 0xf000, v18
	v_add_u16_e32 v5, 0xf000, v5
	;; [unrolled: 1-line block ×4, first 2 shown]
	v_perm_b32 v11, v11, v13, s28
	v_perm_b32 v4, v4, v15, s28
	v_lshrrev_b16_e32 v13, 8, v17
	v_add_u16_e32 v16, 0xf000, v16
	v_add_u16_e32 v3, 0xf000, v3
	v_perm_b32 v5, v5, v18, s28
	v_perm_b32 v9, v9, v19, s28
	v_lshl_or_b32 v4, v4, 16, v11
	v_bitop3_b16 v11, v12, v13, s27 bitop3:0xec
	v_perm_b32 v3, v3, v16, s28
	v_lshl_or_b32 v5, v9, 16, v5
	v_add_u16_e32 v9, 0xf000, v11
	v_lshl_or_b32 v3, v3, 16, v9
	v_lshrrev_b32_e32 v139, 12, v8
	v_lshrrev_b32_e32 v140, 5, v8
	ds_write2_b32 v26, v4, v3 offset1:1
	v_lshlrev_b32_e32 v4, 2, v8
	v_lshlrev_b32_e32 v8, 9, v8
	v_and_b32_e32 v10, 0xf0f0f0f, v10
	v_and_b32_e32 v4, 0x100000, v4
	v_and_b32_e32 v8, 0x10000000, v8
	v_or3_b32 v4, v10, v4, v8
	v_and_b32_e32 v139, 16, v139
	v_and_b32_e32 v140, 0x1000, v140
	v_and_b32_sdwa v8, v4, s27 dst_sel:DWORD dst_unused:UNUSED_PAD src0_sel:WORD_1 src1_sel:DWORD
	v_lshlrev_b16_sdwa v4, v144, v4 dst_sel:DWORD dst_unused:UNUSED_PAD src0_sel:DWORD src1_sel:WORD_1
	v_or3_b32 v3, v139, v10, v140
	v_add_u16_e32 v8, 0xf000, v8
	v_add_u16_e32 v4, 0xf000, v4
	v_perm_b32 v4, v4, v8, s28
	v_lshlrev_b16_e32 v8, 8, v3
	v_add_u16_e32 v8, 0xf000, v8
	v_lshrrev_b16_e32 v8, 8, v8
	v_bitop3_b16 v3, v3, v8, s27 bitop3:0xec
	v_add_u16_e32 v3, 0xf000, v3
	v_lshl_or_b32 v3, v4, 16, v3
	s_waitcnt vmcnt(2)
	v_ashrrev_i32_e32 v8, v24, v2
	ds_write2_b32 v28, v5, v3 offset1:1
	v_lshlrev_b32_e32 v3, 4, v8
	v_lshlrev_b32_e32 v4, 11, v8
	v_and_b32_e32 v2, 0xf0f0f0f, v14
	v_and_b32_e32 v3, 16, v3
	;; [unrolled: 1-line block ×3, first 2 shown]
	v_or3_b32 v3, v3, v2, v4
	v_lshlrev_b32_e32 v4, 18, v8
	v_lshlrev_b32_e32 v5, 25, v8
	v_and_b32_e32 v4, 0x100000, v4
	v_and_b32_e32 v5, 0x10000000, v5
	v_or3_b32 v2, v2, v4, v5
	v_and_b32_e32 v4, 0x1f00, v3
	v_lshlrev_b16_e32 v3, 8, v3
	v_add_u16_e32 v4, 0xf000, v4
	v_add_u16_e32 v3, 0xf000, v3
	v_perm_b32 v9, v3, v4, s28
	v_and_b32_sdwa v3, v2, s27 dst_sel:DWORD dst_unused:UNUSED_PAD src0_sel:WORD_1 src1_sel:DWORD
	v_lshl_add_u64 v[4:5], v[80:81], 0, s[18:19]
	v_add_u16_e32 v10, 0xf000, v3
	v_lshlrev_b16_sdwa v11, v144, v2 dst_sel:DWORD dst_unused:UNUSED_PAD src0_sel:DWORD src1_sel:WORD_1
	v_lshl_add_u64 v[2:3], v[78:79], 0, s[18:19]
	global_load_dword v12, v[4:5], off
	global_load_dword v13, v[2:3], off
	v_lshrrev_b32_e32 v3, 4, v14
	v_lshrrev_b32_e32 v4, 12, v8
	;; [unrolled: 1-line block ×3, first 2 shown]
	v_and_b32_e32 v3, 0xf0f0f0f, v3
	v_and_b32_e32 v4, 16, v4
	;; [unrolled: 1-line block ×3, first 2 shown]
	v_or3_b32 v4, v4, v3, v5
	v_lshlrev_b32_e32 v5, 2, v8
	v_lshlrev_b32_e32 v8, 9, v8
	v_and_b32_e32 v5, 0x100000, v5
	v_and_b32_e32 v8, 0x10000000, v8
	v_or3_b32 v3, v3, v5, v8
	v_and_b32_sdwa v5, v3, s27 dst_sel:DWORD dst_unused:UNUSED_PAD src0_sel:WORD_1 src1_sel:DWORD
	v_lshlrev_b16_sdwa v3, v144, v3 dst_sel:DWORD dst_unused:UNUSED_PAD src0_sel:DWORD src1_sel:WORD_1
	v_add_u16_e32 v5, 0xf000, v5
	v_add_u16_e32 v3, 0xf000, v3
	v_perm_b32 v3, v3, v5, s28
	v_lshlrev_b16_e32 v5, 8, v4
	v_add_u16_e32 v5, 0xf000, v5
	v_lshrrev_b16_e32 v5, 8, v5
	v_add_u16_e32 v2, 0xf000, v11
	v_bitop3_b16 v4, v4, v5, s27 bitop3:0xec
	v_perm_b32 v2, v2, v10, s28
	v_add_u16_e32 v4, 0xf000, v4
	v_lshl_or_b32 v2, v2, 16, v9
	v_lshl_or_b32 v3, v3, 16, v4
	s_waitcnt vmcnt(2)
	v_ashrrev_i32_e32 v7, v24, v7
	ds_write2_b32 v30, v2, v3 offset1:1
	v_lshlrev_b32_e32 v3, 4, v7
	v_lshlrev_b32_e32 v4, 11, v7
	v_and_b32_e32 v2, 0xf0f0f0f, v6
	v_and_b32_e32 v3, 16, v3
	v_and_b32_e32 v4, 0x1000, v4
	v_or3_b32 v3, v3, v2, v4
	v_lshlrev_b32_e32 v4, 18, v7
	v_lshlrev_b32_e32 v5, 25, v7
	v_and_b32_e32 v4, 0x100000, v4
	v_and_b32_e32 v5, 0x10000000, v5
	v_or3_b32 v2, v2, v4, v5
	v_and_b32_e32 v4, 0x1f00, v3
	v_lshlrev_b16_e32 v3, 8, v3
	v_add_u16_e32 v4, 0xf000, v4
	v_add_u16_e32 v3, 0xf000, v3
	v_perm_b32 v8, v3, v4, s28
	v_and_b32_sdwa v3, v2, s27 dst_sel:DWORD dst_unused:UNUSED_PAD src0_sel:WORD_1 src1_sel:DWORD
	v_lshl_add_u64 v[4:5], v[84:85], 0, s[18:19]
	v_add_u16_e32 v9, 0xf000, v3
	v_lshlrev_b16_sdwa v10, v144, v2 dst_sel:DWORD dst_unused:UNUSED_PAD src0_sel:DWORD src1_sel:WORD_1
	v_lshl_add_u64 v[2:3], v[82:83], 0, s[18:19]
	global_load_dword v11, v[4:5], off
	global_load_dword v14, v[2:3], off
	v_lshrrev_b32_e32 v3, 4, v6
	v_lshrrev_b32_e32 v4, 12, v7
	v_lshrrev_b32_e32 v5, 5, v7
	v_and_b32_e32 v3, 0xf0f0f0f, v3
	v_and_b32_e32 v4, 16, v4
	v_and_b32_e32 v5, 0x1000, v5
	v_or3_b32 v4, v4, v3, v5
	v_lshlrev_b32_e32 v5, 2, v7
	v_lshlrev_b32_e32 v6, 9, v7
	v_and_b32_e32 v5, 0x100000, v5
	v_and_b32_e32 v6, 0x10000000, v6
	v_or3_b32 v3, v3, v5, v6
	v_and_b32_sdwa v5, v3, s27 dst_sel:DWORD dst_unused:UNUSED_PAD src0_sel:WORD_1 src1_sel:DWORD
	v_lshlrev_b16_sdwa v3, v144, v3 dst_sel:DWORD dst_unused:UNUSED_PAD src0_sel:DWORD src1_sel:WORD_1
	v_add_u16_e32 v5, 0xf000, v5
	v_add_u16_e32 v3, 0xf000, v3
	v_perm_b32 v3, v3, v5, s28
	v_lshlrev_b16_e32 v5, 8, v4
	v_add_u16_e32 v5, 0xf000, v5
	v_lshrrev_b16_e32 v5, 8, v5
	v_add_u16_e32 v2, 0xf000, v10
	v_bitop3_b16 v4, v4, v5, s27 bitop3:0xec
	v_perm_b32 v2, v2, v9, s28
	v_add_u16_e32 v4, 0xf000, v4
	v_lshl_or_b32 v2, v2, 16, v8
	v_lshl_or_b32 v3, v3, 16, v4
	ds_write2_b32 v32, v2, v3 offset1:1
	s_waitcnt vmcnt(3)
	v_ashrrev_i32_e32 v6, v24, v12
	v_lshlrev_b32_e32 v3, 4, v6
	v_lshlrev_b32_e32 v4, 11, v6
	s_waitcnt vmcnt(2)
	v_and_b32_e32 v2, 0xf0f0f0f, v13
	v_and_b32_e32 v3, 16, v3
	v_and_b32_e32 v4, 0x1000, v4
	v_or3_b32 v3, v3, v2, v4
	v_lshlrev_b32_e32 v4, 18, v6
	v_lshlrev_b32_e32 v5, 25, v6
	v_and_b32_e32 v4, 0x100000, v4
	v_and_b32_e32 v5, 0x10000000, v5
	v_or3_b32 v2, v2, v4, v5
	v_and_b32_e32 v4, 0x1f00, v3
	v_lshlrev_b16_e32 v3, 8, v3
	v_add_u16_e32 v4, 0xf000, v4
	v_add_u16_e32 v3, 0xf000, v3
	v_perm_b32 v7, v3, v4, s28
	v_and_b32_sdwa v3, v2, s27 dst_sel:DWORD dst_unused:UNUSED_PAD src0_sel:WORD_1 src1_sel:DWORD
	v_lshl_add_u64 v[4:5], v[88:89], 0, s[18:19]
	v_add_u16_e32 v8, 0xf000, v3
	v_lshlrev_b16_sdwa v9, v144, v2 dst_sel:DWORD dst_unused:UNUSED_PAD src0_sel:DWORD src1_sel:WORD_1
	v_lshl_add_u64 v[2:3], v[86:87], 0, s[18:19]
	global_load_dword v10, v[4:5], off
	global_load_dword v12, v[2:3], off
	v_lshrrev_b32_e32 v3, 4, v13
	v_lshrrev_b32_e32 v4, 12, v6
	v_lshrrev_b32_e32 v5, 5, v6
	v_and_b32_e32 v3, 0xf0f0f0f, v3
	v_and_b32_e32 v4, 16, v4
	v_and_b32_e32 v5, 0x1000, v5
	v_or3_b32 v4, v4, v3, v5
	v_lshlrev_b32_e32 v5, 2, v6
	v_lshlrev_b32_e32 v6, 9, v6
	v_and_b32_e32 v5, 0x100000, v5
	v_and_b32_e32 v6, 0x10000000, v6
	v_or3_b32 v3, v3, v5, v6
	v_and_b32_sdwa v5, v3, s27 dst_sel:DWORD dst_unused:UNUSED_PAD src0_sel:WORD_1 src1_sel:DWORD
	v_lshlrev_b16_sdwa v3, v144, v3 dst_sel:DWORD dst_unused:UNUSED_PAD src0_sel:DWORD src1_sel:WORD_1
	v_add_u16_e32 v5, 0xf000, v5
	v_add_u16_e32 v3, 0xf000, v3
	v_perm_b32 v3, v3, v5, s28
	v_lshlrev_b16_e32 v5, 8, v4
	v_add_u16_e32 v5, 0xf000, v5
	v_lshrrev_b16_e32 v5, 8, v5
	v_add_u16_e32 v2, 0xf000, v9
	v_bitop3_b16 v4, v4, v5, s27 bitop3:0xec
	v_perm_b32 v2, v2, v8, s28
	v_add_u16_e32 v4, 0xf000, v4
	v_lshl_or_b32 v2, v2, 16, v7
	v_lshl_or_b32 v3, v3, 16, v4
	ds_write2_b32 v34, v2, v3 offset1:1
	s_waitcnt vmcnt(3)
	v_ashrrev_i32_e32 v6, v24, v11
	v_lshlrev_b32_e32 v3, 4, v6
	v_lshlrev_b32_e32 v4, 11, v6
	s_waitcnt vmcnt(2)
	;; [unrolled: 53-line block ×10, first 2 shown]
	v_and_b32_e32 v2, 0xf0f0f0f, v13
	v_and_b32_e32 v3, 16, v3
	;; [unrolled: 1-line block ×3, first 2 shown]
	v_or3_b32 v3, v3, v2, v4
	v_lshlrev_b32_e32 v4, 18, v6
	v_lshlrev_b32_e32 v5, 25, v6
	v_and_b32_e32 v4, 0x100000, v4
	v_and_b32_e32 v5, 0x10000000, v5
	v_or3_b32 v2, v2, v4, v5
	v_and_b32_e32 v4, 0x1f00, v3
	v_lshlrev_b16_e32 v3, 8, v3
	v_add_u16_e32 v4, 0xf000, v4
	v_add_u16_e32 v3, 0xf000, v3
	v_perm_b32 v3, v3, v4, s28
	v_and_b32_sdwa v4, v2, s27 dst_sel:DWORD dst_unused:UNUSED_PAD src0_sel:WORD_1 src1_sel:DWORD
	v_lshlrev_b16_sdwa v2, v144, v2 dst_sel:DWORD dst_unused:UNUSED_PAD src0_sel:DWORD src1_sel:WORD_1
	v_add_u16_e32 v4, 0xf000, v4
	v_add_u16_e32 v2, 0xf000, v2
	v_perm_b32 v2, v2, v4, s28
	v_lshl_or_b32 v7, v2, 16, v3
	v_lshrrev_b32_e32 v8, 4, v13
	v_lshl_add_u64 v[2:3], v[124:125], 0, s[18:19]
	v_lshl_add_u64 v[4:5], v[126:127], 0, s[18:19]
	global_load_dword v4, v[4:5], off
	s_nop 0
	global_load_dword v5, v[2:3], off
	v_and_b32_e32 v2, 0xf0f0f0f, v8
	v_lshrrev_b32_e32 v3, 12, v6
	v_lshrrev_b32_e32 v8, 5, v6
	v_and_b32_e32 v3, 16, v3
	v_and_b32_e32 v8, 0x1000, v8
	v_or3_b32 v3, v3, v2, v8
	v_lshlrev_b32_e32 v8, 2, v6
	v_lshlrev_b32_e32 v6, 9, v6
	v_and_b32_e32 v8, 0x100000, v8
	v_and_b32_e32 v6, 0x10000000, v6
	v_or3_b32 v2, v2, v8, v6
	v_and_b32_sdwa v6, v2, s27 dst_sel:DWORD dst_unused:UNUSED_PAD src0_sel:WORD_1 src1_sel:DWORD
	v_lshlrev_b16_sdwa v2, v144, v2 dst_sel:DWORD dst_unused:UNUSED_PAD src0_sel:DWORD src1_sel:WORD_1
	v_add_u16_e32 v6, 0xf000, v6
	v_add_u16_e32 v2, 0xf000, v2
	v_perm_b32 v2, v2, v6, s28
	v_lshlrev_b16_e32 v6, 8, v3
	v_add_u16_e32 v6, 0xf000, v6
	v_lshrrev_b16_e32 v6, 8, v6
	v_bitop3_b16 v3, v3, v6, s27 bitop3:0xec
	v_add_u16_e32 v3, 0xf000, v3
	v_lshl_or_b32 v2, v2, 16, v3
	ds_write2_b32 v52, v7, v2 offset1:1
	s_waitcnt vmcnt(3)
	v_ashrrev_i32_e32 v6, v24, v10
	v_lshlrev_b32_e32 v3, 4, v6
	v_lshlrev_b32_e32 v7, 11, v6
	s_waitcnt vmcnt(2)
	v_and_b32_e32 v2, 0xf0f0f0f, v14
	v_and_b32_e32 v3, 16, v3
	;; [unrolled: 1-line block ×3, first 2 shown]
	v_or3_b32 v3, v3, v2, v7
	v_lshlrev_b32_e32 v7, 18, v6
	v_lshlrev_b32_e32 v8, 25, v6
	v_and_b32_e32 v7, 0x100000, v7
	v_and_b32_e32 v8, 0x10000000, v8
	v_or3_b32 v7, v2, v7, v8
	v_and_b32_e32 v2, 0x1f00, v3
	v_lshlrev_b16_e32 v3, 8, v3
	v_add_u16_e32 v2, 0xf000, v2
	v_add_u16_e32 v3, 0xf000, v3
	v_perm_b32 v8, v3, v2, s28
	v_and_b32_sdwa v2, v7, s27 dst_sel:DWORD dst_unused:UNUSED_PAD src0_sel:WORD_1 src1_sel:DWORD
	v_add_u16_e32 v9, 0xf000, v2
	v_lshl_add_u64 v[2:3], v[128:129], 0, s[18:19]
	global_load_ushort v10, v[2:3], off
	v_lshl_add_u64 v[2:3], v[130:131], 0, s[18:19]
	global_load_ushort v11, v[2:3], off
	;; [unrolled: 2-line block ×4, first 2 shown]
	v_lshlrev_b16_sdwa v7, v144, v7 dst_sel:DWORD dst_unused:UNUSED_PAD src0_sel:DWORD src1_sel:WORD_1
	v_add_u16_e32 v3, 0xf000, v7
	v_perm_b32 v3, v3, v9, s28
	v_lshl_or_b32 v3, v3, 16, v8
	v_lshrrev_b32_e32 v7, 4, v14
	v_lshrrev_b32_e32 v8, 12, v6
	;; [unrolled: 1-line block ×3, first 2 shown]
	v_and_b32_e32 v7, 0xf0f0f0f, v7
	v_and_b32_e32 v8, 16, v8
	;; [unrolled: 1-line block ×3, first 2 shown]
	v_or3_b32 v8, v8, v7, v9
	v_lshlrev_b32_e32 v9, 2, v6
	v_lshlrev_b32_e32 v6, 9, v6
	v_and_b32_e32 v9, 0x100000, v9
	v_and_b32_e32 v6, 0x10000000, v6
	v_or3_b32 v6, v7, v9, v6
	v_and_b32_sdwa v7, v6, s27 dst_sel:DWORD dst_unused:UNUSED_PAD src0_sel:WORD_1 src1_sel:DWORD
	v_lshlrev_b16_sdwa v6, v144, v6 dst_sel:DWORD dst_unused:UNUSED_PAD src0_sel:DWORD src1_sel:WORD_1
	v_add_u16_e32 v7, 0xf000, v7
	v_add_u16_e32 v6, 0xf000, v6
	v_perm_b32 v6, v6, v7, s28
	v_lshlrev_b16_e32 v7, 8, v8
	v_add_u16_e32 v7, 0xf000, v7
	v_lshrrev_b16_e32 v7, 8, v7
	v_bitop3_b16 v7, v8, v7, s27 bitop3:0xec
	v_add_u16_e32 v7, 0xf000, v7
	v_lshl_or_b32 v6, v6, 16, v7
	ds_write2_b32 v54, v3, v6 offset1:1
	s_waitcnt vmcnt(5)
	v_ashrrev_i32_e32 v3, v24, v4
	v_lshlrev_b32_e32 v6, 4, v3
	v_lshlrev_b32_e32 v7, 11, v3
	s_waitcnt vmcnt(4)
	v_and_b32_e32 v4, 0xf0f0f0f, v5
	v_and_b32_e32 v6, 16, v6
	;; [unrolled: 1-line block ×3, first 2 shown]
	v_or3_b32 v6, v6, v4, v7
	v_lshlrev_b32_e32 v7, 18, v3
	v_lshlrev_b32_e32 v8, 25, v3
	v_and_b32_e32 v7, 0x100000, v7
	v_and_b32_e32 v8, 0x10000000, v8
	v_or3_b32 v4, v4, v7, v8
	v_and_b32_e32 v7, 0x1f00, v6
	v_lshlrev_b16_e32 v6, 8, v6
	v_add_u16_e32 v7, 0xf000, v7
	v_add_u16_e32 v6, 0xf000, v6
	v_perm_b32 v6, v6, v7, s28
	v_and_b32_sdwa v7, v4, s27 dst_sel:DWORD dst_unused:UNUSED_PAD src0_sel:WORD_1 src1_sel:DWORD
	v_lshlrev_b16_sdwa v4, v144, v4 dst_sel:DWORD dst_unused:UNUSED_PAD src0_sel:DWORD src1_sel:WORD_1
	v_add_u16_e32 v7, 0xf000, v7
	v_add_u16_e32 v4, 0xf000, v4
	v_perm_b32 v4, v4, v7, s28
	v_lshl_or_b32 v4, v4, 16, v6
	v_lshrrev_b32_e32 v5, 4, v5
	v_lshrrev_b32_e32 v6, 12, v3
	;; [unrolled: 1-line block ×3, first 2 shown]
	v_and_b32_e32 v5, 0xf0f0f0f, v5
	v_and_b32_e32 v6, 16, v6
	;; [unrolled: 1-line block ×3, first 2 shown]
	v_or3_b32 v6, v6, v5, v7
	v_lshlrev_b32_e32 v7, 2, v3
	v_lshlrev_b32_e32 v3, 9, v3
	v_and_b32_e32 v7, 0x100000, v7
	v_and_b32_e32 v3, 0x10000000, v3
	v_or3_b32 v3, v5, v7, v3
	v_and_b32_sdwa v5, v3, s27 dst_sel:DWORD dst_unused:UNUSED_PAD src0_sel:WORD_1 src1_sel:DWORD
	v_lshlrev_b16_sdwa v3, v144, v3 dst_sel:DWORD dst_unused:UNUSED_PAD src0_sel:DWORD src1_sel:WORD_1
	v_add_u16_e32 v5, 0xf000, v5
	v_add_u16_e32 v3, 0xf000, v3
	v_perm_b32 v3, v3, v5, s28
	v_lshlrev_b16_e32 v5, 8, v6
	v_add_u16_e32 v5, 0xf000, v5
	v_lshrrev_b16_e32 v5, 8, v5
	v_bitop3_b16 v5, v6, v5, s27 bitop3:0xec
	v_add_u16_e32 v5, 0xf000, v5
	v_lshl_or_b32 v3, v3, 16, v5
	s_waitcnt vmcnt(3)
	v_cvt_f32_f16_e32 v5, v10
	ds_write2_b32 v56, v4, v3 offset1:1
	s_waitcnt vmcnt(2)
	v_cvt_f32_f16_e32 v6, v11
	s_waitcnt vmcnt(1)
	v_cvt_f32_f16_e32 v3, v12
	ds_write_b32 v51, v5
	ds_write_b32 v53, v6
	s_waitcnt vmcnt(0)
	v_cvt_f32_f16_e32 v2, v2
	ds_write_b32 v55, v3
	ds_write_b32 v57, v2
	s_cbranch_scc0 .LBB222_5
; %bb.7:                                ;   in Loop: Header=BB222_6 Depth=1
	v_add_u32_e32 v2, s4, v27
	v_cmp_gt_i32_e64 s[2:3], s8, v2
	s_and_b64 s[24:25], s[0:1], s[2:3]
	s_and_saveexec_b64 s[2:3], s[24:25]
	s_cbranch_execz .LBB222_9
; %bb.8:                                ;   in Loop: Header=BB222_6 Depth=1
	v_add_u32_e32 v2, s4, v49
	v_mad_i64_i32 v[2:3], s[24:25], v2, 36, v[58:59]
	global_load_dword v2, v[2:3], off offset:4
	s_waitcnt vmcnt(0)
	ds_write_b32 v31, v2
.LBB222_9:                              ;   in Loop: Header=BB222_6 Depth=1
	s_or_b64 exec, exec, s[2:3]
	v_add_u32_e32 v145, s4, v22
	v_cmp_gt_i32_e64 s[2:3], s8, v145
	s_and_b64 s[24:25], s[20:21], s[2:3]
	s_and_saveexec_b64 s[2:3], s[24:25]
	s_cbranch_execz .LBB222_11
; %bb.10:                               ;   in Loop: Header=BB222_6 Depth=1
	v_add_u32_e32 v2, s4, v23
	v_mad_i64_i32 v[2:3], s[24:25], v2, 36, s[14:15]
	global_load_dword v2, v[2:3], off
	s_waitcnt vmcnt(0)
	v_cvt_f32_f16_e32 v2, v2
	ds_write_b32 v35, v2
.LBB222_11:                             ;   in Loop: Header=BB222_6 Depth=1
	s_or_b64 exec, exec, s[2:3]
	s_waitcnt lgkmcnt(0)
	s_barrier
	ds_read_b128 v[14:17], v29
	ds_read_b128 v[18:21], v29 offset:16
	ds_read2_b32 v[138:139], v25 offset1:1
	ds_read_b128 v[2:5], v29 offset:32
	ds_read_b128 v[6:9], v29 offset:48
	ds_read_b128 v[10:13], v33
	ds_read2_b32 v[142:143], v25 offset0:2 offset1:3
	v_mov_b32_e32 v146, 0
	s_waitcnt lgkmcnt(4)
	v_dot4c_i32_i8_e32 v146, v138, v14
	v_dot4c_i32_i8_e32 v146, v139, v18
	ds_read2_b32 v[138:139], v25 offset0:4 offset1:5
	ds_read2_b32 v[148:149], v25 offset0:6 offset1:7
	;; [unrolled: 1-line block ×3, first 2 shown]
	s_waitcnt lgkmcnt(3)
	v_dot4c_i32_i8_e32 v146, v142, v15
	v_dot4c_i32_i8_e32 v146, v143, v19
	s_waitcnt lgkmcnt(2)
	v_dot4c_i32_i8_e32 v146, v138, v16
	v_add_u32_e32 v138, 0x2080, v25
	v_dot4c_i32_i8_e32 v146, v139, v20
	ds_read2_b32 v[150:151], v138 offset1:1
	s_waitcnt lgkmcnt(2)
	v_dot4c_i32_i8_e32 v146, v148, v17
	v_add_u32_e32 v148, 0x2088, v25
	v_dot4c_i32_i8_e32 v146, v149, v21
	ds_read2_b32 v[138:139], v43 offset1:1
	ds_read2_b32 v[142:143], v43 offset0:2 offset1:3
	ds_read2_b32 v[148:149], v148 offset1:1
	v_mov_b32_e32 v147, 0
	s_waitcnt lgkmcnt(3)
	v_dot4c_i32_i8_e32 v147, v150, v14
	v_add_u32_e32 v150, 0x2090, v25
	v_add_u32_e32 v152, 0x2098, v25
	;; [unrolled: 1-line block ×3, first 2 shown]
	v_dot4c_i32_i8_e32 v147, v151, v18
	ds_read2_b32 v[150:151], v150 offset1:1
	ds_read2_b32 v[152:153], v152 offset1:1
	;; [unrolled: 1-line block ×3, first 2 shown]
	s_waitcnt lgkmcnt(3)
	v_dot4c_i32_i8_e32 v147, v148, v15
	v_dot4c_i32_i8_e32 v147, v149, v19
	s_waitcnt lgkmcnt(2)
	v_dot4c_i32_i8_e32 v147, v150, v16
	v_dot4c_i32_i8_e32 v147, v151, v20
	v_mov_b32_e32 v158, 0
	s_waitcnt lgkmcnt(1)
	v_dot4c_i32_i8_e32 v147, v152, v17
	s_waitcnt lgkmcnt(0)
	v_dot4c_i32_i8_e32 v158, v154, v14
	v_add_u32_e32 v150, 0x4108, v25
	v_add_u32_e32 v152, 0x4110, v25
	;; [unrolled: 1-line block ×4, first 2 shown]
	v_dot4c_i32_i8_e32 v147, v153, v21
	ds_read2_b32 v[148:149], v41 offset1:1
	ds_read2_b32 v[150:151], v150 offset1:1
	v_dot4c_i32_i8_e32 v158, v155, v18
	ds_read2_b32 v[152:153], v152 offset1:1
	ds_read2_b32 v[154:155], v154 offset1:1
	;; [unrolled: 1-line block ×3, first 2 shown]
	v_mov_b32_e32 v159, 0
	v_mov_b32_e32 v160, 0
	s_waitcnt lgkmcnt(3)
	v_dot4c_i32_i8_e32 v158, v150, v15
	v_dot4c_i32_i8_e32 v158, v151, v19
	s_waitcnt lgkmcnt(0)
	v_dot4c_i32_i8_e32 v159, v156, v14
	v_add_u32_e32 v14, 0x6188, v25
	ds_read2_b32 v[150:151], v14 offset1:1
	v_dot4c_i32_i8_e32 v158, v152, v16
	v_dot4c_i32_i8_e32 v158, v153, v20
	;; [unrolled: 1-line block ×3, first 2 shown]
	v_add_u32_e32 v14, 0x6190, v25
	v_add_u32_e32 v156, 0x20a0, v25
	v_dot4c_i32_i8_e32 v158, v155, v21
	v_dot4c_i32_i8_e32 v159, v157, v18
	v_add_u32_e32 v18, 0x6198, v25
	ds_read2_b32 v[152:153], v14 offset1:1
	ds_read2_b32 v[154:155], v18 offset1:1
	;; [unrolled: 1-line block ×3, first 2 shown]
	s_waitcnt lgkmcnt(3)
	v_dot4c_i32_i8_e32 v159, v150, v15
	v_dot4c_i32_i8_e32 v159, v151, v19
	ds_read2_b32 v[14:15], v25 offset0:10 offset1:11
	s_waitcnt lgkmcnt(3)
	v_dot4c_i32_i8_e32 v159, v152, v16
	v_dot4c_i32_i8_e32 v159, v153, v20
	s_waitcnt lgkmcnt(2)
	v_dot4c_i32_i8_e32 v159, v154, v17
	v_dot4c_i32_i8_e32 v160, v140, v2
	;; [unrolled: 1-line block ×4, first 2 shown]
	ds_read2_b32 v[16:17], v25 offset0:12 offset1:13
	ds_read2_b32 v[18:19], v25 offset0:14 offset1:15
	ds_read2_b32 v[20:21], v25 offset0:16 offset1:17
	s_waitcnt lgkmcnt(3)
	v_dot4c_i32_i8_e32 v160, v14, v3
	v_add_u32_e32 v14, 0x20a8, v25
	v_dot4c_i32_i8_e32 v160, v15, v7
	ds_read2_b32 v[14:15], v14 offset1:1
	s_waitcnt lgkmcnt(3)
	v_dot4c_i32_i8_e32 v160, v16, v4
	v_dot4c_i32_i8_e32 v160, v17, v8
	v_mov_b32_e32 v161, 0
	s_waitcnt lgkmcnt(2)
	v_dot4c_i32_i8_e32 v160, v18, v5
	v_dot4c_i32_i8_e32 v161, v156, v2
	v_add_u32_e32 v16, 0x20b0, v25
	v_add_u32_e32 v18, 0x20b8, v25
	;; [unrolled: 1-line block ×3, first 2 shown]
	v_dot4c_i32_i8_e32 v160, v19, v9
	v_dot4c_i32_i8_e32 v161, v157, v6
	ds_read2_b32 v[16:17], v16 offset1:1
	ds_read2_b32 v[18:19], v18 offset1:1
	ds_read2_b32 v[140:141], v140 offset1:1
	s_waitcnt lgkmcnt(3)
	v_dot4c_i32_i8_e32 v161, v14, v3
	v_add_u32_e32 v14, 0x4128, v25
	v_dot4c_i32_i8_e32 v161, v15, v7
	ds_read2_b32 v[14:15], v14 offset1:1
	s_waitcnt lgkmcnt(3)
	v_dot4c_i32_i8_e32 v161, v16, v4
	v_dot4c_i32_i8_e32 v161, v17, v8
	v_mov_b32_e32 v150, 0
	s_waitcnt lgkmcnt(2)
	v_dot4c_i32_i8_e32 v161, v18, v5
	s_waitcnt lgkmcnt(1)
	v_dot4c_i32_i8_e32 v150, v140, v2
	v_add_u32_e32 v16, 0x4130, v25
	v_add_u32_e32 v18, 0x4138, v25
	;; [unrolled: 1-line block ×3, first 2 shown]
	v_dot4c_i32_i8_e32 v161, v19, v9
	v_dot4c_i32_i8_e32 v150, v141, v6
	ds_read2_b32 v[16:17], v16 offset1:1
	ds_read2_b32 v[18:19], v18 offset1:1
	;; [unrolled: 1-line block ×3, first 2 shown]
	s_waitcnt lgkmcnt(3)
	v_dot4c_i32_i8_e32 v150, v14, v3
	v_dot4c_i32_i8_e32 v150, v15, v7
	s_waitcnt lgkmcnt(2)
	v_dot4c_i32_i8_e32 v150, v16, v4
	v_dot4c_i32_i8_e32 v150, v17, v8
	;; [unrolled: 3-line block ×3, first 2 shown]
	v_cvt_f32_i32_e32 v158, v158
	v_mov_b32_e32 v167, 0
	s_cmp_ge_i32 s6, s5
	v_cvt_f32_i32_e32 v152, v150
	v_mov_b32_e32 v150, 0
	s_waitcnt lgkmcnt(0)
	v_dot4c_i32_i8_e32 v150, v140, v2
	v_add_u32_e32 v2, 0x61a8, v25
	ds_read2_b32 v[14:15], v2 offset1:1
	v_add_u32_e32 v2, 0x61b0, v25
	v_add_u32_e32 v140, 0x20c0, v25
	v_dot4c_i32_i8_e32 v150, v141, v6
	v_add_u32_e32 v6, 0x61b8, v25
	ds_read2_b32 v[16:17], v2 offset1:1
	ds_read2_b32 v[18:19], v6 offset1:1
	ds_read2_b32 v[140:141], v140 offset1:1
	s_waitcnt lgkmcnt(3)
	v_dot4c_i32_i8_e32 v150, v14, v3
	v_dot4c_i32_i8_e32 v150, v15, v7
	s_waitcnt lgkmcnt(2)
	v_dot4c_i32_i8_e32 v150, v16, v4
	v_dot4c_i32_i8_e32 v150, v17, v8
	s_waitcnt lgkmcnt(1)
	v_dot4c_i32_i8_e32 v150, v18, v5
	v_dot4c_i32_i8_e32 v150, v19, v9
	v_cvt_f32_i32_e32 v2, v159
	v_mul_f32_e32 v4, v10, v148
	v_mul_f32_e32 v18, v4, v158
	v_cvt_f32_i32_e32 v3, v150
	v_pk_mul_f32 v[4:5], v[10:11], v[138:139]
	ds_read2_b32 v[14:15], v39 offset1:1
	ds_read2_b32 v[16:17], v39 offset0:2 offset1:3
	ds_read2_b32 v[150:151], v41 offset0:2 offset1:3
	ds_read_b128 v[6:9], v29 offset:80
	v_pk_mul_f32 v[138:139], v[4:5], v[2:3]
	ds_read_b128 v[2:5], v29 offset:64
	v_mul_f32_e32 v19, v11, v149
	v_mul_f32_e32 v148, v19, v152
	ds_read2_b32 v[152:153], v25 offset0:18 offset1:19
	v_mov_b32_e32 v19, 0
	s_waitcnt lgkmcnt(1)
	v_dot4c_i32_i8_e32 v19, v20, v2
	v_dot4c_i32_i8_e32 v19, v21, v6
	ds_read2_b32 v[20:21], v25 offset0:20 offset1:21
	ds_read2_b32 v[154:155], v25 offset0:22 offset1:23
	;; [unrolled: 1-line block ×3, first 2 shown]
	s_waitcnt lgkmcnt(3)
	v_dot4c_i32_i8_e32 v19, v152, v3
	v_dot4c_i32_i8_e32 v19, v153, v7
	s_waitcnt lgkmcnt(2)
	v_dot4c_i32_i8_e32 v19, v20, v4
	v_add_u32_e32 v20, 0x20c8, v25
	v_dot4c_i32_i8_e32 v19, v21, v8
	ds_read2_b32 v[20:21], v20 offset1:1
	v_mov_b32_e32 v149, 0
	s_waitcnt lgkmcnt(2)
	v_dot4c_i32_i8_e32 v19, v154, v5
	v_dot4c_i32_i8_e32 v149, v140, v2
	v_add_u32_e32 v140, 0x20d0, v25
	v_add_u32_e32 v152, 0x20d8, v25
	v_add_u32_e32 v154, 0x4140, v25
	v_dot4c_i32_i8_e32 v19, v155, v9
	v_dot4c_i32_i8_e32 v149, v141, v6
	ds_read2_b32 v[140:141], v140 offset1:1
	ds_read2_b32 v[152:153], v152 offset1:1
	;; [unrolled: 1-line block ×3, first 2 shown]
	s_waitcnt lgkmcnt(3)
	v_dot4c_i32_i8_e32 v149, v20, v3
	v_dot4c_i32_i8_e32 v149, v21, v7
	s_waitcnt lgkmcnt(2)
	v_dot4c_i32_i8_e32 v149, v140, v4
	v_dot4c_i32_i8_e32 v149, v141, v8
	v_mov_b32_e32 v158, 0
	s_waitcnt lgkmcnt(1)
	v_dot4c_i32_i8_e32 v149, v152, v5
	s_waitcnt lgkmcnt(0)
	v_dot4c_i32_i8_e32 v158, v154, v2
	v_add_u32_e32 v20, 0x4148, v25
	v_add_u32_e32 v140, 0x4150, v25
	;; [unrolled: 1-line block ×4, first 2 shown]
	v_dot4c_i32_i8_e32 v149, v153, v9
	v_dot4c_i32_i8_e32 v158, v155, v6
	ds_read2_b32 v[20:21], v20 offset1:1
	ds_read2_b32 v[140:141], v140 offset1:1
	;; [unrolled: 1-line block ×4, first 2 shown]
	v_mov_b32_e32 v163, v14
	s_waitcnt lgkmcnt(3)
	v_dot4c_i32_i8_e32 v158, v20, v3
	s_waitcnt lgkmcnt(0)
	v_dot4c_i32_i8_e32 v167, v154, v2
	v_add_u32_e32 v2, 0x61c8, v25
	v_dot4c_i32_i8_e32 v158, v21, v7
	ds_read2_b32 v[20:21], v2 offset1:1
	v_dot4c_i32_i8_e32 v158, v140, v4
	v_dot4c_i32_i8_e32 v158, v141, v8
	;; [unrolled: 1-line block ×3, first 2 shown]
	v_add_u32_e32 v2, 0x61d0, v25
	v_add_u32_e32 v154, 0x20e0, v25
	v_dot4c_i32_i8_e32 v158, v153, v9
	v_dot4c_i32_i8_e32 v167, v155, v6
	v_add_u32_e32 v6, 0x61d8, v25
	ds_read2_b32 v[140:141], v2 offset1:1
	ds_read2_b32 v[152:153], v6 offset1:1
	;; [unrolled: 1-line block ×3, first 2 shown]
	s_waitcnt lgkmcnt(3)
	v_dot4c_i32_i8_e32 v167, v20, v3
	v_dot4c_i32_i8_e32 v167, v21, v7
	s_waitcnt lgkmcnt(2)
	v_dot4c_i32_i8_e32 v167, v140, v4
	v_dot4c_i32_i8_e32 v167, v141, v8
	;; [unrolled: 3-line block ×3, first 2 shown]
	ds_read_b128 v[2:5], v29 offset:96
	ds_read_b128 v[6:9], v29 offset:112
	ds_read2_b32 v[140:141], v37 offset1:1
	v_cvt_f32_i32_e32 v21, v147
	v_cvt_f32_i32_e32 v20, v146
	;; [unrolled: 1-line block ×4, first 2 shown]
	s_waitcnt lgkmcnt(0)
	v_mov_b32_e32 v162, v140
	v_pk_mul_f32 v[162:163], v[10:11], v[162:163] op_sel_hi:[0,1]
	v_mov_b32_e32 v14, v141
	v_pk_fma_f32 v[20:21], v[162:163], v[20:21], v[136:137]
	v_pk_mul_f32 v[10:11], v[10:11], v[14:15] op_sel:[1,0]
	v_cvt_f32_i32_e32 v166, v158
	v_pk_fma_f32 v[10:11], v[10:11], v[146:147], v[20:21]
	v_add_u32_e32 v20, 0x20e8, v25
	ds_read2_b32 v[152:153], v25 offset0:26 offset1:27
	ds_read2_b32 v[158:159], v25 offset0:28 offset1:29
	;; [unrolled: 1-line block ×4, first 2 shown]
	ds_read2_b32 v[20:21], v20 offset1:1
	v_cvt_f32_i32_e32 v14, v19
	v_mov_b32_e32 v19, 0
	v_dot4c_i32_i8_e32 v19, v156, v2
	v_cvt_f32_i32_e32 v15, v149
	v_dot4c_i32_i8_e32 v19, v157, v6
	v_mov_b32_e32 v149, 0
	s_waitcnt lgkmcnt(4)
	v_dot4c_i32_i8_e32 v19, v152, v3
	v_dot4c_i32_i8_e32 v149, v154, v2
	v_add_u32_e32 v136, 0x20f0, v25
	v_add_u32_e32 v140, 0x20f8, v25
	v_add_u32_e32 v146, 0x4160, v25
	v_dot4c_i32_i8_e32 v19, v153, v7
	v_dot4c_i32_i8_e32 v149, v155, v6
	ds_read2_b32 v[136:137], v136 offset1:1
	ds_read2_b32 v[140:141], v140 offset1:1
	;; [unrolled: 1-line block ×3, first 2 shown]
	s_waitcnt lgkmcnt(6)
	v_dot4c_i32_i8_e32 v19, v158, v4
	s_waitcnt lgkmcnt(3)
	v_dot4c_i32_i8_e32 v149, v20, v3
	v_dot4c_i32_i8_e32 v19, v159, v8
	;; [unrolled: 1-line block ×4, first 2 shown]
	s_waitcnt lgkmcnt(2)
	v_dot4c_i32_i8_e32 v149, v136, v4
	v_dot4c_i32_i8_e32 v19, v161, v9
	v_dot4c_i32_i8_e32 v149, v137, v8
	s_waitcnt lgkmcnt(1)
	v_dot4c_i32_i8_e32 v149, v140, v5
	v_dot4c_i32_i8_e32 v149, v141, v9
	v_cvt_f32_i32_e32 v20, v19
	v_mov_b32_e32 v19, 0
	s_waitcnt lgkmcnt(0)
	v_dot4c_i32_i8_e32 v19, v146, v2
	v_add_u32_e32 v136, 0x4168, v25
	v_add_u32_e32 v140, 0x4170, v25
	;; [unrolled: 1-line block ×3, first 2 shown]
	v_cvt_f32_i32_e32 v21, v149
	v_dot4c_i32_i8_e32 v19, v147, v6
	ds_read2_b32 v[136:137], v136 offset1:1
	v_add_u32_e32 v149, 0x61e0, v25
	ds_read2_b32 v[140:141], v140 offset1:1
	ds_read2_b32 v[146:147], v146 offset1:1
	;; [unrolled: 1-line block ×3, first 2 shown]
	v_mov_b32_e32 v149, 0
	s_waitcnt lgkmcnt(3)
	v_dot4c_i32_i8_e32 v19, v136, v3
	v_dot4c_i32_i8_e32 v19, v137, v7
	s_waitcnt lgkmcnt(0)
	v_dot4c_i32_i8_e32 v149, v152, v2
	v_add_u32_e32 v2, 0x61e8, v25
	ds_read2_b32 v[136:137], v2 offset1:1
	v_dot4c_i32_i8_e32 v19, v140, v4
	v_add_u32_e32 v2, 0x61f0, v25
	v_dot4c_i32_i8_e32 v19, v141, v8
	ds_read2_b32 v[140:141], v2 offset1:1
	v_dot4c_i32_i8_e32 v19, v146, v5
	v_add_u32_e32 v2, 0x61f8, v25
	v_dot4c_i32_i8_e32 v19, v147, v9
	v_dot4c_i32_i8_e32 v149, v153, v6
	ds_read2_b32 v[146:147], v2 offset1:1
	s_waitcnt lgkmcnt(2)
	v_dot4c_i32_i8_e32 v149, v136, v3
	v_dot4c_i32_i8_e32 v149, v137, v7
	s_waitcnt lgkmcnt(1)
	v_dot4c_i32_i8_e32 v149, v140, v4
	v_dot4c_i32_i8_e32 v149, v141, v8
	;; [unrolled: 3-line block ×3, first 2 shown]
	v_cvt_f32_i32_e32 v4, v167
	v_cvt_f32_i32_e32 v19, v19
	v_mov_b32_e32 v2, v164
	v_cvt_f32_i32_e32 v5, v149
	v_mov_b32_e32 v3, v16
	v_pk_mul_f32 v[8:9], v[12:13], v[142:143]
	v_pk_mul_f32 v[2:3], v[12:13], v[2:3] op_sel_hi:[0,1]
	v_pk_mul_f32 v[4:5], v[8:9], v[4:5]
	v_mov_b32_e32 v8, v13
	v_mov_b32_e32 v16, v165
	v_pk_fma_f32 v[2:3], v[2:3], v[14:15], v[10:11]
	v_pk_mul_f32 v[8:9], v[8:9], v[16:17] op_sel_hi:[0,1]
	v_pk_fma_f32 v[136:137], v[8:9], v[20:21], v[2:3]
	v_mul_f32_e32 v2, v13, v151
	v_mul_f32_e32 v2, v2, v19
	v_mov_b32_e32 v19, v138
	v_mul_f32_e32 v6, v12, v150
	v_pk_add_f32 v[8:9], v[102:103], v[18:19]
	v_mov_b32_e32 v149, v139
	v_mul_f32_e32 v6, v6, v166
	v_pk_add_f32 v[8:9], v[8:9], v[148:149]
	v_mov_b32_e32 v7, v4
	v_pk_add_f32 v[6:7], v[8:9], v[6:7]
	v_mov_b32_e32 v3, v5
	v_pk_add_f32 v[102:103], v[6:7], v[2:3]
	s_barrier
	s_cbranch_scc1 .LBB222_5
; %bb.12:                               ;   in Loop: Header=BB222_6 Depth=1
	v_add_u32_e32 v2, s4, v45
	v_cmp_gt_i32_e64 s[2:3], s8, v2
	s_and_b64 s[24:25], s[0:1], s[2:3]
	s_and_saveexec_b64 s[2:3], s[24:25]
	s_cbranch_execz .LBB222_14
; %bb.13:                               ;   in Loop: Header=BB222_6 Depth=1
	v_add_u32_e32 v2, s4, v47
	v_mad_i64_i32 v[2:3], s[24:25], v2, 36, v[58:59]
	global_load_dword v2, v[2:3], off offset:4
	s_waitcnt vmcnt(0)
	ds_write_b32 v31, v2
.LBB222_14:                             ;   in Loop: Header=BB222_6 Depth=1
	s_or_b64 exec, exec, s[2:3]
	s_and_saveexec_b64 s[24:25], vcc
	s_cbranch_execz .LBB222_4
; %bb.15:                               ;   in Loop: Header=BB222_6 Depth=1
	v_add_u32_e32 v2, 4, v145
	v_cmp_gt_i32_e64 s[2:3], s8, v2
	s_and_b64 s[2:3], s[0:1], s[2:3]
	s_and_b64 exec, exec, s[2:3]
	s_cbranch_execz .LBB222_4
; %bb.16:                               ;   in Loop: Header=BB222_6 Depth=1
	global_load_dword v2, v[60:61], off
	s_waitcnt vmcnt(0)
	v_cvt_f32_f16_e32 v2, v2
	ds_write_b32 v35, v2
	s_branch .LBB222_4
.LBB222_17:
	s_mul_i32 s0, s10, s7
	s_waitcnt vmcnt(0)
	v_cmp_gt_i32_e32 vcc, s0, v1
	s_and_saveexec_b64 s[0:1], vcc
	s_cbranch_execz .LBB222_26
; %bb.18:
	v_and_b32_e32 v0, 0x3ff, v0
	v_add_u32_e32 v2, s11, v0
	v_mul_lo_u32 v0, v1, s9
	v_cmp_gt_u32_e32 vcc, s9, v2
	s_and_saveexec_b64 s[0:1], vcc
	s_cbranch_execz .LBB222_20
; %bb.19:
	v_bfe_u32 v1, v136, 16, 1
	s_movk_i32 s2, 0x7fff
	v_add3_u32 v1, v136, v1, s2
	v_cmp_o_f32_e32 vcc, v136, v136
	v_mov_b32_e32 v3, 0x7fc0
	v_add_u32_e32 v4, v0, v2
	v_mov_b32_e32 v5, 0
	v_cndmask_b32_sdwa v1, v3, v1, vcc dst_sel:DWORD dst_unused:UNUSED_PAD src0_sel:DWORD src1_sel:WORD_1
	v_lshl_add_u64 v[4:5], v[4:5], 1, s[16:17]
	global_store_short v[4:5], v1, off
.LBB222_20:
	s_or_b64 exec, exec, s[0:1]
	v_add_u32_e32 v1, 32, v2
	v_cmp_gt_u32_e32 vcc, s9, v1
	s_and_saveexec_b64 s[0:1], vcc
	s_cbranch_execz .LBB222_22
; %bb.21:
	v_bfe_u32 v3, v137, 16, 1
	s_movk_i32 s2, 0x7fff
	v_add3_u32 v3, v137, v3, s2
	v_cmp_o_f32_e32 vcc, v137, v137
	v_mov_b32_e32 v4, 0x7fc0
	v_mov_b32_e32 v5, 0
	v_cndmask_b32_sdwa v3, v4, v3, vcc dst_sel:DWORD dst_unused:UNUSED_PAD src0_sel:DWORD src1_sel:WORD_1
	v_add_u32_e32 v4, v0, v1
	v_lshl_add_u64 v[4:5], v[4:5], 1, s[16:17]
	global_store_short v[4:5], v3, off
.LBB222_22:
	s_or_b64 exec, exec, s[0:1]
	v_add_u32_e32 v1, 64, v2
	v_cmp_gt_u32_e32 vcc, s9, v1
	s_and_saveexec_b64 s[0:1], vcc
	s_cbranch_execz .LBB222_24
; %bb.23:
	v_bfe_u32 v3, v102, 16, 1
	s_movk_i32 s2, 0x7fff
	v_add3_u32 v3, v102, v3, s2
	v_cmp_o_f32_e32 vcc, v102, v102
	v_mov_b32_e32 v4, 0x7fc0
	v_mov_b32_e32 v5, 0
	v_cndmask_b32_sdwa v3, v4, v3, vcc dst_sel:DWORD dst_unused:UNUSED_PAD src0_sel:DWORD src1_sel:WORD_1
	v_add_u32_e32 v4, v0, v1
	v_lshl_add_u64 v[4:5], v[4:5], 1, s[16:17]
	global_store_short v[4:5], v3, off
.LBB222_24:
	s_or_b64 exec, exec, s[0:1]
	v_add_u32_e32 v1, 0x60, v2
	v_cmp_gt_u32_e32 vcc, s9, v1
	s_and_b64 exec, exec, vcc
	s_cbranch_execz .LBB222_26
; %bb.25:
	v_bfe_u32 v2, v103, 16, 1
	s_movk_i32 s0, 0x7fff
	v_add3_u32 v2, v103, v2, s0
	v_cmp_o_f32_e32 vcc, v103, v103
	v_mov_b32_e32 v3, 0x7fc0
	v_add_u32_e32 v0, v0, v1
	v_mov_b32_e32 v1, 0
	v_cndmask_b32_sdwa v2, v3, v2, vcc dst_sel:DWORD dst_unused:UNUSED_PAD src0_sel:DWORD src1_sel:WORD_1
	v_lshl_add_u64 v[0:1], v[0:1], 1, s[16:17]
	global_store_short v[0:1], v2, off
.LBB222_26:
	s_endpgm
	.section	.rodata,"a",@progbits
	.p2align	6, 0x0
	.amdhsa_kernel _ZL8moe_q5_0IN3c108BFloat16ELb1EEvPKvS3_PT_PKiS7_S7_iiiiiii
		.amdhsa_group_segment_fixed_size 38656
		.amdhsa_private_segment_fixed_size 0
		.amdhsa_kernarg_size 76
		.amdhsa_user_sgpr_count 2
		.amdhsa_user_sgpr_dispatch_ptr 0
		.amdhsa_user_sgpr_queue_ptr 0
		.amdhsa_user_sgpr_kernarg_segment_ptr 1
		.amdhsa_user_sgpr_dispatch_id 0
		.amdhsa_user_sgpr_kernarg_preload_length 0
		.amdhsa_user_sgpr_kernarg_preload_offset 0
		.amdhsa_user_sgpr_private_segment_size 0
		.amdhsa_uses_dynamic_stack 0
		.amdhsa_enable_private_segment 0
		.amdhsa_system_sgpr_workgroup_id_x 1
		.amdhsa_system_sgpr_workgroup_id_y 1
		.amdhsa_system_sgpr_workgroup_id_z 0
		.amdhsa_system_sgpr_workgroup_info 0
		.amdhsa_system_vgpr_workitem_id 1
		.amdhsa_next_free_vgpr 168
		.amdhsa_next_free_sgpr 96
		.amdhsa_accum_offset 168
		.amdhsa_reserve_vcc 1
		.amdhsa_float_round_mode_32 0
		.amdhsa_float_round_mode_16_64 0
		.amdhsa_float_denorm_mode_32 3
		.amdhsa_float_denorm_mode_16_64 3
		.amdhsa_dx10_clamp 1
		.amdhsa_ieee_mode 1
		.amdhsa_fp16_overflow 0
		.amdhsa_tg_split 0
		.amdhsa_exception_fp_ieee_invalid_op 0
		.amdhsa_exception_fp_denorm_src 0
		.amdhsa_exception_fp_ieee_div_zero 0
		.amdhsa_exception_fp_ieee_overflow 0
		.amdhsa_exception_fp_ieee_underflow 0
		.amdhsa_exception_fp_ieee_inexact 0
		.amdhsa_exception_int_div_zero 0
	.end_amdhsa_kernel
	.section	.text._ZL8moe_q5_0IN3c108BFloat16ELb1EEvPKvS3_PT_PKiS7_S7_iiiiiii,"axG",@progbits,_ZL8moe_q5_0IN3c108BFloat16ELb1EEvPKvS3_PT_PKiS7_S7_iiiiiii,comdat
.Lfunc_end222:
	.size	_ZL8moe_q5_0IN3c108BFloat16ELb1EEvPKvS3_PT_PKiS7_S7_iiiiiii, .Lfunc_end222-_ZL8moe_q5_0IN3c108BFloat16ELb1EEvPKvS3_PT_PKiS7_S7_iiiiiii
                                        ; -- End function
	.set _ZL8moe_q5_0IN3c108BFloat16ELb1EEvPKvS3_PT_PKiS7_S7_iiiiiii.num_vgpr, 168
	.set _ZL8moe_q5_0IN3c108BFloat16ELb1EEvPKvS3_PT_PKiS7_S7_iiiiiii.num_agpr, 0
	.set _ZL8moe_q5_0IN3c108BFloat16ELb1EEvPKvS3_PT_PKiS7_S7_iiiiiii.numbered_sgpr, 29
	.set _ZL8moe_q5_0IN3c108BFloat16ELb1EEvPKvS3_PT_PKiS7_S7_iiiiiii.num_named_barrier, 0
	.set _ZL8moe_q5_0IN3c108BFloat16ELb1EEvPKvS3_PT_PKiS7_S7_iiiiiii.private_seg_size, 0
	.set _ZL8moe_q5_0IN3c108BFloat16ELb1EEvPKvS3_PT_PKiS7_S7_iiiiiii.uses_vcc, 1
	.set _ZL8moe_q5_0IN3c108BFloat16ELb1EEvPKvS3_PT_PKiS7_S7_iiiiiii.uses_flat_scratch, 0
	.set _ZL8moe_q5_0IN3c108BFloat16ELb1EEvPKvS3_PT_PKiS7_S7_iiiiiii.has_dyn_sized_stack, 0
	.set _ZL8moe_q5_0IN3c108BFloat16ELb1EEvPKvS3_PT_PKiS7_S7_iiiiiii.has_recursion, 0
	.set _ZL8moe_q5_0IN3c108BFloat16ELb1EEvPKvS3_PT_PKiS7_S7_iiiiiii.has_indirect_call, 0
	.section	.AMDGPU.csdata,"",@progbits
; Kernel info:
; codeLenInByte = 13276
; TotalNumSgprs: 35
; NumVgprs: 168
; NumAgprs: 0
; TotalNumVgprs: 168
; ScratchSize: 0
; MemoryBound: 0
; FloatMode: 240
; IeeeMode: 1
; LDSByteSize: 38656 bytes/workgroup (compile time only)
; SGPRBlocks: 12
; VGPRBlocks: 20
; NumSGPRsForWavesPerEU: 102
; NumVGPRsForWavesPerEU: 168
; AccumOffset: 168
; Occupancy: 3
; WaveLimiterHint : 1
; COMPUTE_PGM_RSRC2:SCRATCH_EN: 0
; COMPUTE_PGM_RSRC2:USER_SGPR: 2
; COMPUTE_PGM_RSRC2:TRAP_HANDLER: 0
; COMPUTE_PGM_RSRC2:TGID_X_EN: 1
; COMPUTE_PGM_RSRC2:TGID_Y_EN: 1
; COMPUTE_PGM_RSRC2:TGID_Z_EN: 0
; COMPUTE_PGM_RSRC2:TIDIG_COMP_CNT: 1
; COMPUTE_PGM_RSRC3_GFX90A:ACCUM_OFFSET: 41
; COMPUTE_PGM_RSRC3_GFX90A:TG_SPLIT: 0
	.section	.text._ZL8moe_q5_1IN3c108BFloat16ELb0EEvPKvS3_PT_PKiS7_S7_iiiiiii,"axG",@progbits,_ZL8moe_q5_1IN3c108BFloat16ELb0EEvPKvS3_PT_PKiS7_S7_iiiiiii,comdat
	.globl	_ZL8moe_q5_1IN3c108BFloat16ELb0EEvPKvS3_PT_PKiS7_S7_iiiiiii ; -- Begin function _ZL8moe_q5_1IN3c108BFloat16ELb0EEvPKvS3_PT_PKiS7_S7_iiiiiii
	.p2align	8
	.type	_ZL8moe_q5_1IN3c108BFloat16ELb0EEvPKvS3_PT_PKiS7_S7_iiiiiii,@function
_ZL8moe_q5_1IN3c108BFloat16ELb0EEvPKvS3_PT_PKiS7_S7_iiiiiii: ; @_ZL8moe_q5_1IN3c108BFloat16ELb0EEvPKvS3_PT_PKiS7_S7_iiiiiii
; %bb.0:
	s_load_dwordx4 s[4:7], s[0:1], 0x18
	s_mov_b32 s8, s3
	s_mov_b32 s9, 0
	s_lshl_b64 s[10:11], s[8:9], 2
	s_waitcnt lgkmcnt(0)
	s_add_u32 s6, s6, s10
	s_addc_u32 s7, s7, s11
	s_load_dword s3, s[6:7], 0x0
	s_waitcnt lgkmcnt(0)
	s_cmpk_gt_u32 s3, 0xff
	s_cbranch_scc1 .LBB223_31
; %bb.1:
	s_load_dwordx2 s[6:7], s[0:1], 0x28
	s_waitcnt lgkmcnt(0)
	s_load_dword s7, s[6:7], 0x0
	s_lshl_b32 s6, s8, 3
	s_waitcnt lgkmcnt(0)
	s_cmp_gt_u32 s6, s7
	s_cbranch_scc1 .LBB223_31
; %bb.2:
	v_bfe_u32 v4, v0, 10, 10
	v_mov_b32_e32 v6, s4
	v_mov_b32_e32 v7, s5
	v_add_u32_e32 v2, s6, v4
	v_mov_b32_e32 v3, 0
	v_lshl_add_u64 v[6:7], v[2:3], 2, v[6:7]
	global_load_dword v1, v[6:7], off
	s_load_dwordx2 s[14:15], s[0:1], 0x30
	s_load_dwordx2 s[12:13], s[0:1], 0x10
	s_load_dwordx4 s[4:7], s[0:1], 0x3c
	s_lshl_b32 s18, s2, 7
	s_mov_b32 s19, 0
	s_waitcnt lgkmcnt(0)
	s_cmp_lt_i32 s15, 32
	s_cbranch_scc1 .LBB223_21
; %bb.3:
	s_load_dwordx4 s[8:11], s[0:1], 0x0
	s_ashr_i32 s0, s15, 31
	s_ashr_i32 s1, s5, 31
	s_lshr_b32 s0, s0, 27
	s_lshr_b32 s1, s1, 27
	s_add_i32 s0, s15, s0
	s_add_i32 s1, s5, s1
	s_mul_i32 s3, s3, s14
	s_ashr_i32 s20, s0, 5
	s_ashr_i32 s5, s1, 5
	;; [unrolled: 1-line block ×3, first 2 shown]
	s_waitcnt lgkmcnt(0)
	s_add_u32 s2, s8, s3
	s_mul_i32 s3, s20, s18
	s_addc_u32 s1, s9, s1
	s_mul_hi_i32 s8, s3, 24
	s_mul_i32 s3, s3, 24
	s_add_u32 s14, s2, s3
	s_addc_u32 s21, s1, s8
	v_mul_lo_u32 v10, s20, v4
	s_lshl_b32 s1, s20, 3
	v_add_u32_e32 v12, s1, v10
	v_add_u32_e32 v14, s1, v12
	;; [unrolled: 1-line block ×11, first 2 shown]
	v_and_b32_e32 v9, 0x3ff, v0
	v_add_u32_e32 v34, s1, v32
	v_lshlrev_b32_e32 v6, 3, v9
	s_movk_i32 s2, 0x104
	v_add_u32_e32 v36, s1, v34
	v_bfe_u32 v43, v0, 3, 7
	v_mad_u32_u24 v11, v4, s2, v6
	v_add_u32_e32 v38, s1, v36
	v_and_b32_e32 v42, 7, v0
	v_lshl_add_u32 v6, v4, 2, v43
	v_add_u32_e32 v40, s1, v38
	v_and_b32_e32 v7, 0x1ffc, v6
	v_lshlrev_b32_e32 v45, 2, v42
	s_mov_b32 s1, 0x8200
	v_add3_u32 v56, v7, v45, s1
	v_add_u32_e32 v7, 32, v6
	v_mov_b32_e32 v49, 0x9680
	v_lshlrev_b32_e32 v5, 2, v9
	v_mul_lo_u32 v44, s20, v6
	v_lshlrev_b32_e32 v57, 5, v6
	v_and_b32_e32 v47, 0x3ffc, v7
	v_lshlrev_b32_e32 v71, 5, v7
	v_add_u32_e32 v7, 64, v6
	v_add_u32_e32 v6, 0x60, v6
	v_lshl_add_u32 v49, v4, 4, v49
	s_abs_i32 s3, s7
	v_and_b32_e32 v2, 12, v5
	v_add3_u32 v70, v47, v45, s1
	v_and_b32_e32 v47, 0x3ffc, v7
	v_lshlrev_b32_e32 v73, 5, v7
	v_and_b32_e32 v7, 0x3ffc, v6
	v_lshlrev_b32_e32 v75, 5, v6
	v_and_b32_e32 v6, 28, v5
	v_add_u32_e32 v51, v49, v5
	v_cvt_f32_u32_e32 v5, s3
	s_andn2_b32 s0, s0, 31
	v_add_u32_e32 v46, s0, v44
	v_add_u32_e32 v48, s0, v46
	v_rcp_iflag_f32_e32 v5, v5
	v_add_u32_e32 v50, s0, v48
	s_sub_i32 s0, 0, s3
	s_waitcnt vmcnt(0)
	v_sub_u32_e32 v53, 0, v1
	v_mul_f32_e32 v5, 0x4f7ffffe, v5
	v_cvt_u32_f32_e32 v5, v5
	v_max_i32_e32 v53, v1, v53
	v_add3_u32 v72, v47, v45, s1
	v_add3_u32 v74, v7, v45, s1
	v_mul_lo_u32 v54, s0, v5
	v_mul_hi_u32 v54, v5, v54
	v_add_u32_e32 v5, v5, v54
	v_mul_hi_u32 v5, v53, v5
	v_mul_lo_u32 v54, v5, s3
	v_sub_u32_e32 v53, v53, v54
	v_add_u32_e32 v54, 1, v5
	v_cmp_le_u32_e64 s[0:1], s3, v53
	v_xor_b32_e32 v52, s7, v1
	v_ashrrev_i32_e32 v52, 31, v52
	v_cndmask_b32_e64 v5, v5, v54, s[0:1]
	v_subrev_u32_e32 v54, s3, v53
	v_cndmask_b32_e64 v53, v53, v54, s[0:1]
	v_add_u32_e32 v54, 1, v5
	v_cmp_le_u32_e64 s[0:1], s3, v53
	v_mov_b32_e32 v45, 0x9280
	v_lshl_add_u32 v45, v4, 7, v45
	v_cndmask_b32_e64 v5, v5, v54, s[0:1]
	v_xor_b32_e32 v5, v5, v52
	v_add_u32_e32 v4, 32, v9
	v_sub_u32_e32 v5, v5, v52
	v_mov_b32_e32 v7, v3
	v_add_u32_e32 v61, 64, v9
	v_add_u32_e32 v60, 0x60, v9
	v_lshrrev_b32_e32 v59, 3, v4
	v_cmp_gt_i32_e64 s[0:1], s4, v5
	v_mul_lo_u32 v52, v5, s5
	v_lshlrev_b32_e32 v5, 5, v9
	v_and_b32_e32 v4, 0x1fc, v4
	v_lshl_add_u64 v[54:55], s[10:11], 0, v[6:7]
	v_and_b32_e32 v6, 0x1fc, v60
	v_and_b32_e32 v7, 0x1fc, v61
	v_add_u32_e32 v4, v5, v4
	v_and_b32_e32 v63, 0xfc, v0
	v_and_b32_e32 v47, 31, v0
	v_cmp_gt_u32_e32 vcc, 4, v9
	v_add_u32_e32 v6, v5, v6
	v_add_u32_e32 v7, v5, v7
	v_add_u32_e32 v62, 0x8600, v4
	v_add_u32_e32 v5, v5, v63
	v_add_u32_e32 v66, 0x8610, v4
	v_mov_b32_e32 v4, 0x80
	v_bfe_u32 v8, v0, 2, 8
	v_add_u32_e32 v13, 0x820, v11
	v_add_u32_e32 v15, 0x1040, v11
	;; [unrolled: 1-line block ×15, first 2 shown]
	v_lshl_or_b32 v47, v47, 2, v45
	v_mul_u32_u24_e32 v58, 0x104, v9
	s_and_b64 s[8:9], vcc, s[0:1]
	v_ashrrev_i32_e32 v53, 31, v52
	v_add_u32_e32 v60, 0x8e00, v6
	v_add_u32_e32 v61, 0x8a00, v7
	;; [unrolled: 1-line block ×6, first 2 shown]
	v_mad_u32_u24 v68, v9, s2, v4
	v_mov_b32_e32 v4, v3
	v_mov_b32_e32 v5, v3
	;; [unrolled: 1-line block ×4, first 2 shown]
	v_add_u32_e32 v69, v56, v57
	v_add_u32_e32 v70, v70, v71
	;; [unrolled: 1-line block ×4, first 2 shown]
	s_branch .LBB223_5
.LBB223_4:                              ;   in Loop: Header=BB223_5 Depth=1
	s_add_i32 s19, s19, 8
	s_cmp_ge_i32 s19, s20
	s_cbranch_scc1 .LBB223_22
.LBB223_5:                              ; =>This Loop Header: Depth=1
                                        ;     Child Loop BB223_11 Depth 2
                                        ;     Child Loop BB223_19 Depth 2
	s_mul_i32 s2, s19, 24
	s_mul_hi_u32 s3, s19, 24
	s_add_u32 s2, s14, s2
	s_addc_u32 s3, s21, s3
	v_mad_u64_u32 v[56:57], s[16:17], v8, 24, s[2:3]
	v_mad_u64_u32 v[74:75], s[16:17], v10, 24, v[56:57]
	;; [unrolled: 1-line block ×3, first 2 shown]
	v_lshl_add_u64 v[76:77], v[74:75], 0, v[2:3]
	v_mad_u64_u32 v[78:79], s[16:17], v12, 24, v[56:57]
	v_mad_u64_u32 v[80:81], s[16:17], v14, 24, v[56:57]
	global_load_dword v73, v[82:83], off offset:4
	global_load_dword v90, v[80:81], off offset:4
	;; [unrolled: 1-line block ×5, first 2 shown]
	v_lshl_add_u64 v[74:75], v[78:79], 0, v[2:3]
	global_load_dword v94, v[74:75], off offset:8
	v_lshl_add_u64 v[74:75], v[80:81], 0, v[2:3]
	v_lshl_add_u64 v[76:77], v[82:83], 0, v[2:3]
	global_load_dword v95, v[74:75], off offset:8
	global_load_dword v96, v[76:77], off offset:8
	v_mad_u64_u32 v[74:75], s[16:17], v18, 24, v[56:57]
	v_mad_u64_u32 v[76:77], s[16:17], v20, 24, v[56:57]
	;; [unrolled: 1-line block ×4, first 2 shown]
	v_lshl_add_u64 v[82:83], v[74:75], 0, v[2:3]
	v_lshl_add_u64 v[84:85], v[76:77], 0, v[2:3]
	;; [unrolled: 1-line block ×4, first 2 shown]
	global_load_dword v97, v[82:83], off offset:8
	global_load_dword v98, v[84:85], off offset:8
	;; [unrolled: 1-line block ×8, first 2 shown]
	s_waitcnt vmcnt(15)
	v_ashrrev_i32_e32 v73, v2, v73
	s_waitcnt vmcnt(13)
	v_ashrrev_i32_e32 v77, v2, v91
	;; [unrolled: 2-line block ×3, first 2 shown]
	s_waitcnt vmcnt(11)
	v_lshrrev_b32_e32 v75, 4, v93
	v_lshlrev_b32_e32 v80, 4, v74
	v_lshrrev_b32_e32 v82, 12, v74
	v_and_b32_e32 v76, 0xf0f0f0f, v93
	v_lshlrev_b32_e32 v81, 11, v74
	v_lshrrev_b32_e32 v83, 5, v74
	v_and_b32_e32 v75, 0xf0f0f0f, v75
	v_and_b32_e32 v82, 16, v82
	;; [unrolled: 1-line block ×3, first 2 shown]
	v_lshlrev_b32_e32 v84, 2, v74
	v_lshlrev_b32_e32 v85, 18, v74
	v_and_b32_e32 v83, 0x1000, v83
	v_and_b32_e32 v81, 0x1000, v81
	v_or_b32_e32 v75, v82, v75
	v_or_b32_e32 v76, v80, v76
	s_waitcnt vmcnt(10)
	v_lshrrev_b32_e32 v78, 4, v94
	v_lshlrev_b32_e32 v86, 9, v74
	v_lshlrev_b32_e32 v74, 25, v74
	;; [unrolled: 1-line block ×3, first 2 shown]
	v_lshrrev_b32_e32 v89, 12, v77
	v_and_b32_e32 v84, 0x100000, v84
	v_and_b32_e32 v85, 0x100000, v85
	v_or_b32_e32 v75, v75, v83
	v_or_b32_e32 v76, v76, v81
	v_and_b32_e32 v79, 0xf0f0f0f, v94
	v_lshlrev_b32_e32 v88, 11, v77
	v_lshrrev_b32_e32 v91, 5, v77
	v_and_b32_e32 v78, 0xf0f0f0f, v78
	v_and_b32_e32 v86, 0x10000000, v86
	;; [unrolled: 1-line block ×5, first 2 shown]
	v_or_b32_e32 v75, v75, v84
	v_or_b32_e32 v76, v76, v85
	v_lshlrev_b32_e32 v92, 2, v77
	v_lshlrev_b32_e32 v93, 18, v77
	v_and_b32_e32 v91, 0x1000, v91
	v_and_b32_e32 v88, 0x1000, v88
	v_or_b32_e32 v78, v89, v78
	v_or_b32_e32 v79, v87, v79
	;; [unrolled: 1-line block ×4, first 2 shown]
	v_and_b32_e32 v92, 0x100000, v92
	v_or_b32_e32 v78, v78, v91
	v_or_b32_e32 v79, v79, v88
	ds_write2_b32 v11, v74, v75 offset1:1
	v_and_b32_e32 v74, 0x100000, v93
	v_lshlrev_b32_e32 v76, 9, v77
	v_lshlrev_b32_e32 v77, 25, v77
	v_or_b32_e32 v75, v78, v92
	v_or_b32_e32 v74, v79, v74
	v_and_b32_e32 v76, 0x10000000, v76
	v_and_b32_e32 v77, 0x10000000, v77
	v_or_b32_e32 v75, v75, v76
	v_or_b32_e32 v74, v74, v77
	ds_write2_b32 v13, v74, v75 offset1:1
	v_ashrrev_i32_e32 v74, v2, v90
	v_lshlrev_b32_e32 v75, 4, v74
	v_lshlrev_b32_e32 v76, 11, v74
	s_waitcnt vmcnt(9)
	v_lshrrev_b32_e32 v77, 4, v95
	v_lshrrev_b32_e32 v78, 12, v74
	v_and_b32_e32 v80, 0xf0f0f0f, v95
	v_and_b32_e32 v75, 16, v75
	v_lshrrev_b32_e32 v79, 5, v74
	v_and_b32_e32 v77, 0xf0f0f0f, v77
	v_and_b32_e32 v78, 16, v78
	v_or_b32_e32 v75, v75, v80
	v_and_b32_e32 v76, 0x1000, v76
	v_or_b32_e32 v77, v78, v77
	;; [unrolled: 2-line block ×3, first 2 shown]
	v_lshlrev_b32_e32 v76, 2, v74
	v_or_b32_e32 v77, v77, v78
	v_lshlrev_b32_e32 v78, 18, v74
	v_and_b32_e32 v76, 0x100000, v76
	v_and_b32_e32 v78, 0x100000, v78
	v_or_b32_e32 v76, v77, v76
	v_lshlrev_b32_e32 v77, 9, v74
	v_lshlrev_b32_e32 v74, 25, v74
	v_or_b32_e32 v75, v75, v78
	v_and_b32_e32 v77, 0x10000000, v77
	v_and_b32_e32 v74, 0x10000000, v74
	v_or_b32_e32 v76, v76, v77
	v_or_b32_e32 v74, v75, v74
	ds_write2_b32 v15, v74, v76 offset1:1
	v_lshlrev_b32_e32 v74, 4, v73
	v_lshlrev_b32_e32 v75, 11, v73
	s_waitcnt vmcnt(8)
	v_lshrrev_b32_e32 v76, 4, v96
	v_lshrrev_b32_e32 v77, 12, v73
	v_and_b32_e32 v79, 0xf0f0f0f, v96
	v_and_b32_e32 v74, 16, v74
	v_lshrrev_b32_e32 v78, 5, v73
	v_and_b32_e32 v76, 0xf0f0f0f, v76
	v_and_b32_e32 v77, 16, v77
	v_or_b32_e32 v74, v74, v79
	v_and_b32_e32 v75, 0x1000, v75
	v_or_b32_e32 v76, v77, v76
	v_and_b32_e32 v77, 0x1000, v78
	v_or_b32_e32 v74, v74, v75
	v_lshlrev_b32_e32 v75, 2, v73
	v_or_b32_e32 v76, v76, v77
	v_lshlrev_b32_e32 v77, 18, v73
	v_and_b32_e32 v75, 0x100000, v75
	v_and_b32_e32 v77, 0x100000, v77
	v_or_b32_e32 v75, v76, v75
	v_lshlrev_b32_e32 v76, 9, v73
	v_lshlrev_b32_e32 v73, 25, v73
	v_or_b32_e32 v74, v74, v77
	v_and_b32_e32 v76, 0x10000000, v76
	v_and_b32_e32 v73, 0x10000000, v73
	v_or_b32_e32 v75, v75, v76
	v_or_b32_e32 v73, v74, v73
	ds_write2_b32 v17, v73, v75 offset1:1
	s_waitcnt vmcnt(0)
	v_ashrrev_i32_e32 v73, v2, v104
	v_lshlrev_b32_e32 v74, 4, v73
	v_lshlrev_b32_e32 v75, 11, v73
	v_lshrrev_b32_e32 v76, 4, v97
	v_lshrrev_b32_e32 v77, 12, v73
	v_and_b32_e32 v79, 0xf0f0f0f, v97
	v_and_b32_e32 v74, 16, v74
	v_lshrrev_b32_e32 v78, 5, v73
	v_and_b32_e32 v76, 0xf0f0f0f, v76
	v_and_b32_e32 v77, 16, v77
	v_or_b32_e32 v74, v74, v79
	v_and_b32_e32 v75, 0x1000, v75
	v_or_b32_e32 v76, v77, v76
	;; [unrolled: 2-line block ×3, first 2 shown]
	v_lshlrev_b32_e32 v75, 2, v73
	v_or_b32_e32 v76, v76, v77
	v_lshlrev_b32_e32 v77, 18, v73
	v_and_b32_e32 v75, 0x100000, v75
	v_and_b32_e32 v77, 0x100000, v77
	v_or_b32_e32 v75, v76, v75
	v_lshlrev_b32_e32 v76, 9, v73
	v_lshlrev_b32_e32 v73, 25, v73
	v_or_b32_e32 v74, v74, v77
	v_and_b32_e32 v76, 0x10000000, v76
	v_and_b32_e32 v73, 0x10000000, v73
	v_or_b32_e32 v75, v75, v76
	v_or_b32_e32 v73, v74, v73
	v_lshrrev_b32_e32 v74, 4, v98
	ds_write2_b32 v19, v73, v75 offset1:1
	v_and_b32_e32 v94, 0xf0f0f0f, v74
	v_mad_u64_u32 v[74:75], s[16:17], v26, 24, v[56:57]
	v_lshl_add_u64 v[76:77], v[74:75], 0, v[2:3]
	v_mad_u64_u32 v[78:79], s[16:17], v28, 24, v[56:57]
	v_mad_u64_u32 v[82:83], s[16:17], v30, 24, v[56:57]
	;; [unrolled: 1-line block ×3, first 2 shown]
	v_ashrrev_i32_e32 v73, v2, v103
	v_and_b32_e32 v95, 0xf0f0f0f, v98
	v_lshl_add_u64 v[80:81], v[78:79], 0, v[2:3]
	v_lshl_add_u64 v[84:85], v[82:83], 0, v[2:3]
	;; [unrolled: 1-line block ×3, first 2 shown]
	global_load_dword v96, v[76:77], off offset:8
	global_load_dword v97, v[80:81], off offset:8
	global_load_dword v98, v[84:85], off offset:8
	global_load_dword v103, v[88:89], off offset:8
	global_load_dword v104, v[86:87], off offset:4
	global_load_dword v105, v[82:83], off offset:4
	global_load_dword v106, v[78:79], off offset:4
	global_load_dword v107, v[74:75], off offset:4
	v_lshrrev_b32_e32 v92, 12, v73
	v_lshlrev_b32_e32 v90, 4, v73
	v_lshrrev_b32_e32 v93, 5, v73
	v_and_b32_e32 v74, 16, v92
	v_lshlrev_b32_e32 v91, 11, v73
	v_and_b32_e32 v75, 16, v90
	v_or_b32_e32 v74, v74, v94
	v_and_b32_e32 v76, 0x1000, v93
	v_or_b32_e32 v75, v75, v95
	;; [unrolled: 2-line block ×3, first 2 shown]
	v_lshlrev_b32_e32 v76, 2, v73
	v_or_b32_e32 v75, v75, v77
	v_lshlrev_b32_e32 v77, 18, v73
	v_and_b32_e32 v76, 0x100000, v76
	v_and_b32_e32 v77, 0x100000, v77
	v_or_b32_e32 v74, v74, v76
	v_lshlrev_b32_e32 v76, 9, v73
	v_lshlrev_b32_e32 v73, 25, v73
	v_or_b32_e32 v75, v75, v77
	v_and_b32_e32 v76, 0x10000000, v76
	v_and_b32_e32 v73, 0x10000000, v73
	v_or_b32_e32 v74, v74, v76
	v_or_b32_e32 v73, v75, v73
	ds_write2_b32 v21, v73, v74 offset1:1
	v_ashrrev_i32_e32 v73, v2, v102
	v_lshlrev_b32_e32 v74, 4, v73
	v_lshlrev_b32_e32 v75, 11, v73
	v_lshrrev_b32_e32 v76, 4, v99
	v_lshrrev_b32_e32 v77, 12, v73
	v_and_b32_e32 v79, 0xf0f0f0f, v99
	v_and_b32_e32 v74, 16, v74
	v_lshrrev_b32_e32 v78, 5, v73
	v_and_b32_e32 v76, 0xf0f0f0f, v76
	v_and_b32_e32 v77, 16, v77
	v_or_b32_e32 v74, v74, v79
	v_and_b32_e32 v75, 0x1000, v75
	v_or_b32_e32 v76, v77, v76
	;; [unrolled: 2-line block ×3, first 2 shown]
	v_lshlrev_b32_e32 v75, 2, v73
	v_or_b32_e32 v76, v76, v77
	v_lshlrev_b32_e32 v77, 18, v73
	v_and_b32_e32 v75, 0x100000, v75
	v_and_b32_e32 v77, 0x100000, v77
	v_or_b32_e32 v75, v76, v75
	v_lshlrev_b32_e32 v76, 9, v73
	v_lshlrev_b32_e32 v73, 25, v73
	v_or_b32_e32 v74, v74, v77
	v_and_b32_e32 v76, 0x10000000, v76
	v_and_b32_e32 v73, 0x10000000, v73
	v_or_b32_e32 v75, v75, v76
	v_or_b32_e32 v73, v74, v73
	ds_write2_b32 v23, v73, v75 offset1:1
	v_ashrrev_i32_e32 v73, v2, v101
	v_lshlrev_b32_e32 v74, 4, v73
	v_lshlrev_b32_e32 v75, 11, v73
	v_lshrrev_b32_e32 v76, 4, v100
	v_lshrrev_b32_e32 v77, 12, v73
	v_and_b32_e32 v79, 0xf0f0f0f, v100
	v_and_b32_e32 v74, 16, v74
	v_lshrrev_b32_e32 v78, 5, v73
	v_and_b32_e32 v76, 0xf0f0f0f, v76
	v_and_b32_e32 v77, 16, v77
	v_or_b32_e32 v74, v74, v79
	v_and_b32_e32 v75, 0x1000, v75
	v_or_b32_e32 v76, v77, v76
	;; [unrolled: 2-line block ×3, first 2 shown]
	v_lshlrev_b32_e32 v75, 2, v73
	v_or_b32_e32 v76, v76, v77
	v_lshlrev_b32_e32 v77, 18, v73
	v_and_b32_e32 v75, 0x100000, v75
	v_and_b32_e32 v77, 0x100000, v77
	v_or_b32_e32 v75, v76, v75
	v_lshlrev_b32_e32 v76, 9, v73
	v_lshlrev_b32_e32 v73, 25, v73
	v_or_b32_e32 v74, v74, v77
	v_and_b32_e32 v76, 0x10000000, v76
	v_and_b32_e32 v73, 0x10000000, v73
	v_or_b32_e32 v75, v75, v76
	v_or_b32_e32 v73, v74, v73
	ds_write2_b32 v25, v73, v75 offset1:1
	s_waitcnt vmcnt(0)
	v_ashrrev_i32_e32 v73, v2, v107
	v_lshlrev_b32_e32 v74, 4, v73
	v_lshlrev_b32_e32 v75, 11, v73
	v_lshrrev_b32_e32 v76, 4, v96
	v_lshrrev_b32_e32 v77, 12, v73
	v_and_b32_e32 v79, 0xf0f0f0f, v96
	v_and_b32_e32 v74, 16, v74
	v_lshrrev_b32_e32 v78, 5, v73
	v_and_b32_e32 v76, 0xf0f0f0f, v76
	v_and_b32_e32 v77, 16, v77
	v_or_b32_e32 v74, v74, v79
	v_and_b32_e32 v75, 0x1000, v75
	v_or_b32_e32 v76, v77, v76
	;; [unrolled: 2-line block ×3, first 2 shown]
	v_lshlrev_b32_e32 v75, 2, v73
	v_or_b32_e32 v76, v76, v77
	v_lshlrev_b32_e32 v77, 18, v73
	v_and_b32_e32 v75, 0x100000, v75
	v_and_b32_e32 v77, 0x100000, v77
	v_or_b32_e32 v75, v76, v75
	v_lshlrev_b32_e32 v76, 9, v73
	v_lshlrev_b32_e32 v73, 25, v73
	v_or_b32_e32 v74, v74, v77
	v_and_b32_e32 v76, 0x10000000, v76
	v_and_b32_e32 v73, 0x10000000, v73
	v_or_b32_e32 v75, v75, v76
	v_or_b32_e32 v73, v74, v73
	v_lshrrev_b32_e32 v74, 4, v97
	ds_write2_b32 v27, v73, v75 offset1:1
	v_and_b32_e32 v92, 0xf0f0f0f, v74
	v_mad_u64_u32 v[74:75], s[16:17], v34, 24, v[56:57]
	v_lshl_add_u64 v[76:77], v[74:75], 0, v[2:3]
	v_mad_u64_u32 v[78:79], s[16:17], v36, 24, v[56:57]
	v_mad_u64_u32 v[82:83], s[16:17], v38, 24, v[56:57]
	;; [unrolled: 1-line block ×3, first 2 shown]
	v_and_b32_e32 v93, 0xf0f0f0f, v97
	v_lshl_add_u64 v[80:81], v[78:79], 0, v[2:3]
	v_lshl_add_u64 v[84:85], v[82:83], 0, v[2:3]
	;; [unrolled: 1-line block ×3, first 2 shown]
	global_load_dword v94, v[76:77], off offset:8
	global_load_dword v95, v[80:81], off offset:8
	;; [unrolled: 1-line block ×8, first 2 shown]
	v_ashrrev_i32_e32 v73, v2, v106
	v_lshrrev_b32_e32 v90, 12, v73
	v_lshlrev_b32_e32 v88, 4, v73
	v_lshrrev_b32_e32 v91, 5, v73
	v_and_b32_e32 v56, 16, v90
	v_lshlrev_b32_e32 v89, 11, v73
	v_and_b32_e32 v57, 16, v88
	v_or_b32_e32 v56, v56, v92
	v_and_b32_e32 v74, 0x1000, v91
	v_or_b32_e32 v57, v57, v93
	;; [unrolled: 2-line block ×3, first 2 shown]
	v_lshlrev_b32_e32 v74, 2, v73
	v_or_b32_e32 v57, v57, v75
	v_lshlrev_b32_e32 v75, 18, v73
	v_and_b32_e32 v74, 0x100000, v74
	v_and_b32_e32 v75, 0x100000, v75
	v_or_b32_e32 v56, v56, v74
	v_lshlrev_b32_e32 v74, 9, v73
	v_lshlrev_b32_e32 v73, 25, v73
	v_or_b32_e32 v57, v57, v75
	v_and_b32_e32 v74, 0x10000000, v74
	v_and_b32_e32 v73, 0x10000000, v73
	v_or_b32_e32 v56, v56, v74
	v_or_b32_e32 v57, v57, v73
	ds_write2_b32 v29, v57, v56 offset1:1
	v_ashrrev_i32_e32 v56, v2, v105
	v_lshlrev_b32_e32 v57, 4, v56
	v_lshlrev_b32_e32 v73, 11, v56
	v_lshrrev_b32_e32 v74, 4, v98
	v_lshrrev_b32_e32 v75, 12, v56
	v_and_b32_e32 v77, 0xf0f0f0f, v98
	v_and_b32_e32 v57, 16, v57
	v_lshrrev_b32_e32 v76, 5, v56
	v_and_b32_e32 v74, 0xf0f0f0f, v74
	v_and_b32_e32 v75, 16, v75
	v_or_b32_e32 v57, v57, v77
	v_and_b32_e32 v73, 0x1000, v73
	v_or_b32_e32 v74, v75, v74
	;; [unrolled: 2-line block ×3, first 2 shown]
	v_lshlrev_b32_e32 v73, 2, v56
	v_or_b32_e32 v74, v74, v75
	v_lshlrev_b32_e32 v75, 18, v56
	v_and_b32_e32 v73, 0x100000, v73
	v_and_b32_e32 v75, 0x100000, v75
	v_or_b32_e32 v73, v74, v73
	v_lshlrev_b32_e32 v74, 9, v56
	v_lshlrev_b32_e32 v56, 25, v56
	v_or_b32_e32 v57, v57, v75
	v_and_b32_e32 v74, 0x10000000, v74
	v_and_b32_e32 v56, 0x10000000, v56
	v_or_b32_e32 v73, v73, v74
	v_or_b32_e32 v56, v57, v56
	ds_write2_b32 v31, v56, v73 offset1:1
	v_ashrrev_i32_e32 v56, v2, v104
	v_lshlrev_b32_e32 v57, 4, v56
	v_lshlrev_b32_e32 v73, 11, v56
	v_lshrrev_b32_e32 v74, 4, v103
	v_lshrrev_b32_e32 v75, 12, v56
	v_and_b32_e32 v77, 0xf0f0f0f, v103
	v_and_b32_e32 v57, 16, v57
	v_lshrrev_b32_e32 v76, 5, v56
	v_and_b32_e32 v74, 0xf0f0f0f, v74
	v_and_b32_e32 v75, 16, v75
	v_or_b32_e32 v57, v57, v77
	v_and_b32_e32 v73, 0x1000, v73
	v_or_b32_e32 v74, v75, v74
	;; [unrolled: 2-line block ×3, first 2 shown]
	v_lshlrev_b32_e32 v73, 2, v56
	v_or_b32_e32 v74, v74, v75
	v_lshlrev_b32_e32 v75, 18, v56
	v_and_b32_e32 v73, 0x100000, v73
	v_and_b32_e32 v75, 0x100000, v75
	v_or_b32_e32 v73, v74, v73
	v_lshlrev_b32_e32 v74, 9, v56
	v_lshlrev_b32_e32 v56, 25, v56
	v_or_b32_e32 v57, v57, v75
	v_and_b32_e32 v74, 0x10000000, v74
	v_and_b32_e32 v56, 0x10000000, v56
	v_or_b32_e32 v73, v73, v74
	v_or_b32_e32 v56, v57, v56
	ds_write2_b32 v33, v56, v73 offset1:1
	s_waitcnt vmcnt(0)
	v_ashrrev_i32_e32 v56, v2, v102
	v_lshlrev_b32_e32 v57, 4, v56
	v_lshlrev_b32_e32 v73, 11, v56
	v_lshrrev_b32_e32 v74, 4, v94
	v_lshrrev_b32_e32 v75, 12, v56
	v_and_b32_e32 v77, 0xf0f0f0f, v94
	v_and_b32_e32 v57, 16, v57
	v_lshrrev_b32_e32 v76, 5, v56
	v_and_b32_e32 v74, 0xf0f0f0f, v74
	v_and_b32_e32 v75, 16, v75
	v_or_b32_e32 v57, v57, v77
	v_and_b32_e32 v73, 0x1000, v73
	v_or_b32_e32 v74, v75, v74
	;; [unrolled: 2-line block ×3, first 2 shown]
	v_lshlrev_b32_e32 v73, 2, v56
	v_or_b32_e32 v74, v74, v75
	v_lshlrev_b32_e32 v75, 18, v56
	v_and_b32_e32 v73, 0x100000, v73
	v_and_b32_e32 v75, 0x100000, v75
	v_or_b32_e32 v73, v74, v73
	v_lshlrev_b32_e32 v74, 9, v56
	v_lshlrev_b32_e32 v56, 25, v56
	v_or_b32_e32 v57, v57, v75
	v_and_b32_e32 v74, 0x10000000, v74
	v_and_b32_e32 v56, 0x10000000, v56
	v_or_b32_e32 v73, v73, v74
	v_or_b32_e32 v56, v57, v56
	ds_write2_b32 v35, v56, v73 offset1:1
	v_ashrrev_i32_e32 v73, v2, v101
	v_lshlrev_b32_e32 v56, 4, v73
	v_lshrrev_b32_e32 v57, 4, v95
	v_lshrrev_b32_e32 v74, 12, v73
	v_and_b32_e32 v57, 0xf0f0f0f, v57
	v_and_b32_e32 v76, 0xf0f0f0f, v95
	;; [unrolled: 1-line block ×4, first 2 shown]
	v_lshrrev_b32_e32 v75, 5, v73
	v_or_b32_e32 v81, v74, v57
	v_or_b32_e32 v82, v56, v76
	v_mad_u64_u32 v[56:57], s[2:3], v42, 24, s[2:3]
	v_and_b32_e32 v83, 0x1000, v75
	v_mad_u64_u32 v[74:75], s[2:3], v44, 24, v[56:57]
	v_mad_u64_u32 v[76:77], s[2:3], v46, 24, v[56:57]
	;; [unrolled: 1-line block ×4, first 2 shown]
	global_load_dword v84, v[74:75], off
	global_load_dword v85, v[76:77], off
	;; [unrolled: 1-line block ×3, first 2 shown]
	v_lshlrev_b32_e32 v80, 11, v73
	global_load_dword v56, v[56:57], off
	v_lshlrev_b32_e32 v75, 2, v73
	v_and_b32_e32 v57, 0x1000, v80
	v_or_b32_e32 v74, v81, v83
	v_lshlrev_b32_e32 v76, 18, v73
	v_and_b32_e32 v75, 0x100000, v75
	v_or_b32_e32 v57, v82, v57
	v_and_b32_e32 v76, 0x100000, v76
	v_or_b32_e32 v74, v74, v75
	v_lshlrev_b32_e32 v75, 9, v73
	v_lshlrev_b32_e32 v73, 25, v73
	v_or_b32_e32 v57, v57, v76
	v_and_b32_e32 v75, 0x10000000, v75
	v_and_b32_e32 v73, 0x10000000, v73
	v_or_b32_e32 v74, v74, v75
	v_or_b32_e32 v57, v57, v73
	ds_write2_b32 v37, v57, v74 offset1:1
	v_ashrrev_i32_e32 v57, v2, v100
	v_lshlrev_b32_e32 v73, 4, v57
	v_lshlrev_b32_e32 v74, 11, v57
	v_lshrrev_b32_e32 v75, 4, v96
	v_lshrrev_b32_e32 v76, 12, v57
	v_and_b32_e32 v78, 0xf0f0f0f, v96
	v_and_b32_e32 v73, 16, v73
	v_lshrrev_b32_e32 v77, 5, v57
	v_and_b32_e32 v75, 0xf0f0f0f, v75
	v_and_b32_e32 v76, 16, v76
	v_or_b32_e32 v73, v73, v78
	v_and_b32_e32 v74, 0x1000, v74
	v_or_b32_e32 v75, v76, v75
	;; [unrolled: 2-line block ×3, first 2 shown]
	v_lshlrev_b32_e32 v74, 2, v57
	v_or_b32_e32 v75, v75, v76
	v_lshlrev_b32_e32 v76, 18, v57
	v_and_b32_e32 v74, 0x100000, v74
	v_and_b32_e32 v76, 0x100000, v76
	v_or_b32_e32 v74, v75, v74
	v_lshlrev_b32_e32 v75, 9, v57
	v_lshlrev_b32_e32 v57, 25, v57
	v_or_b32_e32 v73, v73, v76
	v_and_b32_e32 v75, 0x10000000, v75
	v_and_b32_e32 v57, 0x10000000, v57
	v_or_b32_e32 v74, v74, v75
	v_or_b32_e32 v57, v73, v57
	ds_write2_b32 v39, v57, v74 offset1:1
	v_ashrrev_i32_e32 v57, v2, v99
	v_lshlrev_b32_e32 v73, 4, v57
	v_lshlrev_b32_e32 v74, 11, v57
	v_lshrrev_b32_e32 v75, 4, v97
	v_lshrrev_b32_e32 v76, 12, v57
	v_and_b32_e32 v78, 0xf0f0f0f, v97
	v_and_b32_e32 v73, 16, v73
	v_lshrrev_b32_e32 v77, 5, v57
	v_and_b32_e32 v75, 0xf0f0f0f, v75
	v_and_b32_e32 v76, 16, v76
	v_or_b32_e32 v73, v73, v78
	v_and_b32_e32 v74, 0x1000, v74
	v_or_b32_e32 v75, v76, v75
	;; [unrolled: 2-line block ×3, first 2 shown]
	v_lshlrev_b32_e32 v74, 2, v57
	v_or_b32_e32 v75, v75, v76
	v_lshlrev_b32_e32 v76, 18, v57
	v_and_b32_e32 v74, 0x100000, v74
	v_and_b32_e32 v76, 0x100000, v76
	v_or_b32_e32 v74, v75, v74
	v_lshlrev_b32_e32 v75, 9, v57
	v_lshlrev_b32_e32 v57, 25, v57
	v_or_b32_e32 v73, v73, v76
	v_and_b32_e32 v75, 0x10000000, v75
	v_and_b32_e32 v57, 0x10000000, v57
	s_lshl_b32 s16, s19, 5
	v_or_b32_e32 v74, v74, v75
	v_or_b32_e32 v57, v73, v57
	s_cmp_lt_i32 s16, s15
	ds_write2_b32 v41, v57, v74 offset1:1
	s_waitcnt vmcnt(3)
	ds_write_b32 v69, v84
	s_waitcnt vmcnt(2)
	ds_write_b32 v70, v85
	;; [unrolled: 2-line block ×4, first 2 shown]
	s_cbranch_scc0 .LBB223_4
; %bb.6:                                ;   in Loop: Header=BB223_5 Depth=1
	v_add_u32_e32 v56, s19, v43
	v_cmp_gt_i32_e64 s[2:3], s5, v56
	s_and_b64 s[22:23], s[0:1], s[2:3]
	s_and_saveexec_b64 s[2:3], s[22:23]
	s_cbranch_execz .LBB223_8
; %bb.7:                                ;   in Loop: Header=BB223_5 Depth=1
	v_add_u32_e32 v56, v52, v56
	v_mad_i64_i32 v[56:57], s[22:23], v56, 36, v[54:55]
	global_load_dword v56, v[56:57], off offset:4
	s_waitcnt vmcnt(0)
	ds_write_b32 v47, v56
.LBB223_8:                              ;   in Loop: Header=BB223_5 Depth=1
	s_or_b64 exec, exec, s[2:3]
	v_add_u32_e32 v56, s19, v9
	v_cmp_gt_i32_e64 s[2:3], s5, v56
	s_and_b64 s[22:23], s[8:9], s[2:3]
	s_and_saveexec_b64 s[2:3], s[22:23]
	s_cbranch_execz .LBB223_10
; %bb.9:                                ;   in Loop: Header=BB223_5 Depth=1
	v_add_u32_e32 v57, v52, v56
	v_mad_i64_i32 v[74:75], s[22:23], v57, 36, s[10:11]
	global_load_dword v57, v[74:75], off
	s_waitcnt vmcnt(0)
	ds_write_b32 v51, v57
.LBB223_10:                             ;   in Loop: Header=BB223_5 Depth=1
	s_or_b64 exec, exec, s[2:3]
	s_mov_b32 s2, -4
	v_mov_b32_e32 v57, v45
	v_mov_b32_e32 v73, v58
	;; [unrolled: 1-line block ×7, first 2 shown]
	s_waitcnt lgkmcnt(0)
	s_barrier
.LBB223_11:                             ;   Parent Loop BB223_5 Depth=1
                                        ; =>  This Inner Loop Header: Depth=2
	ds_read_b128 v[80:83], v57
	ds_read_b128 v[84:87], v57 offset:16
	ds_read_b32 v79, v74
	ds_read_b32 v90, v75
	ds_read2_b32 v[88:89], v73 offset1:1
	v_mov_b32_e32 v94, 0
	v_mov_b32_e32 v95, 0
	v_add_u32_e32 v92, 0x4100, v73
	v_mov_b32_e32 v97, 0
	s_waitcnt lgkmcnt(0)
	v_dot4c_i32_i8_e32 v94, v88, v80
	v_dot4c_i32_i8_e32 v94, v89, v84
	ds_read2_b32 v[88:89], v73 offset0:2 offset1:3
	v_mov_b32_e32 v99, 0
	v_pk_mul_f16 v90, v79, v90
	s_add_i32 s2, s2, 4
	v_add_u32_e32 v75, 4, v75
	s_waitcnt lgkmcnt(0)
	v_dot4c_i32_i8_e32 v94, v88, v81
	v_dot4c_i32_i8_e32 v94, v89, v85
	ds_read2_b32 v[88:89], v73 offset0:4 offset1:5
	v_add_u32_e32 v74, 4, v74
	v_add_u32_e32 v57, 32, v57
	s_cmp_lt_u32 s2, 12
	s_waitcnt lgkmcnt(0)
	v_dot4c_i32_i8_e32 v94, v88, v82
	v_dot4c_i32_i8_e32 v94, v89, v86
	ds_read2_b32 v[88:89], v73 offset0:6 offset1:7
	s_waitcnt lgkmcnt(0)
	v_dot4c_i32_i8_e32 v94, v88, v83
	v_add_u32_e32 v88, 0x2080, v73
	v_dot4c_i32_i8_e32 v94, v89, v87
	ds_read_b32 v91, v76
	ds_read2_b32 v[88:89], v88 offset1:1
	v_add_u32_e32 v76, 4, v76
	s_waitcnt lgkmcnt(1)
	v_pk_mul_f16 v91, v79, v91
	s_waitcnt lgkmcnt(0)
	v_dot4c_i32_i8_e32 v95, v88, v80
	v_add_u32_e32 v88, 0x2088, v73
	v_dot4c_i32_i8_e32 v95, v89, v84
	ds_read2_b32 v[88:89], v88 offset1:1
	s_waitcnt lgkmcnt(0)
	v_dot4c_i32_i8_e32 v95, v88, v81
	v_add_u32_e32 v88, 0x2090, v73
	v_dot4c_i32_i8_e32 v95, v89, v85
	ds_read2_b32 v[88:89], v88 offset1:1
	;; [unrolled: 5-line block ×3, first 2 shown]
	ds_read_b32 v96, v77
	ds_read2_b32 v[92:93], v92 offset1:1
	v_add_u32_e32 v77, 4, v77
	s_waitcnt lgkmcnt(2)
	v_dot4c_i32_i8_e32 v95, v88, v83
	s_waitcnt lgkmcnt(0)
	v_dot4c_i32_i8_e32 v97, v92, v80
	v_add_u32_e32 v92, 0x4108, v73
	v_dot4c_i32_i8_e32 v97, v93, v84
	ds_read2_b32 v[92:93], v92 offset1:1
	v_dot4c_i32_i8_e32 v95, v89, v87
	v_pk_mul_f16 v96, v79, v96
	v_cvt_f32_f16_e32 v89, v91
	v_cvt_f32_f16_e32 v88, v90
	s_waitcnt lgkmcnt(0)
	v_dot4c_i32_i8_e32 v97, v92, v81
	v_add_u32_e32 v92, 0x4110, v73
	v_dot4c_i32_i8_e32 v97, v93, v85
	ds_read2_b32 v[92:93], v92 offset1:1
	v_cvt_f32_f16_sdwa v91, v91 dst_sel:DWORD dst_unused:UNUSED_PAD src0_sel:WORD_1
	v_cvt_f32_f16_sdwa v90, v90 dst_sel:DWORD dst_unused:UNUSED_PAD src0_sel:WORD_1
	s_waitcnt lgkmcnt(0)
	v_dot4c_i32_i8_e32 v97, v92, v82
	v_add_u32_e32 v92, 0x4118, v73
	v_dot4c_i32_i8_e32 v97, v93, v86
	ds_read2_b32 v[92:93], v92 offset1:1
	s_waitcnt lgkmcnt(0)
	v_dot4c_i32_i8_e32 v97, v92, v83
	v_add_u32_e32 v92, 0x6180, v73
	v_dot4c_i32_i8_e32 v97, v93, v87
	ds_read_b32 v98, v78
	ds_read2_b32 v[92:93], v92 offset1:1
	v_add_u32_e32 v78, 4, v78
	s_waitcnt lgkmcnt(1)
	v_pk_mul_f16 v79, v79, v98
	s_waitcnt lgkmcnt(0)
	v_dot4c_i32_i8_e32 v99, v92, v80
	v_add_u32_e32 v80, 0x6188, v73
	v_dot4c_i32_i8_e32 v99, v93, v84
	ds_read2_b32 v[92:93], v80 offset1:1
	v_add_u32_e32 v80, 0x6190, v73
	v_cvt_f32_i32_e32 v84, v97
	s_waitcnt lgkmcnt(0)
	v_dot4c_i32_i8_e32 v99, v92, v81
	ds_read2_b32 v[80:81], v80 offset1:1
	v_dot4c_i32_i8_e32 v99, v93, v85
	s_waitcnt lgkmcnt(0)
	v_dot4c_i32_i8_e32 v99, v80, v82
	v_add_u32_e32 v80, 0x6198, v73
	v_dot4c_i32_i8_e32 v99, v81, v86
	ds_read2_b32 v[80:81], v80 offset1:1
	v_cvt_f32_f16_sdwa v82, v96 dst_sel:DWORD dst_unused:UNUSED_PAD src0_sel:WORD_1
	v_cvt_f32_i32_e32 v86, v94
	v_add_u32_e32 v73, 32, v73
	s_waitcnt lgkmcnt(0)
	v_dot4c_i32_i8_e32 v99, v80, v83
	v_dot4c_i32_i8_e32 v99, v81, v87
	v_cvt_f32_f16_e32 v81, v79
	v_cvt_f32_f16_e32 v80, v96
	v_cvt_f32_f16_sdwa v83, v79 dst_sel:DWORD dst_unused:UNUSED_PAD src0_sel:WORD_1
	v_cvt_f32_i32_e32 v85, v99
	v_cvt_f32_i32_e32 v87, v95
	v_pk_fma_f32 v[80:81], v[80:81], v[84:85], v[82:83]
	v_pk_fma_f32 v[86:87], v[88:89], v[86:87], v[90:91]
	v_pk_add_f32 v[6:7], v[6:7], v[80:81]
	v_pk_add_f32 v[4:5], v[4:5], v[86:87]
	s_cbranch_scc1 .LBB223_11
; %bb.12:                               ;   in Loop: Header=BB223_5 Depth=1
	s_bitset1_b32 s16, 7
	s_cmp_ge_i32 s16, s15
	s_barrier
	s_cbranch_scc1 .LBB223_4
; %bb.13:                               ;   in Loop: Header=BB223_5 Depth=1
	v_add_u32_e32 v57, s19, v59
	v_cmp_gt_i32_e64 s[2:3], s5, v57
	s_and_b64 s[16:17], s[0:1], s[2:3]
	s_and_saveexec_b64 s[2:3], s[16:17]
	s_cbranch_execz .LBB223_15
; %bb.14:                               ;   in Loop: Header=BB223_5 Depth=1
	v_add_u32_e32 v57, v52, v57
	v_mad_i64_i32 v[74:75], s[16:17], v57, 36, v[54:55]
	global_load_dword v57, v[74:75], off offset:4
	s_waitcnt vmcnt(0)
	ds_write_b32 v47, v57
.LBB223_15:                             ;   in Loop: Header=BB223_5 Depth=1
	s_or_b64 exec, exec, s[2:3]
	s_and_saveexec_b64 s[16:17], vcc
	s_cbranch_execz .LBB223_18
; %bb.16:                               ;   in Loop: Header=BB223_5 Depth=1
	v_or_b32_e32 v57, 4, v56
	v_cmp_gt_i32_e64 s[2:3], s5, v57
	s_and_b64 s[2:3], s[0:1], s[2:3]
	s_and_b64 exec, exec, s[2:3]
	s_cbranch_execz .LBB223_18
; %bb.17:                               ;   in Loop: Header=BB223_5 Depth=1
	v_ashrrev_i32_e32 v57, 31, v56
	v_lshl_add_u64 v[56:57], v[52:53], 0, v[56:57]
	v_mad_u64_u32 v[74:75], s[2:3], v56, 36, s[10:11]
	v_mad_i32_i24 v75, v57, 36, v75
	global_load_dword v56, v[74:75], off offset:144
	s_waitcnt vmcnt(0)
	ds_write_b32 v51, v56
.LBB223_18:                             ;   in Loop: Header=BB223_5 Depth=1
	s_or_b64 exec, exec, s[16:17]
	s_mov_b32 s2, 12
	v_mov_b32_e32 v56, v49
	v_mov_b32_e32 v57, v45
	;; [unrolled: 1-line block ×7, first 2 shown]
	s_waitcnt lgkmcnt(0)
	s_barrier
.LBB223_19:                             ;   Parent Loop BB223_5 Depth=1
                                        ; =>  This Inner Loop Header: Depth=2
	ds_read_b128 v[78:81], v57
	ds_read_b32 v118, v56
	ds_read_b128 v[82:85], v57 offset:16
	ds_read2_b32 v[86:87], v73 offset1:1
	v_add_u32_e32 v94, 0x2080, v73
	v_add_u32_e32 v96, 0x2088, v73
	;; [unrolled: 1-line block ×12, first 2 shown]
	ds_read_b32 v119, v74
	ds_read2_b32 v[88:89], v73 offset0:2 offset1:3
	ds_read2_b32 v[90:91], v73 offset0:4 offset1:5
	;; [unrolled: 1-line block ×3, first 2 shown]
	ds_read_b32 v120, v75
	ds_read_b32 v121, v76
	;; [unrolled: 1-line block ×3, first 2 shown]
	ds_read2_b32 v[94:95], v94 offset1:1
	ds_read2_b32 v[96:97], v96 offset1:1
	;; [unrolled: 1-line block ×12, first 2 shown]
	v_mov_b32_e32 v124, 0
	v_mov_b32_e32 v125, 0
	;; [unrolled: 1-line block ×4, first 2 shown]
	s_waitcnt lgkmcnt(14)
	v_dot4c_i32_i8_e32 v124, v86, v78
	s_waitcnt lgkmcnt(11)
	v_dot4c_i32_i8_e32 v125, v94, v78
	;; [unrolled: 2-line block ×4, first 2 shown]
	v_dot4c_i32_i8_e32 v124, v87, v82
	v_dot4c_i32_i8_e32 v125, v95, v82
	v_dot4c_i32_i8_e32 v126, v103, v82
	v_dot4c_i32_i8_e32 v127, v111, v82
	v_dot4c_i32_i8_e32 v124, v88, v79
	v_dot4c_i32_i8_e32 v125, v96, v79
	v_dot4c_i32_i8_e32 v126, v104, v79
	s_waitcnt lgkmcnt(2)
	v_dot4c_i32_i8_e32 v127, v112, v79
	v_dot4c_i32_i8_e32 v124, v89, v83
	v_dot4c_i32_i8_e32 v125, v97, v83
	v_dot4c_i32_i8_e32 v126, v105, v83
	v_dot4c_i32_i8_e32 v127, v113, v83
	v_dot4c_i32_i8_e32 v124, v90, v80
	v_dot4c_i32_i8_e32 v125, v98, v80
	v_dot4c_i32_i8_e32 v126, v106, v80
	s_waitcnt lgkmcnt(1)
	v_dot4c_i32_i8_e32 v127, v114, v80
	;; [unrolled: 9-line block ×3, first 2 shown]
	v_pk_mul_f16 v123, v118, v119
	v_pk_mul_f16 v119, v118, v120
	;; [unrolled: 1-line block ×4, first 2 shown]
	v_dot4c_i32_i8_e32 v124, v93, v85
	v_dot4c_i32_i8_e32 v125, v101, v85
	v_dot4c_i32_i8_e32 v126, v109, v85
	v_dot4c_i32_i8_e32 v127, v117, v85
	v_cvt_f32_f16_e32 v87, v119
	v_cvt_f32_f16_e32 v86, v123
	v_cvt_f32_f16_sdwa v119, v119 dst_sel:DWORD dst_unused:UNUSED_PAD src0_sel:WORD_1
	v_cvt_f32_f16_sdwa v118, v123 dst_sel:DWORD dst_unused:UNUSED_PAD src0_sel:WORD_1
	v_cvt_f32_f16_e32 v121, v122
	v_cvt_f32_f16_e32 v120, v128
	v_cvt_f32_f16_sdwa v123, v122 dst_sel:DWORD dst_unused:UNUSED_PAD src0_sel:WORD_1
	v_cvt_f32_f16_sdwa v122, v128 dst_sel:DWORD dst_unused:UNUSED_PAD src0_sel:WORD_1
	v_cvt_f32_i32_e32 v78, v124
	v_cvt_f32_i32_e32 v81, v127
	;; [unrolled: 1-line block ×4, first 2 shown]
	s_add_i32 s2, s2, 4
	v_add_u32_e32 v77, 4, v77
	v_pk_fma_f32 v[78:79], v[86:87], v[78:79], v[118:119]
	v_pk_fma_f32 v[80:81], v[120:121], v[80:81], v[122:123]
	v_add_u32_e32 v76, 4, v76
	v_add_u32_e32 v75, 4, v75
	;; [unrolled: 1-line block ×6, first 2 shown]
	s_cmp_lt_u32 s2, 28
	v_pk_add_f32 v[6:7], v[6:7], v[80:81]
	v_pk_add_f32 v[4:5], v[4:5], v[78:79]
	s_cbranch_scc1 .LBB223_19
; %bb.20:                               ;   in Loop: Header=BB223_5 Depth=1
	s_barrier
	s_branch .LBB223_4
.LBB223_21:
	v_mov_b32_e32 v4, v3
	v_mov_b32_e32 v5, v3
	;; [unrolled: 1-line block ×3, first 2 shown]
	v_mov_b64_e32 v[6:7], v[4:5]
	v_mov_b64_e32 v[4:5], v[2:3]
.LBB223_22:
	s_mul_i32 s0, s7, s4
	s_waitcnt vmcnt(0)
	v_cmp_gt_i32_e32 vcc, s0, v1
	s_and_saveexec_b64 s[0:1], vcc
	s_cbranch_execz .LBB223_31
; %bb.23:
	v_and_b32_e32 v0, 0x3ff, v0
	v_add_u32_e32 v2, s18, v0
	v_mul_lo_u32 v0, v1, s6
	v_cmp_gt_u32_e32 vcc, s6, v2
	s_and_saveexec_b64 s[0:1], vcc
	s_cbranch_execz .LBB223_25
; %bb.24:
	v_bfe_u32 v1, v4, 16, 1
	s_movk_i32 s2, 0x7fff
	v_add3_u32 v1, v4, v1, s2
	v_cmp_o_f32_e32 vcc, v4, v4
	v_mov_b32_e32 v3, 0x7fc0
	v_add_u32_e32 v8, v0, v2
	v_mov_b32_e32 v9, 0
	v_cndmask_b32_sdwa v1, v3, v1, vcc dst_sel:DWORD dst_unused:UNUSED_PAD src0_sel:DWORD src1_sel:WORD_1
	v_lshl_add_u64 v[8:9], v[8:9], 1, s[12:13]
	global_store_short v[8:9], v1, off
.LBB223_25:
	s_or_b64 exec, exec, s[0:1]
	v_add_u32_e32 v1, 32, v2
	v_cmp_gt_u32_e32 vcc, s6, v1
	s_and_saveexec_b64 s[0:1], vcc
	s_cbranch_execz .LBB223_27
; %bb.26:
	v_bfe_u32 v3, v5, 16, 1
	s_movk_i32 s2, 0x7fff
	v_add3_u32 v3, v5, v3, s2
	v_cmp_o_f32_e32 vcc, v5, v5
	v_mov_b32_e32 v4, 0x7fc0
	v_mov_b32_e32 v5, 0
	v_cndmask_b32_sdwa v3, v4, v3, vcc dst_sel:DWORD dst_unused:UNUSED_PAD src0_sel:DWORD src1_sel:WORD_1
	v_add_u32_e32 v4, v0, v1
	v_lshl_add_u64 v[4:5], v[4:5], 1, s[12:13]
	global_store_short v[4:5], v3, off
.LBB223_27:
	s_or_b64 exec, exec, s[0:1]
	v_add_u32_e32 v1, 64, v2
	v_cmp_gt_u32_e32 vcc, s6, v1
	s_and_saveexec_b64 s[0:1], vcc
	s_cbranch_execz .LBB223_29
; %bb.28:
	v_bfe_u32 v3, v6, 16, 1
	s_movk_i32 s2, 0x7fff
	v_add3_u32 v3, v6, v3, s2
	v_cmp_o_f32_e32 vcc, v6, v6
	v_mov_b32_e32 v4, 0x7fc0
	v_mov_b32_e32 v5, 0
	v_cndmask_b32_sdwa v3, v4, v3, vcc dst_sel:DWORD dst_unused:UNUSED_PAD src0_sel:DWORD src1_sel:WORD_1
	v_add_u32_e32 v4, v0, v1
	v_lshl_add_u64 v[4:5], v[4:5], 1, s[12:13]
	global_store_short v[4:5], v3, off
.LBB223_29:
	s_or_b64 exec, exec, s[0:1]
	v_add_u32_e32 v1, 0x60, v2
	v_cmp_gt_u32_e32 vcc, s6, v1
	s_and_b64 exec, exec, vcc
	s_cbranch_execz .LBB223_31
; %bb.30:
	v_bfe_u32 v2, v7, 16, 1
	s_movk_i32 s0, 0x7fff
	v_add3_u32 v2, v7, v2, s0
	v_cmp_o_f32_e32 vcc, v7, v7
	v_mov_b32_e32 v3, 0x7fc0
	v_add_u32_e32 v0, v0, v1
	v_mov_b32_e32 v1, 0
	v_cndmask_b32_sdwa v2, v3, v2, vcc dst_sel:DWORD dst_unused:UNUSED_PAD src0_sel:DWORD src1_sel:WORD_1
	v_lshl_add_u64 v[0:1], v[0:1], 1, s[12:13]
	global_store_short v[0:1], v2, off
.LBB223_31:
	s_endpgm
	.section	.rodata,"a",@progbits
	.p2align	6, 0x0
	.amdhsa_kernel _ZL8moe_q5_1IN3c108BFloat16ELb0EEvPKvS3_PT_PKiS7_S7_iiiiiii
		.amdhsa_group_segment_fixed_size 38656
		.amdhsa_private_segment_fixed_size 0
		.amdhsa_kernarg_size 76
		.amdhsa_user_sgpr_count 2
		.amdhsa_user_sgpr_dispatch_ptr 0
		.amdhsa_user_sgpr_queue_ptr 0
		.amdhsa_user_sgpr_kernarg_segment_ptr 1
		.amdhsa_user_sgpr_dispatch_id 0
		.amdhsa_user_sgpr_kernarg_preload_length 0
		.amdhsa_user_sgpr_kernarg_preload_offset 0
		.amdhsa_user_sgpr_private_segment_size 0
		.amdhsa_uses_dynamic_stack 0
		.amdhsa_enable_private_segment 0
		.amdhsa_system_sgpr_workgroup_id_x 1
		.amdhsa_system_sgpr_workgroup_id_y 1
		.amdhsa_system_sgpr_workgroup_id_z 0
		.amdhsa_system_sgpr_workgroup_info 0
		.amdhsa_system_vgpr_workitem_id 1
		.amdhsa_next_free_vgpr 129
		.amdhsa_next_free_sgpr 96
		.amdhsa_accum_offset 132
		.amdhsa_reserve_vcc 1
		.amdhsa_float_round_mode_32 0
		.amdhsa_float_round_mode_16_64 0
		.amdhsa_float_denorm_mode_32 3
		.amdhsa_float_denorm_mode_16_64 3
		.amdhsa_dx10_clamp 1
		.amdhsa_ieee_mode 1
		.amdhsa_fp16_overflow 0
		.amdhsa_tg_split 0
		.amdhsa_exception_fp_ieee_invalid_op 0
		.amdhsa_exception_fp_denorm_src 0
		.amdhsa_exception_fp_ieee_div_zero 0
		.amdhsa_exception_fp_ieee_overflow 0
		.amdhsa_exception_fp_ieee_underflow 0
		.amdhsa_exception_fp_ieee_inexact 0
		.amdhsa_exception_int_div_zero 0
	.end_amdhsa_kernel
	.section	.text._ZL8moe_q5_1IN3c108BFloat16ELb0EEvPKvS3_PT_PKiS7_S7_iiiiiii,"axG",@progbits,_ZL8moe_q5_1IN3c108BFloat16ELb0EEvPKvS3_PT_PKiS7_S7_iiiiiii,comdat
.Lfunc_end223:
	.size	_ZL8moe_q5_1IN3c108BFloat16ELb0EEvPKvS3_PT_PKiS7_S7_iiiiiii, .Lfunc_end223-_ZL8moe_q5_1IN3c108BFloat16ELb0EEvPKvS3_PT_PKiS7_S7_iiiiiii
                                        ; -- End function
	.set _ZL8moe_q5_1IN3c108BFloat16ELb0EEvPKvS3_PT_PKiS7_S7_iiiiiii.num_vgpr, 129
	.set _ZL8moe_q5_1IN3c108BFloat16ELb0EEvPKvS3_PT_PKiS7_S7_iiiiiii.num_agpr, 0
	.set _ZL8moe_q5_1IN3c108BFloat16ELb0EEvPKvS3_PT_PKiS7_S7_iiiiiii.numbered_sgpr, 24
	.set _ZL8moe_q5_1IN3c108BFloat16ELb0EEvPKvS3_PT_PKiS7_S7_iiiiiii.num_named_barrier, 0
	.set _ZL8moe_q5_1IN3c108BFloat16ELb0EEvPKvS3_PT_PKiS7_S7_iiiiiii.private_seg_size, 0
	.set _ZL8moe_q5_1IN3c108BFloat16ELb0EEvPKvS3_PT_PKiS7_S7_iiiiiii.uses_vcc, 1
	.set _ZL8moe_q5_1IN3c108BFloat16ELb0EEvPKvS3_PT_PKiS7_S7_iiiiiii.uses_flat_scratch, 0
	.set _ZL8moe_q5_1IN3c108BFloat16ELb0EEvPKvS3_PT_PKiS7_S7_iiiiiii.has_dyn_sized_stack, 0
	.set _ZL8moe_q5_1IN3c108BFloat16ELb0EEvPKvS3_PT_PKiS7_S7_iiiiiii.has_recursion, 0
	.set _ZL8moe_q5_1IN3c108BFloat16ELb0EEvPKvS3_PT_PKiS7_S7_iiiiiii.has_indirect_call, 0
	.section	.AMDGPU.csdata,"",@progbits
; Kernel info:
; codeLenInByte = 6272
; TotalNumSgprs: 30
; NumVgprs: 129
; NumAgprs: 0
; TotalNumVgprs: 129
; ScratchSize: 0
; MemoryBound: 0
; FloatMode: 240
; IeeeMode: 1
; LDSByteSize: 38656 bytes/workgroup (compile time only)
; SGPRBlocks: 12
; VGPRBlocks: 16
; NumSGPRsForWavesPerEU: 102
; NumVGPRsForWavesPerEU: 129
; AccumOffset: 132
; Occupancy: 3
; WaveLimiterHint : 1
; COMPUTE_PGM_RSRC2:SCRATCH_EN: 0
; COMPUTE_PGM_RSRC2:USER_SGPR: 2
; COMPUTE_PGM_RSRC2:TRAP_HANDLER: 0
; COMPUTE_PGM_RSRC2:TGID_X_EN: 1
; COMPUTE_PGM_RSRC2:TGID_Y_EN: 1
; COMPUTE_PGM_RSRC2:TGID_Z_EN: 0
; COMPUTE_PGM_RSRC2:TIDIG_COMP_CNT: 1
; COMPUTE_PGM_RSRC3_GFX90A:ACCUM_OFFSET: 32
; COMPUTE_PGM_RSRC3_GFX90A:TG_SPLIT: 0
	.section	.text._ZL8moe_q5_1IN3c108BFloat16ELb1EEvPKvS3_PT_PKiS7_S7_iiiiiii,"axG",@progbits,_ZL8moe_q5_1IN3c108BFloat16ELb1EEvPKvS3_PT_PKiS7_S7_iiiiiii,comdat
	.globl	_ZL8moe_q5_1IN3c108BFloat16ELb1EEvPKvS3_PT_PKiS7_S7_iiiiiii ; -- Begin function _ZL8moe_q5_1IN3c108BFloat16ELb1EEvPKvS3_PT_PKiS7_S7_iiiiiii
	.p2align	8
	.type	_ZL8moe_q5_1IN3c108BFloat16ELb1EEvPKvS3_PT_PKiS7_S7_iiiiiii,@function
_ZL8moe_q5_1IN3c108BFloat16ELb1EEvPKvS3_PT_PKiS7_S7_iiiiiii: ; @_ZL8moe_q5_1IN3c108BFloat16ELb1EEvPKvS3_PT_PKiS7_S7_iiiiiii
; %bb.0:
	s_load_dwordx4 s[4:7], s[0:1], 0x18
	s_mov_b32 s8, s3
	s_mov_b32 s9, 0
	s_lshl_b64 s[10:11], s[8:9], 2
	s_waitcnt lgkmcnt(0)
	s_add_u32 s6, s6, s10
	s_addc_u32 s7, s7, s11
	s_load_dword s3, s[6:7], 0x0
	s_waitcnt lgkmcnt(0)
	s_cmpk_gt_u32 s3, 0xff
	s_cbranch_scc1 .LBB224_31
; %bb.1:
	s_load_dwordx2 s[6:7], s[0:1], 0x28
	s_waitcnt lgkmcnt(0)
	s_load_dword s7, s[6:7], 0x0
	s_lshl_b32 s6, s8, 3
	s_waitcnt lgkmcnt(0)
	s_cmp_gt_u32 s6, s7
	s_cbranch_scc1 .LBB224_31
; %bb.2:
	v_bfe_u32 v4, v0, 10, 10
	v_mov_b32_e32 v6, s4
	v_mov_b32_e32 v7, s5
	v_add_u32_e32 v2, s6, v4
	v_mov_b32_e32 v3, 0
	v_lshl_add_u64 v[6:7], v[2:3], 2, v[6:7]
	global_load_dword v1, v[6:7], off
	s_load_dwordx8 s[4:11], s[0:1], 0x30
	s_load_dwordx2 s[16:17], s[0:1], 0x10
	s_waitcnt lgkmcnt(0)
	s_lshl_b32 s11, s2, 7
	s_mov_b32 s20, 0
	s_cmp_lt_i32 s5, 32
	s_cbranch_scc1 .LBB224_21
; %bb.3:
	s_load_dwordx4 s[12:15], s[0:1], 0x0
	s_ashr_i32 s0, s5, 31
	s_lshr_b32 s0, s0, 27
	s_add_i32 s0, s5, s0
	s_ashr_i32 s21, s0, 5
	s_ashr_i32 s0, s8, 31
	s_lshr_b32 s0, s0, 27
	s_add_i32 s0, s8, s0
	s_mul_i32 s3, s3, s4
	s_ashr_i32 s8, s0, 5
	s_ashr_i32 s0, s3, 31
	s_waitcnt lgkmcnt(0)
	s_add_u32 s1, s12, s3
	s_mul_i32 s2, s21, s11
	s_addc_u32 s0, s13, s0
	s_mul_hi_i32 s3, s2, 24
	s_mul_i32 s2, s2, 24
	s_add_u32 s4, s1, s2
	s_addc_u32 s22, s0, s3
	s_not_b32 s0, s11
	s_add_i32 s2, s6, s0
	v_and_b32_e32 v9, 0x3ff, v0
	v_min_i32_e32 v7, s2, v4
	v_lshlrev_b32_e32 v6, 3, v9
	s_movk_i32 s3, 0x104
	v_mul_lo_u32 v10, v7, s21
	v_mad_u64_u32 v[12:13], s[0:1], v7, s3, v[6:7]
	v_add_u32_e32 v7, 8, v4
	v_min_i32_e32 v7, s2, v7
	v_mul_lo_u32 v14, v7, s21
	v_mad_u64_u32 v[16:17], s[0:1], v7, s3, v[6:7]
	v_add_u32_e32 v7, 16, v4
	v_min_i32_e32 v7, s2, v7
	;; [unrolled: 4-line block ×15, first 2 shown]
	v_bfe_u32 v11, v0, 3, 7
	v_mad_u64_u32 v[72:73], s[0:1], v7, s3, v[6:7]
	v_lshl_add_u32 v6, v4, 2, v11
	v_mul_lo_u32 v70, v7, s21
	v_min_i32_e32 v7, s2, v6
	v_ashrrev_i32_e32 v13, 31, v7
	v_lshrrev_b32_e32 v13, 30, v13
	v_and_b32_e32 v74, 7, v0
	v_mul_lo_u32 v76, v7, s21
	v_add_u32_e32 v13, v7, v13
	v_lshlrev_b32_e32 v45, 5, v7
	v_add_u32_e32 v7, 32, v6
	v_and_b32_e32 v13, -4, v13
	v_lshlrev_b32_e32 v15, 2, v74
	s_mov_b32 s0, 0x8200
	v_min_i32_e32 v7, s2, v7
	v_add3_u32 v43, v13, v15, s0
	v_ashrrev_i32_e32 v13, 31, v7
	v_lshrrev_b32_e32 v13, 30, v13
	v_mul_lo_u32 v78, v7, s21
	v_add_u32_e32 v13, v7, v13
	v_lshlrev_b32_e32 v49, 5, v7
	v_add_u32_e32 v7, 64, v6
	v_and_b32_e32 v13, -4, v13
	v_min_i32_e32 v7, s2, v7
	v_add3_u32 v47, v13, v15, s0
	v_ashrrev_i32_e32 v13, 31, v7
	v_add_u32_e32 v6, 0x60, v6
	v_lshrrev_b32_e32 v13, 30, v13
	v_min_i32_e32 v6, s2, v6
	v_mul_lo_u32 v80, v7, s21
	v_add_u32_e32 v13, v7, v13
	v_lshlrev_b32_e32 v53, 5, v7
	v_ashrrev_i32_e32 v7, 31, v6
	v_mov_b32_e32 v17, 0x9680
	v_lshlrev_b32_e32 v5, 2, v9
	v_lshrrev_b32_e32 v7, 30, v7
	v_lshl_add_u32 v17, v4, 4, v17
	s_abs_i32 s2, s10
	v_and_b32_e32 v2, 12, v5
	v_mul_lo_u32 v82, v6, s21
	v_add_u32_e32 v7, v6, v7
	v_lshlrev_b32_e32 v57, 5, v6
	v_and_b32_e32 v6, 28, v5
	v_add_u32_e32 v19, v17, v5
	v_cvt_f32_u32_e32 v5, s2
	v_and_b32_e32 v13, -4, v13
	v_and_b32_e32 v7, -4, v7
	v_add3_u32 v51, v13, v15, s0
	v_rcp_iflag_f32_e32 v5, v5
	v_add3_u32 v55, v7, v15, s0
	s_sub_i32 s0, 0, s2
	s_waitcnt vmcnt(0)
	v_sub_u32_e32 v31, 0, v1
	v_mul_f32_e32 v5, 0x4f7ffffe, v5
	v_cvt_u32_f32_e32 v5, v5
	v_max_i32_e32 v31, v1, v31
	v_xor_b32_e32 v29, s10, v1
	v_ashrrev_i32_e32 v29, 31, v29
	v_mul_lo_u32 v33, s0, v5
	v_mul_hi_u32 v33, v5, v33
	v_add_u32_e32 v5, v5, v33
	v_mul_hi_u32 v5, v31, v5
	v_mul_lo_u32 v33, v5, s2
	v_sub_u32_e32 v31, v31, v33
	v_add_u32_e32 v33, 1, v5
	v_cmp_le_u32_e64 s[0:1], s2, v31
	v_mov_b32_e32 v13, 0x9280
	v_lshl_add_u32 v13, v4, 7, v13
	v_cndmask_b32_e64 v5, v5, v33, s[0:1]
	v_subrev_u32_e32 v33, s2, v31
	v_cndmask_b32_e64 v31, v31, v33, s[0:1]
	v_add_u32_e32 v33, 1, v5
	v_cmp_le_u32_e64 s[0:1], s2, v31
	v_add_u32_e32 v4, 32, v9
	v_mov_b32_e32 v7, v3
	v_cndmask_b32_e64 v5, v5, v33, s[0:1]
	v_xor_b32_e32 v5, v5, v29
	v_sub_u32_e32 v5, v5, v29
	v_add_u32_e32 v27, 64, v9
	v_add_u32_e32 v25, 0x60, v9
	v_lshrrev_b32_e32 v23, 3, v4
	v_cmp_gt_i32_e64 s[0:1], s7, v5
	v_mul_lo_u32 v84, v5, s8
	v_lshlrev_b32_e32 v5, 5, v9
	v_and_b32_e32 v4, 0x1fc, v4
	v_lshl_add_u64 v[86:87], s[14:15], 0, v[6:7]
	v_and_b32_e32 v6, 0x1fc, v25
	v_and_b32_e32 v7, 0x1fc, v27
	v_add_u32_e32 v4, v5, v4
	v_and_b32_e32 v31, 0xfc, v0
	v_and_b32_e32 v15, 31, v0
	v_cmp_gt_u32_e32 vcc, 4, v9
	v_add_u32_e32 v6, v5, v6
	v_add_u32_e32 v7, v5, v7
	;; [unrolled: 1-line block ×5, first 2 shown]
	v_mov_b32_e32 v4, 0x80
	v_bfe_u32 v8, v0, 2, 8
	v_lshl_or_b32 v15, v15, 2, v13
	v_mul_u32_u24_e32 v21, 0x104, v9
	s_and_b64 s[12:13], vcc, s[0:1]
	v_ashrrev_i32_e32 v85, 31, v84
	v_add_u32_e32 v25, 0x8e00, v6
	v_add_u32_e32 v27, 0x8a00, v7
	;; [unrolled: 1-line block ×6, first 2 shown]
	v_mad_u32_u24 v41, v9, s3, v4
	v_mov_b32_e32 v4, v3
	v_mov_b32_e32 v5, v3
	;; [unrolled: 1-line block ×4, first 2 shown]
	v_add_u32_e32 v43, v43, v45
	v_add_u32_e32 v45, v47, v49
	;; [unrolled: 1-line block ×4, first 2 shown]
	s_branch .LBB224_5
.LBB224_4:                              ;   in Loop: Header=BB224_5 Depth=1
	s_add_i32 s20, s20, 8
	s_cmp_ge_i32 s20, s21
	s_cbranch_scc1 .LBB224_22
.LBB224_5:                              ; =>This Loop Header: Depth=1
                                        ;     Child Loop BB224_11 Depth 2
                                        ;     Child Loop BB224_19 Depth 2
	s_mul_i32 s2, s20, 24
	s_mul_hi_u32 s3, s20, 24
	s_add_u32 s2, s4, s2
	s_addc_u32 s3, s22, s3
	v_mad_u64_u32 v[88:89], s[18:19], v8, 24, s[2:3]
	v_mad_i64_i32 v[90:91], s[18:19], v10, 24, v[88:89]
	v_mad_i64_i32 v[98:99], s[18:19], v22, 24, v[88:89]
	v_lshl_add_u64 v[92:93], v[90:91], 0, v[2:3]
	v_mad_i64_i32 v[94:95], s[18:19], v14, 24, v[88:89]
	v_mad_i64_i32 v[96:97], s[18:19], v18, 24, v[88:89]
	global_load_dword v51, v[98:99], off offset:4
	global_load_dword v53, v[96:97], off offset:4
	;; [unrolled: 1-line block ×5, first 2 shown]
	v_lshl_add_u64 v[90:91], v[94:95], 0, v[2:3]
	global_load_dword v61, v[90:91], off offset:8
	v_lshl_add_u64 v[90:91], v[96:97], 0, v[2:3]
	v_lshl_add_u64 v[92:93], v[98:99], 0, v[2:3]
	global_load_dword v63, v[90:91], off offset:8
	global_load_dword v65, v[92:93], off offset:8
	v_mad_i64_i32 v[90:91], s[18:19], v26, 24, v[88:89]
	v_mad_i64_i32 v[92:93], s[18:19], v30, 24, v[88:89]
	;; [unrolled: 1-line block ×4, first 2 shown]
	v_lshl_add_u64 v[98:99], v[90:91], 0, v[2:3]
	v_lshl_add_u64 v[100:101], v[92:93], 0, v[2:3]
	;; [unrolled: 1-line block ×4, first 2 shown]
	global_load_dword v67, v[98:99], off offset:8
	global_load_dword v69, v[100:101], off offset:8
	;; [unrolled: 1-line block ×8, first 2 shown]
	s_lshl_b32 s6, s20, 5
	s_cmp_lt_i32 s6, s5
	s_waitcnt vmcnt(15)
	v_ashrrev_i32_e32 v51, v2, v51
	s_waitcnt vmcnt(14)
	v_ashrrev_i32_e32 v53, v2, v53
	;; [unrolled: 2-line block ×4, first 2 shown]
	s_waitcnt vmcnt(11)
	v_lshrrev_b32_e32 v83, 4, v59
	v_lshlrev_b32_e32 v91, 4, v57
	v_lshrrev_b32_e32 v93, 12, v57
	v_and_b32_e32 v59, 0xf0f0f0f, v59
	v_lshlrev_b32_e32 v92, 11, v57
	v_lshrrev_b32_e32 v94, 5, v57
	v_and_b32_e32 v83, 0xf0f0f0f, v83
	v_and_b32_e32 v93, 16, v93
	;; [unrolled: 1-line block ×3, first 2 shown]
	v_lshlrev_b32_e32 v95, 2, v57
	v_lshlrev_b32_e32 v96, 18, v57
	v_and_b32_e32 v94, 0x1000, v94
	v_and_b32_e32 v92, 0x1000, v92
	v_or_b32_e32 v83, v93, v83
	v_or_b32_e32 v59, v91, v59
	v_lshlrev_b32_e32 v97, 9, v57
	v_lshlrev_b32_e32 v57, 25, v57
	;; [unrolled: 1-line block ×3, first 2 shown]
	v_and_b32_e32 v95, 0x100000, v95
	v_and_b32_e32 v96, 0x100000, v96
	v_or_b32_e32 v83, v83, v94
	v_or_b32_e32 v59, v59, v92
	s_waitcnt vmcnt(10)
	v_lshrrev_b32_e32 v90, 4, v61
	v_and_b32_e32 v61, 0xf0f0f0f, v61
	v_lshlrev_b32_e32 v99, 11, v55
	v_lshrrev_b32_e32 v100, 12, v55
	v_and_b32_e32 v97, 0x10000000, v97
	v_and_b32_e32 v57, 0x10000000, v57
	;; [unrolled: 1-line block ×3, first 2 shown]
	v_or_b32_e32 v83, v83, v95
	v_or_b32_e32 v59, v59, v96
	v_lshrrev_b32_e32 v101, 5, v55
	v_and_b32_e32 v90, 0xf0f0f0f, v90
	v_lshlrev_b32_e32 v103, 18, v55
	v_and_b32_e32 v100, 16, v100
	v_and_b32_e32 v99, 0x1000, v99
	v_or_b32_e32 v61, v98, v61
	v_or_b32_e32 v83, v83, v97
	;; [unrolled: 1-line block ×3, first 2 shown]
	v_lshlrev_b32_e32 v102, 2, v55
	v_and_b32_e32 v101, 0x1000, v101
	v_or_b32_e32 v90, v100, v90
	v_or_b32_e32 v61, v61, v99
	ds_write2_b32 v12, v57, v83 offset1:1
	v_and_b32_e32 v57, 0x100000, v103
	v_and_b32_e32 v102, 0x100000, v102
	v_or_b32_e32 v90, v90, v101
	v_or_b32_e32 v57, v61, v57
	v_lshlrev_b32_e32 v61, 9, v55
	v_lshlrev_b32_e32 v55, 25, v55
	v_or_b32_e32 v59, v90, v102
	v_and_b32_e32 v61, 0x10000000, v61
	v_and_b32_e32 v55, 0x10000000, v55
	v_or_b32_e32 v59, v59, v61
	v_or_b32_e32 v55, v57, v55
	ds_write2_b32 v16, v55, v59 offset1:1
	v_lshlrev_b32_e32 v55, 4, v53
	v_lshlrev_b32_e32 v57, 11, v53
	s_waitcnt vmcnt(9)
	v_lshrrev_b32_e32 v59, 4, v63
	v_lshrrev_b32_e32 v61, 12, v53
	v_and_b32_e32 v63, 0xf0f0f0f, v63
	v_and_b32_e32 v55, 16, v55
	v_lshrrev_b32_e32 v83, 5, v53
	v_and_b32_e32 v59, 0xf0f0f0f, v59
	v_and_b32_e32 v61, 16, v61
	v_or_b32_e32 v55, v55, v63
	v_and_b32_e32 v57, 0x1000, v57
	v_or_b32_e32 v59, v61, v59
	;; [unrolled: 2-line block ×3, first 2 shown]
	v_lshlrev_b32_e32 v57, 2, v53
	v_or_b32_e32 v59, v59, v61
	v_lshlrev_b32_e32 v61, 18, v53
	v_and_b32_e32 v57, 0x100000, v57
	v_and_b32_e32 v61, 0x100000, v61
	v_or_b32_e32 v57, v59, v57
	v_lshlrev_b32_e32 v59, 9, v53
	v_lshlrev_b32_e32 v53, 25, v53
	v_or_b32_e32 v55, v55, v61
	v_and_b32_e32 v59, 0x10000000, v59
	v_and_b32_e32 v53, 0x10000000, v53
	v_or_b32_e32 v57, v57, v59
	v_or_b32_e32 v53, v55, v53
	ds_write2_b32 v20, v53, v57 offset1:1
	v_lshlrev_b32_e32 v53, 4, v51
	v_lshlrev_b32_e32 v55, 11, v51
	s_waitcnt vmcnt(8)
	v_lshrrev_b32_e32 v57, 4, v65
	v_lshrrev_b32_e32 v59, 12, v51
	v_and_b32_e32 v63, 0xf0f0f0f, v65
	v_and_b32_e32 v53, 16, v53
	v_lshrrev_b32_e32 v61, 5, v51
	v_and_b32_e32 v57, 0xf0f0f0f, v57
	v_and_b32_e32 v59, 16, v59
	v_or_b32_e32 v53, v53, v63
	v_and_b32_e32 v55, 0x1000, v55
	v_or_b32_e32 v57, v59, v57
	;; [unrolled: 2-line block ×3, first 2 shown]
	v_lshlrev_b32_e32 v55, 2, v51
	v_or_b32_e32 v57, v57, v59
	v_lshlrev_b32_e32 v59, 18, v51
	v_and_b32_e32 v55, 0x100000, v55
	v_and_b32_e32 v59, 0x100000, v59
	v_or_b32_e32 v55, v57, v55
	v_lshlrev_b32_e32 v57, 9, v51
	v_lshlrev_b32_e32 v51, 25, v51
	v_or_b32_e32 v53, v53, v59
	v_and_b32_e32 v57, 0x10000000, v57
	v_and_b32_e32 v51, 0x10000000, v51
	v_or_b32_e32 v55, v55, v57
	v_or_b32_e32 v51, v53, v51
	ds_write2_b32 v24, v51, v55 offset1:1
	s_waitcnt vmcnt(0)
	v_ashrrev_i32_e32 v51, v2, v81
	v_lshlrev_b32_e32 v53, 4, v51
	v_lshlrev_b32_e32 v55, 11, v51
	v_lshrrev_b32_e32 v57, 4, v67
	v_lshrrev_b32_e32 v59, 12, v51
	v_and_b32_e32 v63, 0xf0f0f0f, v67
	v_and_b32_e32 v53, 16, v53
	v_lshrrev_b32_e32 v61, 5, v51
	v_and_b32_e32 v57, 0xf0f0f0f, v57
	v_and_b32_e32 v59, 16, v59
	v_or_b32_e32 v53, v53, v63
	v_and_b32_e32 v55, 0x1000, v55
	v_or_b32_e32 v57, v59, v57
	;; [unrolled: 2-line block ×3, first 2 shown]
	v_lshlrev_b32_e32 v55, 2, v51
	v_or_b32_e32 v57, v57, v59
	v_lshlrev_b32_e32 v59, 18, v51
	v_and_b32_e32 v55, 0x100000, v55
	v_and_b32_e32 v59, 0x100000, v59
	v_or_b32_e32 v55, v57, v55
	v_lshlrev_b32_e32 v57, 9, v51
	v_lshlrev_b32_e32 v51, 25, v51
	v_or_b32_e32 v53, v53, v59
	v_and_b32_e32 v57, 0x10000000, v57
	v_and_b32_e32 v51, 0x10000000, v51
	v_or_b32_e32 v55, v55, v57
	v_or_b32_e32 v51, v53, v51
	v_mad_i64_i32 v[90:91], s[18:19], v42, 24, v[88:89]
	ds_write2_b32 v28, v51, v55 offset1:1
	v_lshl_add_u64 v[92:93], v[90:91], 0, v[2:3]
	v_mad_i64_i32 v[94:95], s[18:19], v46, 24, v[88:89]
	v_mad_i64_i32 v[98:99], s[18:19], v50, 24, v[88:89]
	;; [unrolled: 1-line block ×3, first 2 shown]
	v_ashrrev_i32_e32 v51, v2, v79
	v_lshrrev_b32_e32 v57, 4, v69
	v_and_b32_e32 v63, 0xf0f0f0f, v69
	v_lshl_add_u64 v[96:97], v[94:95], 0, v[2:3]
	v_lshl_add_u64 v[100:101], v[98:99], 0, v[2:3]
	;; [unrolled: 1-line block ×3, first 2 shown]
	global_load_dword v65, v[92:93], off offset:8
	global_load_dword v67, v[96:97], off offset:8
	;; [unrolled: 1-line block ×8, first 2 shown]
	v_lshlrev_b32_e32 v53, 4, v51
	v_lshlrev_b32_e32 v55, 11, v51
	v_lshrrev_b32_e32 v59, 12, v51
	v_and_b32_e32 v53, 16, v53
	v_lshrrev_b32_e32 v61, 5, v51
	v_and_b32_e32 v57, 0xf0f0f0f, v57
	v_and_b32_e32 v59, 16, v59
	v_or_b32_e32 v53, v53, v63
	v_and_b32_e32 v55, 0x1000, v55
	v_or_b32_e32 v57, v59, v57
	v_and_b32_e32 v59, 0x1000, v61
	v_or_b32_e32 v53, v53, v55
	v_lshlrev_b32_e32 v55, 2, v51
	v_or_b32_e32 v57, v57, v59
	v_lshlrev_b32_e32 v59, 18, v51
	v_and_b32_e32 v55, 0x100000, v55
	v_and_b32_e32 v59, 0x100000, v59
	v_or_b32_e32 v55, v57, v55
	v_lshlrev_b32_e32 v57, 9, v51
	v_lshlrev_b32_e32 v51, 25, v51
	v_or_b32_e32 v53, v53, v59
	v_and_b32_e32 v57, 0x10000000, v57
	v_and_b32_e32 v51, 0x10000000, v51
	v_or_b32_e32 v55, v55, v57
	v_or_b32_e32 v51, v53, v51
	ds_write2_b32 v32, v51, v55 offset1:1
	v_ashrrev_i32_e32 v51, v2, v77
	v_lshlrev_b32_e32 v53, 4, v51
	v_lshlrev_b32_e32 v55, 11, v51
	v_lshrrev_b32_e32 v57, 4, v71
	v_lshrrev_b32_e32 v59, 12, v51
	v_and_b32_e32 v63, 0xf0f0f0f, v71
	v_and_b32_e32 v53, 16, v53
	v_lshrrev_b32_e32 v61, 5, v51
	v_and_b32_e32 v57, 0xf0f0f0f, v57
	v_and_b32_e32 v59, 16, v59
	v_or_b32_e32 v53, v53, v63
	v_and_b32_e32 v55, 0x1000, v55
	v_or_b32_e32 v57, v59, v57
	v_and_b32_e32 v59, 0x1000, v61
	v_or_b32_e32 v53, v53, v55
	v_lshlrev_b32_e32 v55, 2, v51
	v_or_b32_e32 v57, v57, v59
	v_lshlrev_b32_e32 v59, 18, v51
	v_and_b32_e32 v55, 0x100000, v55
	v_and_b32_e32 v59, 0x100000, v59
	v_or_b32_e32 v55, v57, v55
	v_lshlrev_b32_e32 v57, 9, v51
	v_lshlrev_b32_e32 v51, 25, v51
	v_or_b32_e32 v53, v53, v59
	v_and_b32_e32 v57, 0x10000000, v57
	v_and_b32_e32 v51, 0x10000000, v51
	v_or_b32_e32 v55, v55, v57
	v_or_b32_e32 v51, v53, v51
	ds_write2_b32 v36, v51, v55 offset1:1
	v_ashrrev_i32_e32 v51, v2, v75
	v_lshlrev_b32_e32 v53, 4, v51
	v_lshlrev_b32_e32 v55, 11, v51
	v_lshrrev_b32_e32 v57, 4, v73
	v_lshrrev_b32_e32 v59, 12, v51
	v_and_b32_e32 v63, 0xf0f0f0f, v73
	v_and_b32_e32 v53, 16, v53
	v_lshrrev_b32_e32 v61, 5, v51
	v_and_b32_e32 v57, 0xf0f0f0f, v57
	v_and_b32_e32 v59, 16, v59
	v_or_b32_e32 v53, v53, v63
	v_and_b32_e32 v55, 0x1000, v55
	v_or_b32_e32 v57, v59, v57
	;; [unrolled: 2-line block ×3, first 2 shown]
	v_lshlrev_b32_e32 v55, 2, v51
	v_or_b32_e32 v57, v57, v59
	v_lshlrev_b32_e32 v59, 18, v51
	v_and_b32_e32 v55, 0x100000, v55
	v_and_b32_e32 v59, 0x100000, v59
	v_or_b32_e32 v55, v57, v55
	v_lshlrev_b32_e32 v57, 9, v51
	v_lshlrev_b32_e32 v51, 25, v51
	v_or_b32_e32 v53, v53, v59
	v_and_b32_e32 v57, 0x10000000, v57
	v_and_b32_e32 v51, 0x10000000, v51
	v_or_b32_e32 v55, v55, v57
	v_or_b32_e32 v51, v53, v51
	ds_write2_b32 v40, v51, v55 offset1:1
	s_waitcnt vmcnt(0)
	v_ashrrev_i32_e32 v51, v2, v107
	v_lshlrev_b32_e32 v53, 4, v51
	v_lshlrev_b32_e32 v55, 11, v51
	v_lshrrev_b32_e32 v57, 4, v65
	v_lshrrev_b32_e32 v59, 12, v51
	v_and_b32_e32 v63, 0xf0f0f0f, v65
	v_and_b32_e32 v53, 16, v53
	v_lshrrev_b32_e32 v61, 5, v51
	v_and_b32_e32 v57, 0xf0f0f0f, v57
	v_and_b32_e32 v59, 16, v59
	v_or_b32_e32 v53, v53, v63
	v_and_b32_e32 v55, 0x1000, v55
	v_or_b32_e32 v57, v59, v57
	;; [unrolled: 2-line block ×3, first 2 shown]
	v_lshlrev_b32_e32 v55, 2, v51
	v_or_b32_e32 v57, v57, v59
	v_lshlrev_b32_e32 v59, 18, v51
	v_and_b32_e32 v55, 0x100000, v55
	v_and_b32_e32 v59, 0x100000, v59
	v_or_b32_e32 v55, v57, v55
	v_lshlrev_b32_e32 v57, 9, v51
	v_lshlrev_b32_e32 v51, 25, v51
	v_or_b32_e32 v53, v53, v59
	v_and_b32_e32 v57, 0x10000000, v57
	v_and_b32_e32 v51, 0x10000000, v51
	v_or_b32_e32 v55, v55, v57
	v_or_b32_e32 v51, v53, v51
	v_mad_i64_i32 v[90:91], s[18:19], v58, 24, v[88:89]
	ds_write2_b32 v44, v51, v55 offset1:1
	v_lshl_add_u64 v[92:93], v[90:91], 0, v[2:3]
	v_mad_i64_i32 v[94:95], s[18:19], v62, 24, v[88:89]
	v_mad_i64_i32 v[98:99], s[18:19], v66, 24, v[88:89]
	;; [unrolled: 1-line block ×3, first 2 shown]
	v_lshrrev_b32_e32 v57, 4, v67
	v_and_b32_e32 v63, 0xf0f0f0f, v67
	v_lshl_add_u64 v[96:97], v[94:95], 0, v[2:3]
	v_lshl_add_u64 v[100:101], v[98:99], 0, v[2:3]
	;; [unrolled: 1-line block ×3, first 2 shown]
	global_load_dword v65, v[92:93], off offset:8
	global_load_dword v67, v[96:97], off offset:8
	;; [unrolled: 1-line block ×8, first 2 shown]
	v_ashrrev_i32_e32 v51, v2, v106
	v_lshlrev_b32_e32 v53, 4, v51
	v_lshlrev_b32_e32 v55, 11, v51
	v_lshrrev_b32_e32 v59, 12, v51
	v_and_b32_e32 v53, 16, v53
	v_lshrrev_b32_e32 v61, 5, v51
	v_and_b32_e32 v57, 0xf0f0f0f, v57
	v_and_b32_e32 v59, 16, v59
	v_or_b32_e32 v53, v53, v63
	v_and_b32_e32 v55, 0x1000, v55
	v_or_b32_e32 v57, v59, v57
	;; [unrolled: 2-line block ×3, first 2 shown]
	v_lshlrev_b32_e32 v55, 2, v51
	v_or_b32_e32 v57, v57, v59
	v_lshlrev_b32_e32 v59, 18, v51
	v_and_b32_e32 v55, 0x100000, v55
	v_and_b32_e32 v59, 0x100000, v59
	v_or_b32_e32 v55, v57, v55
	v_lshlrev_b32_e32 v57, 9, v51
	v_lshlrev_b32_e32 v51, 25, v51
	v_or_b32_e32 v53, v53, v59
	v_and_b32_e32 v57, 0x10000000, v57
	v_and_b32_e32 v51, 0x10000000, v51
	v_or_b32_e32 v55, v55, v57
	v_or_b32_e32 v51, v53, v51
	ds_write2_b32 v48, v51, v55 offset1:1
	v_ashrrev_i32_e32 v51, v2, v83
	v_lshlrev_b32_e32 v53, 4, v51
	v_lshlrev_b32_e32 v55, 11, v51
	v_lshrrev_b32_e32 v57, 4, v69
	v_lshrrev_b32_e32 v59, 12, v51
	v_and_b32_e32 v63, 0xf0f0f0f, v69
	v_and_b32_e32 v53, 16, v53
	v_lshrrev_b32_e32 v61, 5, v51
	v_and_b32_e32 v57, 0xf0f0f0f, v57
	v_and_b32_e32 v59, 16, v59
	v_or_b32_e32 v53, v53, v63
	v_and_b32_e32 v55, 0x1000, v55
	v_or_b32_e32 v57, v59, v57
	;; [unrolled: 2-line block ×3, first 2 shown]
	v_lshlrev_b32_e32 v55, 2, v51
	v_or_b32_e32 v57, v57, v59
	v_lshlrev_b32_e32 v59, 18, v51
	v_and_b32_e32 v55, 0x100000, v55
	v_and_b32_e32 v59, 0x100000, v59
	v_or_b32_e32 v55, v57, v55
	v_lshlrev_b32_e32 v57, 9, v51
	v_lshlrev_b32_e32 v51, 25, v51
	v_or_b32_e32 v53, v53, v59
	v_and_b32_e32 v57, 0x10000000, v57
	v_and_b32_e32 v51, 0x10000000, v51
	v_or_b32_e32 v55, v55, v57
	v_or_b32_e32 v51, v53, v51
	ds_write2_b32 v52, v51, v55 offset1:1
	v_ashrrev_i32_e32 v51, v2, v81
	v_lshlrev_b32_e32 v53, 4, v51
	v_lshlrev_b32_e32 v55, 11, v51
	v_lshrrev_b32_e32 v57, 4, v79
	v_lshrrev_b32_e32 v59, 12, v51
	v_and_b32_e32 v63, 0xf0f0f0f, v79
	v_and_b32_e32 v53, 16, v53
	v_lshrrev_b32_e32 v61, 5, v51
	v_and_b32_e32 v57, 0xf0f0f0f, v57
	v_and_b32_e32 v59, 16, v59
	v_or_b32_e32 v53, v53, v63
	v_and_b32_e32 v55, 0x1000, v55
	v_or_b32_e32 v57, v59, v57
	;; [unrolled: 2-line block ×3, first 2 shown]
	v_lshlrev_b32_e32 v55, 2, v51
	v_or_b32_e32 v57, v57, v59
	v_lshlrev_b32_e32 v59, 18, v51
	v_and_b32_e32 v55, 0x100000, v55
	v_and_b32_e32 v59, 0x100000, v59
	v_or_b32_e32 v55, v57, v55
	v_lshlrev_b32_e32 v57, 9, v51
	v_lshlrev_b32_e32 v51, 25, v51
	v_or_b32_e32 v53, v53, v59
	v_and_b32_e32 v57, 0x10000000, v57
	v_and_b32_e32 v51, 0x10000000, v51
	v_or_b32_e32 v55, v55, v57
	v_or_b32_e32 v51, v53, v51
	ds_write2_b32 v56, v51, v55 offset1:1
	s_waitcnt vmcnt(0)
	v_ashrrev_i32_e32 v51, v2, v105
	v_lshlrev_b32_e32 v53, 4, v51
	v_lshlrev_b32_e32 v55, 11, v51
	v_lshrrev_b32_e32 v57, 4, v65
	v_lshrrev_b32_e32 v59, 12, v51
	v_and_b32_e32 v63, 0xf0f0f0f, v65
	v_and_b32_e32 v53, 16, v53
	v_lshrrev_b32_e32 v61, 5, v51
	v_and_b32_e32 v57, 0xf0f0f0f, v57
	v_and_b32_e32 v59, 16, v59
	v_or_b32_e32 v53, v53, v63
	v_and_b32_e32 v55, 0x1000, v55
	v_or_b32_e32 v57, v59, v57
	;; [unrolled: 2-line block ×3, first 2 shown]
	v_lshlrev_b32_e32 v55, 2, v51
	v_or_b32_e32 v57, v57, v59
	v_lshlrev_b32_e32 v59, 18, v51
	v_and_b32_e32 v55, 0x100000, v55
	v_and_b32_e32 v59, 0x100000, v59
	v_or_b32_e32 v55, v57, v55
	v_lshlrev_b32_e32 v57, 9, v51
	v_lshlrev_b32_e32 v51, 25, v51
	v_or_b32_e32 v53, v53, v59
	v_and_b32_e32 v57, 0x10000000, v57
	v_and_b32_e32 v51, 0x10000000, v51
	v_or_b32_e32 v55, v55, v57
	v_or_b32_e32 v51, v53, v51
	ds_write2_b32 v60, v51, v55 offset1:1
	v_ashrrev_i32_e32 v51, v2, v104
	v_lshlrev_b32_e32 v53, 4, v51
	v_lshrrev_b32_e32 v57, 4, v67
	v_lshrrev_b32_e32 v59, 12, v51
	v_mad_u64_u32 v[88:89], s[2:3], v74, 24, s[2:3]
	v_lshrrev_b32_e32 v61, 5, v51
	v_and_b32_e32 v57, 0xf0f0f0f, v57
	v_and_b32_e32 v63, 0xf0f0f0f, v67
	;; [unrolled: 1-line block ×4, first 2 shown]
	v_mad_i64_i32 v[90:91], s[2:3], v76, 24, v[88:89]
	v_mad_i64_i32 v[92:93], s[2:3], v78, 24, v[88:89]
	;; [unrolled: 1-line block ×4, first 2 shown]
	v_or_b32_e32 v57, v59, v57
	v_or_b32_e32 v53, v53, v63
	v_and_b32_e32 v59, 0x1000, v61
	global_load_dword v61, v[90:91], off
	global_load_dword v63, v[92:93], off
	;; [unrolled: 1-line block ×4, first 2 shown]
	v_lshlrev_b32_e32 v55, 11, v51
	v_and_b32_e32 v55, 0x1000, v55
	v_or_b32_e32 v53, v53, v55
	v_lshlrev_b32_e32 v55, 2, v51
	v_or_b32_e32 v57, v57, v59
	v_lshlrev_b32_e32 v59, 18, v51
	v_and_b32_e32 v55, 0x100000, v55
	v_and_b32_e32 v59, 0x100000, v59
	v_or_b32_e32 v55, v57, v55
	v_lshlrev_b32_e32 v57, 9, v51
	v_lshlrev_b32_e32 v51, 25, v51
	v_or_b32_e32 v53, v53, v59
	v_and_b32_e32 v57, 0x10000000, v57
	v_and_b32_e32 v51, 0x10000000, v51
	v_or_b32_e32 v55, v55, v57
	v_or_b32_e32 v51, v53, v51
	ds_write2_b32 v64, v51, v55 offset1:1
	v_ashrrev_i32_e32 v51, v2, v77
	v_lshlrev_b32_e32 v53, 4, v51
	v_lshlrev_b32_e32 v55, 11, v51
	v_lshrrev_b32_e32 v57, 4, v71
	v_lshrrev_b32_e32 v59, 12, v51
	v_and_b32_e32 v71, 0xf0f0f0f, v71
	v_and_b32_e32 v53, 16, v53
	v_lshrrev_b32_e32 v69, 5, v51
	v_and_b32_e32 v57, 0xf0f0f0f, v57
	v_and_b32_e32 v59, 16, v59
	v_or_b32_e32 v53, v53, v71
	v_and_b32_e32 v55, 0x1000, v55
	v_or_b32_e32 v57, v59, v57
	;; [unrolled: 2-line block ×3, first 2 shown]
	v_lshlrev_b32_e32 v55, 2, v51
	v_or_b32_e32 v57, v57, v59
	v_lshlrev_b32_e32 v59, 18, v51
	v_and_b32_e32 v55, 0x100000, v55
	v_and_b32_e32 v59, 0x100000, v59
	v_or_b32_e32 v55, v57, v55
	v_lshlrev_b32_e32 v57, 9, v51
	v_lshlrev_b32_e32 v51, 25, v51
	v_or_b32_e32 v53, v53, v59
	v_and_b32_e32 v57, 0x10000000, v57
	v_and_b32_e32 v51, 0x10000000, v51
	v_or_b32_e32 v55, v55, v57
	v_or_b32_e32 v51, v53, v51
	ds_write2_b32 v68, v51, v55 offset1:1
	v_ashrrev_i32_e32 v51, v2, v75
	v_lshlrev_b32_e32 v53, 4, v51
	v_lshlrev_b32_e32 v55, 11, v51
	v_lshrrev_b32_e32 v57, 4, v73
	v_lshrrev_b32_e32 v59, 12, v51
	v_and_b32_e32 v71, 0xf0f0f0f, v73
	v_and_b32_e32 v53, 16, v53
	v_lshrrev_b32_e32 v69, 5, v51
	v_and_b32_e32 v57, 0xf0f0f0f, v57
	v_and_b32_e32 v59, 16, v59
	v_or_b32_e32 v53, v53, v71
	v_and_b32_e32 v55, 0x1000, v55
	v_or_b32_e32 v57, v59, v57
	;; [unrolled: 2-line block ×3, first 2 shown]
	v_lshlrev_b32_e32 v55, 2, v51
	v_or_b32_e32 v57, v57, v59
	v_lshlrev_b32_e32 v59, 18, v51
	v_and_b32_e32 v55, 0x100000, v55
	v_and_b32_e32 v59, 0x100000, v59
	v_or_b32_e32 v55, v57, v55
	v_lshlrev_b32_e32 v57, 9, v51
	v_lshlrev_b32_e32 v51, 25, v51
	v_or_b32_e32 v53, v53, v59
	v_and_b32_e32 v57, 0x10000000, v57
	v_and_b32_e32 v51, 0x10000000, v51
	v_or_b32_e32 v55, v55, v57
	v_or_b32_e32 v51, v53, v51
	ds_write2_b32 v72, v51, v55 offset1:1
	s_waitcnt vmcnt(3)
	ds_write_b32 v43, v61
	s_waitcnt vmcnt(2)
	ds_write_b32 v45, v63
	;; [unrolled: 2-line block ×4, first 2 shown]
	s_cbranch_scc0 .LBB224_4
; %bb.6:                                ;   in Loop: Header=BB224_5 Depth=1
	v_add_u32_e32 v51, s20, v11
	v_cmp_gt_i32_e64 s[2:3], s8, v51
	s_and_b64 s[18:19], s[0:1], s[2:3]
	s_and_saveexec_b64 s[2:3], s[18:19]
	s_cbranch_execz .LBB224_8
; %bb.7:                                ;   in Loop: Header=BB224_5 Depth=1
	v_add_u32_e32 v51, v84, v51
	v_mad_i64_i32 v[88:89], s[18:19], v51, 36, v[86:87]
	global_load_dword v51, v[88:89], off offset:4
	s_waitcnt vmcnt(0)
	ds_write_b32 v15, v51
.LBB224_8:                              ;   in Loop: Header=BB224_5 Depth=1
	s_or_b64 exec, exec, s[2:3]
	v_add_u32_e32 v88, s20, v9
	v_cmp_gt_i32_e64 s[2:3], s8, v88
	s_and_b64 s[18:19], s[12:13], s[2:3]
	s_and_saveexec_b64 s[2:3], s[18:19]
	s_cbranch_execz .LBB224_10
; %bb.9:                                ;   in Loop: Header=BB224_5 Depth=1
	v_add_u32_e32 v51, v84, v88
	v_mad_i64_i32 v[90:91], s[18:19], v51, 36, s[14:15]
	global_load_dword v51, v[90:91], off
	s_waitcnt vmcnt(0)
	ds_write_b32 v19, v51
.LBB224_10:                             ;   in Loop: Header=BB224_5 Depth=1
	s_or_b64 exec, exec, s[2:3]
	s_mov_b32 s2, -4
	v_mov_b32_e32 v51, v13
	v_mov_b32_e32 v53, v21
	;; [unrolled: 1-line block ×7, first 2 shown]
	s_waitcnt lgkmcnt(0)
	s_barrier
.LBB224_11:                             ;   Parent Loop BB224_5 Depth=1
                                        ; =>  This Inner Loop Header: Depth=2
	ds_read_b128 v[90:93], v51
	ds_read_b128 v[94:97], v51 offset:16
	ds_read_b32 v65, v55
	ds_read_b32 v67, v57
	ds_read2_b32 v[98:99], v53 offset1:1
	v_mov_b32_e32 v69, 0
	v_add_u32_e32 v71, 0x2080, v53
	v_add_u32_e32 v75, 0x2088, v53
	s_waitcnt lgkmcnt(1)
	v_pk_mul_f16 v67, v65, v67
	s_waitcnt lgkmcnt(0)
	v_dot4c_i32_i8_e32 v69, v98, v90
	v_dot4c_i32_i8_e32 v69, v99, v94
	ds_read2_b32 v[98:99], v53 offset0:2 offset1:3
	v_cvt_f32_f16_sdwa v100, v67 dst_sel:DWORD dst_unused:UNUSED_PAD src0_sel:WORD_1
	v_add_u32_e32 v79, 0x6188, v53
	s_add_i32 s2, s2, 4
	v_add_u32_e32 v57, 4, v57
	s_waitcnt lgkmcnt(0)
	v_dot4c_i32_i8_e32 v69, v98, v91
	v_dot4c_i32_i8_e32 v69, v99, v95
	ds_read2_b32 v[98:99], v53 offset0:4 offset1:5
	v_add_u32_e32 v55, 4, v55
	v_add_u32_e32 v51, 32, v51
	s_cmp_lt_u32 s2, 12
	s_waitcnt lgkmcnt(0)
	v_dot4c_i32_i8_e32 v69, v98, v92
	v_dot4c_i32_i8_e32 v69, v99, v96
	ds_read2_b32 v[98:99], v53 offset0:6 offset1:7
	s_waitcnt lgkmcnt(0)
	v_dot4c_i32_i8_e32 v69, v98, v93
	v_dot4c_i32_i8_e32 v69, v99, v97
	ds_read_b32 v73, v59
	ds_read2_b32 v[98:99], v71 offset1:1
	v_mov_b32_e32 v71, 0
	v_add_u32_e32 v59, 4, v59
	s_waitcnt lgkmcnt(1)
	v_pk_mul_f16 v73, v65, v73
	s_waitcnt lgkmcnt(0)
	v_dot4c_i32_i8_e32 v71, v98, v90
	v_dot4c_i32_i8_e32 v71, v99, v94
	ds_read2_b32 v[98:99], v75 offset1:1
	v_add_u32_e32 v75, 0x2090, v53
	v_cvt_f32_f16_sdwa v101, v73 dst_sel:DWORD dst_unused:UNUSED_PAD src0_sel:WORD_1
	s_waitcnt lgkmcnt(0)
	v_dot4c_i32_i8_e32 v71, v98, v91
	v_dot4c_i32_i8_e32 v71, v99, v95
	ds_read2_b32 v[98:99], v75 offset1:1
	v_add_u32_e32 v75, 0x2098, v53
	s_waitcnt lgkmcnt(0)
	v_dot4c_i32_i8_e32 v71, v98, v92
	v_dot4c_i32_i8_e32 v71, v99, v96
	ds_read2_b32 v[98:99], v75 offset1:1
	v_add_u32_e32 v75, 0x4108, v53
	s_waitcnt lgkmcnt(0)
	v_dot4c_i32_i8_e32 v71, v98, v93
	v_dot4c_i32_i8_e32 v71, v99, v97
	v_cvt_f32_f16_e32 v99, v73
	v_cvt_f32_f16_e32 v98, v67
	v_add_u32_e32 v67, 0x4100, v53
	ds_read_b32 v73, v61
	ds_read2_b32 v[102:103], v67 offset1:1
	v_mov_b32_e32 v67, 0
	v_add_u32_e32 v61, 4, v61
	s_waitcnt lgkmcnt(1)
	v_pk_mul_f16 v73, v65, v73
	s_waitcnt lgkmcnt(0)
	v_dot4c_i32_i8_e32 v67, v102, v90
	v_dot4c_i32_i8_e32 v67, v103, v94
	ds_read2_b32 v[102:103], v75 offset1:1
	v_add_u32_e32 v75, 0x4110, v53
	s_waitcnt lgkmcnt(0)
	v_dot4c_i32_i8_e32 v67, v102, v91
	v_dot4c_i32_i8_e32 v67, v103, v95
	ds_read2_b32 v[102:103], v75 offset1:1
	v_add_u32_e32 v75, 0x4118, v53
	;; [unrolled: 5-line block ×3, first 2 shown]
	s_waitcnt lgkmcnt(0)
	v_dot4c_i32_i8_e32 v67, v102, v93
	v_dot4c_i32_i8_e32 v67, v103, v97
	ds_read_b32 v77, v63
	ds_read2_b32 v[102:103], v75 offset1:1
	v_mov_b32_e32 v75, 0
	v_add_u32_e32 v63, 4, v63
	s_waitcnt lgkmcnt(1)
	v_pk_mul_f16 v65, v65, v77
	s_waitcnt lgkmcnt(0)
	v_dot4c_i32_i8_e32 v75, v102, v90
	v_dot4c_i32_i8_e32 v75, v103, v94
	ds_read2_b32 v[102:103], v79 offset1:1
	v_add_u32_e32 v79, 0x6190, v53
	v_cvt_f32_i32_e32 v94, v67
	s_waitcnt lgkmcnt(0)
	v_dot4c_i32_i8_e32 v75, v102, v91
	ds_read2_b32 v[90:91], v79 offset1:1
	v_dot4c_i32_i8_e32 v75, v103, v95
	v_add_u32_e32 v79, 0x6198, v53
	v_add_u32_e32 v53, 32, v53
	s_waitcnt lgkmcnt(0)
	v_dot4c_i32_i8_e32 v75, v90, v92
	v_dot4c_i32_i8_e32 v75, v91, v96
	ds_read2_b32 v[90:91], v79 offset1:1
	v_cvt_f32_f16_sdwa v92, v73 dst_sel:DWORD dst_unused:UNUSED_PAD src0_sel:WORD_1
	v_cvt_f32_i32_e32 v96, v69
	s_waitcnt lgkmcnt(0)
	v_dot4c_i32_i8_e32 v75, v90, v93
	v_dot4c_i32_i8_e32 v75, v91, v97
	v_cvt_f32_f16_e32 v91, v65
	v_cvt_f32_f16_e32 v90, v73
	v_cvt_f32_f16_sdwa v93, v65 dst_sel:DWORD dst_unused:UNUSED_PAD src0_sel:WORD_1
	v_cvt_f32_i32_e32 v95, v75
	v_cvt_f32_i32_e32 v97, v71
	v_pk_fma_f32 v[90:91], v[90:91], v[94:95], v[92:93]
	v_pk_fma_f32 v[96:97], v[98:99], v[96:97], v[100:101]
	v_pk_add_f32 v[6:7], v[6:7], v[90:91]
	v_pk_add_f32 v[4:5], v[4:5], v[96:97]
	s_cbranch_scc1 .LBB224_11
; %bb.12:                               ;   in Loop: Header=BB224_5 Depth=1
	s_bitset1_b32 s6, 7
	s_cmp_ge_i32 s6, s5
	s_barrier
	s_cbranch_scc1 .LBB224_4
; %bb.13:                               ;   in Loop: Header=BB224_5 Depth=1
	v_add_u32_e32 v51, s20, v23
	v_cmp_gt_i32_e64 s[2:3], s8, v51
	s_and_b64 s[18:19], s[0:1], s[2:3]
	s_and_saveexec_b64 s[2:3], s[18:19]
	s_cbranch_execz .LBB224_15
; %bb.14:                               ;   in Loop: Header=BB224_5 Depth=1
	v_add_u32_e32 v51, v84, v51
	v_mad_i64_i32 v[90:91], s[18:19], v51, 36, v[86:87]
	global_load_dword v51, v[90:91], off offset:4
	s_waitcnt vmcnt(0)
	ds_write_b32 v15, v51
.LBB224_15:                             ;   in Loop: Header=BB224_5 Depth=1
	s_or_b64 exec, exec, s[2:3]
	s_and_saveexec_b64 s[18:19], vcc
	s_cbranch_execz .LBB224_18
; %bb.16:                               ;   in Loop: Header=BB224_5 Depth=1
	v_or_b32_e32 v51, 4, v88
	v_cmp_gt_i32_e64 s[2:3], s8, v51
	s_and_b64 s[2:3], s[0:1], s[2:3]
	s_and_b64 exec, exec, s[2:3]
	s_cbranch_execz .LBB224_18
; %bb.17:                               ;   in Loop: Header=BB224_5 Depth=1
	v_ashrrev_i32_e32 v89, 31, v88
	v_lshl_add_u64 v[88:89], v[84:85], 0, v[88:89]
	v_mad_u64_u32 v[90:91], s[2:3], v88, 36, s[14:15]
	v_mad_i32_i24 v91, v89, 36, v91
	global_load_dword v51, v[90:91], off offset:144
	s_waitcnt vmcnt(0)
	ds_write_b32 v19, v51
.LBB224_18:                             ;   in Loop: Header=BB224_5 Depth=1
	s_or_b64 exec, exec, s[18:19]
	s_mov_b32 s2, 12
	v_mov_b32_e32 v51, v17
	v_mov_b32_e32 v53, v13
	;; [unrolled: 1-line block ×7, first 2 shown]
	s_waitcnt lgkmcnt(0)
	s_barrier
.LBB224_19:                             ;   Parent Loop BB224_5 Depth=1
                                        ; =>  This Inner Loop Header: Depth=2
	ds_read_b128 v[88:91], v53
	ds_read_b32 v65, v51
	ds_read_b128 v[92:95], v53 offset:16
	ds_read2_b32 v[96:97], v55 offset1:1
	v_add_u32_e32 v71, 0x2080, v55
	v_add_u32_e32 v114, 0x4108, v55
	;; [unrolled: 1-line block ×8, first 2 shown]
	ds_read_b32 v69, v57
	ds_read2_b32 v[98:99], v55 offset0:2 offset1:3
	ds_read2_b32 v[100:101], v55 offset0:4 offset1:5
	;; [unrolled: 1-line block ×3, first 2 shown]
	v_add_u32_e32 v75, 0x2088, v55
	v_add_u32_e32 v77, 0x2090, v55
	;; [unrolled: 1-line block ×4, first 2 shown]
	ds_read_b32 v128, v59
	ds_read_b32 v129, v61
	;; [unrolled: 1-line block ×3, first 2 shown]
	ds_read2_b32 v[104:105], v71 offset1:1
	ds_read2_b32 v[106:107], v75 offset1:1
	;; [unrolled: 1-line block ×12, first 2 shown]
	v_mov_b32_e32 v67, 0
	v_mov_b32_e32 v73, 0
	;; [unrolled: 1-line block ×4, first 2 shown]
	s_waitcnt lgkmcnt(14)
	v_dot4c_i32_i8_e32 v67, v96, v88
	s_waitcnt lgkmcnt(11)
	v_dot4c_i32_i8_e32 v73, v104, v88
	;; [unrolled: 2-line block ×4, first 2 shown]
	v_dot4c_i32_i8_e32 v67, v97, v92
	v_dot4c_i32_i8_e32 v73, v105, v92
	v_dot4c_i32_i8_e32 v83, v113, v92
	v_dot4c_i32_i8_e32 v134, v121, v92
	v_dot4c_i32_i8_e32 v67, v98, v89
	v_dot4c_i32_i8_e32 v73, v106, v89
	v_dot4c_i32_i8_e32 v83, v114, v89
	s_waitcnt lgkmcnt(2)
	v_dot4c_i32_i8_e32 v134, v122, v89
	v_dot4c_i32_i8_e32 v67, v99, v93
	v_dot4c_i32_i8_e32 v73, v107, v93
	v_dot4c_i32_i8_e32 v83, v115, v93
	v_dot4c_i32_i8_e32 v134, v123, v93
	v_dot4c_i32_i8_e32 v67, v100, v90
	v_dot4c_i32_i8_e32 v73, v108, v90
	v_dot4c_i32_i8_e32 v83, v116, v90
	s_waitcnt lgkmcnt(1)
	v_dot4c_i32_i8_e32 v134, v124, v90
	;; [unrolled: 9-line block ×3, first 2 shown]
	v_pk_mul_f16 v69, v65, v69
	v_pk_mul_f16 v71, v65, v128
	;; [unrolled: 1-line block ×4, first 2 shown]
	v_dot4c_i32_i8_e32 v67, v103, v95
	v_dot4c_i32_i8_e32 v73, v111, v95
	;; [unrolled: 1-line block ×4, first 2 shown]
	v_cvt_f32_f16_e32 v97, v71
	v_cvt_f32_f16_e32 v96, v69
	v_cvt_f32_f16_sdwa v129, v71 dst_sel:DWORD dst_unused:UNUSED_PAD src0_sel:WORD_1
	v_cvt_f32_f16_sdwa v128, v69 dst_sel:DWORD dst_unused:UNUSED_PAD src0_sel:WORD_1
	v_cvt_f32_f16_e32 v131, v65
	v_cvt_f32_f16_e32 v130, v75
	v_cvt_f32_f16_sdwa v133, v65 dst_sel:DWORD dst_unused:UNUSED_PAD src0_sel:WORD_1
	v_cvt_f32_f16_sdwa v132, v75 dst_sel:DWORD dst_unused:UNUSED_PAD src0_sel:WORD_1
	v_cvt_f32_i32_e32 v88, v67
	v_cvt_f32_i32_e32 v91, v134
	;; [unrolled: 1-line block ×4, first 2 shown]
	s_add_i32 s2, s2, 4
	v_add_u32_e32 v63, 4, v63
	v_pk_fma_f32 v[88:89], v[96:97], v[88:89], v[128:129]
	v_pk_fma_f32 v[90:91], v[130:131], v[90:91], v[132:133]
	v_add_u32_e32 v61, 4, v61
	v_add_u32_e32 v59, 4, v59
	;; [unrolled: 1-line block ×6, first 2 shown]
	s_cmp_lt_u32 s2, 28
	v_pk_add_f32 v[6:7], v[6:7], v[90:91]
	v_pk_add_f32 v[4:5], v[4:5], v[88:89]
	s_cbranch_scc1 .LBB224_19
; %bb.20:                               ;   in Loop: Header=BB224_5 Depth=1
	s_barrier
	s_branch .LBB224_4
.LBB224_21:
	v_mov_b32_e32 v4, v3
	v_mov_b32_e32 v5, v3
	;; [unrolled: 1-line block ×3, first 2 shown]
	v_mov_b64_e32 v[6:7], v[4:5]
	v_mov_b64_e32 v[4:5], v[2:3]
.LBB224_22:
	s_mul_i32 s0, s10, s7
	s_waitcnt vmcnt(0)
	v_cmp_gt_i32_e32 vcc, s0, v1
	s_and_saveexec_b64 s[0:1], vcc
	s_cbranch_execz .LBB224_31
; %bb.23:
	v_and_b32_e32 v0, 0x3ff, v0
	v_add_u32_e32 v2, s11, v0
	v_mul_lo_u32 v0, v1, s9
	v_cmp_gt_u32_e32 vcc, s9, v2
	s_and_saveexec_b64 s[0:1], vcc
	s_cbranch_execz .LBB224_25
; %bb.24:
	v_bfe_u32 v1, v4, 16, 1
	s_movk_i32 s2, 0x7fff
	v_add3_u32 v1, v4, v1, s2
	v_cmp_o_f32_e32 vcc, v4, v4
	v_mov_b32_e32 v3, 0x7fc0
	v_add_u32_e32 v8, v0, v2
	v_mov_b32_e32 v9, 0
	v_cndmask_b32_sdwa v1, v3, v1, vcc dst_sel:DWORD dst_unused:UNUSED_PAD src0_sel:DWORD src1_sel:WORD_1
	v_lshl_add_u64 v[8:9], v[8:9], 1, s[16:17]
	global_store_short v[8:9], v1, off
.LBB224_25:
	s_or_b64 exec, exec, s[0:1]
	v_add_u32_e32 v1, 32, v2
	v_cmp_gt_u32_e32 vcc, s9, v1
	s_and_saveexec_b64 s[0:1], vcc
	s_cbranch_execz .LBB224_27
; %bb.26:
	v_bfe_u32 v3, v5, 16, 1
	s_movk_i32 s2, 0x7fff
	v_add3_u32 v3, v5, v3, s2
	v_cmp_o_f32_e32 vcc, v5, v5
	v_mov_b32_e32 v4, 0x7fc0
	v_mov_b32_e32 v5, 0
	v_cndmask_b32_sdwa v3, v4, v3, vcc dst_sel:DWORD dst_unused:UNUSED_PAD src0_sel:DWORD src1_sel:WORD_1
	v_add_u32_e32 v4, v0, v1
	v_lshl_add_u64 v[4:5], v[4:5], 1, s[16:17]
	global_store_short v[4:5], v3, off
.LBB224_27:
	s_or_b64 exec, exec, s[0:1]
	v_add_u32_e32 v1, 64, v2
	v_cmp_gt_u32_e32 vcc, s9, v1
	s_and_saveexec_b64 s[0:1], vcc
	s_cbranch_execz .LBB224_29
; %bb.28:
	v_bfe_u32 v3, v6, 16, 1
	s_movk_i32 s2, 0x7fff
	v_add3_u32 v3, v6, v3, s2
	v_cmp_o_f32_e32 vcc, v6, v6
	v_mov_b32_e32 v4, 0x7fc0
	v_mov_b32_e32 v5, 0
	v_cndmask_b32_sdwa v3, v4, v3, vcc dst_sel:DWORD dst_unused:UNUSED_PAD src0_sel:DWORD src1_sel:WORD_1
	v_add_u32_e32 v4, v0, v1
	v_lshl_add_u64 v[4:5], v[4:5], 1, s[16:17]
	global_store_short v[4:5], v3, off
.LBB224_29:
	s_or_b64 exec, exec, s[0:1]
	v_add_u32_e32 v1, 0x60, v2
	v_cmp_gt_u32_e32 vcc, s9, v1
	s_and_b64 exec, exec, vcc
	s_cbranch_execz .LBB224_31
; %bb.30:
	v_bfe_u32 v2, v7, 16, 1
	s_movk_i32 s0, 0x7fff
	v_add3_u32 v2, v7, v2, s0
	v_cmp_o_f32_e32 vcc, v7, v7
	v_mov_b32_e32 v3, 0x7fc0
	v_add_u32_e32 v0, v0, v1
	v_mov_b32_e32 v1, 0
	v_cndmask_b32_sdwa v2, v3, v2, vcc dst_sel:DWORD dst_unused:UNUSED_PAD src0_sel:DWORD src1_sel:WORD_1
	v_lshl_add_u64 v[0:1], v[0:1], 1, s[16:17]
	global_store_short v[0:1], v2, off
.LBB224_31:
	s_endpgm
	.section	.rodata,"a",@progbits
	.p2align	6, 0x0
	.amdhsa_kernel _ZL8moe_q5_1IN3c108BFloat16ELb1EEvPKvS3_PT_PKiS7_S7_iiiiiii
		.amdhsa_group_segment_fixed_size 38656
		.amdhsa_private_segment_fixed_size 0
		.amdhsa_kernarg_size 76
		.amdhsa_user_sgpr_count 2
		.amdhsa_user_sgpr_dispatch_ptr 0
		.amdhsa_user_sgpr_queue_ptr 0
		.amdhsa_user_sgpr_kernarg_segment_ptr 1
		.amdhsa_user_sgpr_dispatch_id 0
		.amdhsa_user_sgpr_kernarg_preload_length 0
		.amdhsa_user_sgpr_kernarg_preload_offset 0
		.amdhsa_user_sgpr_private_segment_size 0
		.amdhsa_uses_dynamic_stack 0
		.amdhsa_enable_private_segment 0
		.amdhsa_system_sgpr_workgroup_id_x 1
		.amdhsa_system_sgpr_workgroup_id_y 1
		.amdhsa_system_sgpr_workgroup_id_z 0
		.amdhsa_system_sgpr_workgroup_info 0
		.amdhsa_system_vgpr_workitem_id 1
		.amdhsa_next_free_vgpr 135
		.amdhsa_next_free_sgpr 96
		.amdhsa_accum_offset 136
		.amdhsa_reserve_vcc 1
		.amdhsa_float_round_mode_32 0
		.amdhsa_float_round_mode_16_64 0
		.amdhsa_float_denorm_mode_32 3
		.amdhsa_float_denorm_mode_16_64 3
		.amdhsa_dx10_clamp 1
		.amdhsa_ieee_mode 1
		.amdhsa_fp16_overflow 0
		.amdhsa_tg_split 0
		.amdhsa_exception_fp_ieee_invalid_op 0
		.amdhsa_exception_fp_denorm_src 0
		.amdhsa_exception_fp_ieee_div_zero 0
		.amdhsa_exception_fp_ieee_overflow 0
		.amdhsa_exception_fp_ieee_underflow 0
		.amdhsa_exception_fp_ieee_inexact 0
		.amdhsa_exception_int_div_zero 0
	.end_amdhsa_kernel
	.section	.text._ZL8moe_q5_1IN3c108BFloat16ELb1EEvPKvS3_PT_PKiS7_S7_iiiiiii,"axG",@progbits,_ZL8moe_q5_1IN3c108BFloat16ELb1EEvPKvS3_PT_PKiS7_S7_iiiiiii,comdat
.Lfunc_end224:
	.size	_ZL8moe_q5_1IN3c108BFloat16ELb1EEvPKvS3_PT_PKiS7_S7_iiiiiii, .Lfunc_end224-_ZL8moe_q5_1IN3c108BFloat16ELb1EEvPKvS3_PT_PKiS7_S7_iiiiiii
                                        ; -- End function
	.set _ZL8moe_q5_1IN3c108BFloat16ELb1EEvPKvS3_PT_PKiS7_S7_iiiiiii.num_vgpr, 135
	.set _ZL8moe_q5_1IN3c108BFloat16ELb1EEvPKvS3_PT_PKiS7_S7_iiiiiii.num_agpr, 0
	.set _ZL8moe_q5_1IN3c108BFloat16ELb1EEvPKvS3_PT_PKiS7_S7_iiiiiii.numbered_sgpr, 23
	.set _ZL8moe_q5_1IN3c108BFloat16ELb1EEvPKvS3_PT_PKiS7_S7_iiiiiii.num_named_barrier, 0
	.set _ZL8moe_q5_1IN3c108BFloat16ELb1EEvPKvS3_PT_PKiS7_S7_iiiiiii.private_seg_size, 0
	.set _ZL8moe_q5_1IN3c108BFloat16ELb1EEvPKvS3_PT_PKiS7_S7_iiiiiii.uses_vcc, 1
	.set _ZL8moe_q5_1IN3c108BFloat16ELb1EEvPKvS3_PT_PKiS7_S7_iiiiiii.uses_flat_scratch, 0
	.set _ZL8moe_q5_1IN3c108BFloat16ELb1EEvPKvS3_PT_PKiS7_S7_iiiiiii.has_dyn_sized_stack, 0
	.set _ZL8moe_q5_1IN3c108BFloat16ELb1EEvPKvS3_PT_PKiS7_S7_iiiiiii.has_recursion, 0
	.set _ZL8moe_q5_1IN3c108BFloat16ELb1EEvPKvS3_PT_PKiS7_S7_iiiiiii.has_indirect_call, 0
	.section	.AMDGPU.csdata,"",@progbits
; Kernel info:
; codeLenInByte = 6548
; TotalNumSgprs: 29
; NumVgprs: 135
; NumAgprs: 0
; TotalNumVgprs: 135
; ScratchSize: 0
; MemoryBound: 0
; FloatMode: 240
; IeeeMode: 1
; LDSByteSize: 38656 bytes/workgroup (compile time only)
; SGPRBlocks: 12
; VGPRBlocks: 16
; NumSGPRsForWavesPerEU: 102
; NumVGPRsForWavesPerEU: 135
; AccumOffset: 136
; Occupancy: 3
; WaveLimiterHint : 1
; COMPUTE_PGM_RSRC2:SCRATCH_EN: 0
; COMPUTE_PGM_RSRC2:USER_SGPR: 2
; COMPUTE_PGM_RSRC2:TRAP_HANDLER: 0
; COMPUTE_PGM_RSRC2:TGID_X_EN: 1
; COMPUTE_PGM_RSRC2:TGID_Y_EN: 1
; COMPUTE_PGM_RSRC2:TGID_Z_EN: 0
; COMPUTE_PGM_RSRC2:TIDIG_COMP_CNT: 1
; COMPUTE_PGM_RSRC3_GFX90A:ACCUM_OFFSET: 33
; COMPUTE_PGM_RSRC3_GFX90A:TG_SPLIT: 0
	.section	.text._ZL8moe_q8_0IN3c108BFloat16ELb0EEvPKvS3_PT_PKiS7_S7_iiiiiii,"axG",@progbits,_ZL8moe_q8_0IN3c108BFloat16ELb0EEvPKvS3_PT_PKiS7_S7_iiiiiii,comdat
	.globl	_ZL8moe_q8_0IN3c108BFloat16ELb0EEvPKvS3_PT_PKiS7_S7_iiiiiii ; -- Begin function _ZL8moe_q8_0IN3c108BFloat16ELb0EEvPKvS3_PT_PKiS7_S7_iiiiiii
	.p2align	8
	.type	_ZL8moe_q8_0IN3c108BFloat16ELb0EEvPKvS3_PT_PKiS7_S7_iiiiiii,@function
_ZL8moe_q8_0IN3c108BFloat16ELb0EEvPKvS3_PT_PKiS7_S7_iiiiiii: ; @_ZL8moe_q8_0IN3c108BFloat16ELb0EEvPKvS3_PT_PKiS7_S7_iiiiiii
; %bb.0:
	s_load_dwordx4 s[4:7], s[0:1], 0x18
	s_mov_b32 s8, s3
	s_mov_b32 s9, 0
	s_lshl_b64 s[10:11], s[8:9], 2
	s_waitcnt lgkmcnt(0)
	s_add_u32 s6, s6, s10
	s_addc_u32 s7, s7, s11
	s_load_dword s12, s[6:7], 0x0
	s_waitcnt lgkmcnt(0)
	s_cmpk_gt_u32 s12, 0xff
	s_cbranch_scc1 .LBB225_23
; %bb.1:
	s_load_dwordx2 s[6:7], s[0:1], 0x28
	s_lshl_b32 s3, s8, 3
	s_waitcnt lgkmcnt(0)
	s_load_dword s6, s[6:7], 0x0
	s_waitcnt lgkmcnt(0)
	s_cmp_gt_u32 s3, s6
	s_cbranch_scc1 .LBB225_23
; %bb.2:
	v_bfe_u32 v4, v0, 10, 10
	v_mov_b32_e32 v6, s4
	v_mov_b32_e32 v7, s5
	v_add_u32_e32 v2, s3, v4
	v_mov_b32_e32 v3, 0
	v_lshl_add_u64 v[6:7], v[2:3], 2, v[6:7]
	global_load_dword v1, v[6:7], off
	s_load_dwordx2 s[10:11], s[0:1], 0x30
	s_load_dwordx2 s[8:9], s[0:1], 0x10
	s_load_dwordx4 s[4:7], s[0:1], 0x3c
	s_lshl_b32 s14, s2, 7
	s_mov_b32 s15, 0
	s_waitcnt lgkmcnt(0)
	s_cmp_lt_i32 s11, 32
	s_cbranch_scc1 .LBB225_13
; %bb.3:
	s_ashr_i32 s13, s11, 31
	s_lshr_b32 s13, s13, 27
	s_load_dwordx4 s[0:3], s[0:1], 0x0
	s_add_i32 s13, s11, s13
	s_ashr_i32 s16, s13, 5
	s_ashr_i32 s13, s5, 31
	s_lshr_b32 s13, s13, 27
	s_add_i32 s5, s5, s13
	s_mul_i32 s12, s12, s10
	s_ashr_i32 s5, s5, 5
	s_ashr_i32 s10, s12, 31
	v_lshlrev_b32_e32 v6, 3, v4
	v_bfe_u32 v7, v0, 2, 8
	s_waitcnt lgkmcnt(0)
	s_add_u32 s0, s0, s12
	v_add_u32_e32 v30, v7, v6
	s_addc_u32 s1, s1, s10
	s_mul_i32 s10, s16, s14
	v_mul_lo_u32 v28, s16, v30
	v_add_u16_e32 v6, v7, v6
	v_lshlrev_b32_e32 v32, 4, v30
	v_add_u32_e32 v30, 64, v30
	s_mul_hi_i32 s12, s10, 34
	s_mul_i32 s10, s10, 34
	v_and_b32_e32 v26, 3, v0
	v_lshrrev_b16_e32 v6, 1, v6
	v_lshrrev_b32_e32 v34, 1, v30
	s_add_u32 s10, s0, s10
	v_and_b32_e32 v6, 0x1ffc, v6
	v_lshlrev_b32_e32 v7, 2, v26
	s_movk_i32 s19, 0x4200
	v_and_b32_e32 v34, 0x3ffc, v34
	v_mov_b32_e32 v36, 0x4a40
	s_addc_u32 s17, s1, s12
	v_add3_u32 v6, v6, v7, s19
	v_add3_u32 v7, v34, v7, s19
	v_and_b32_e32 v34, 31, v0
	v_lshl_add_u32 v43, v4, 7, v36
	s_abs_i32 s12, s7
	v_lshl_add_u32 v45, v34, 2, v43
	v_cvt_f32_u32_e32 v34, s12
	s_sub_i32 s13, 0, s12
	s_waitcnt vmcnt(0)
	v_sub_u32_e32 v44, 0, v1
	v_max_i32_e32 v44, v1, v44
	v_rcp_iflag_f32_e32 v34, v34
	v_mul_lo_u32 v10, s16, v4
	s_lshl_b32 s18, s16, 3
	v_add_u32_e32 v12, s18, v10
	v_mul_f32_e32 v34, 0x4f7ffffe, v34
	v_cvt_u32_f32_e32 v34, v34
	v_xor_b32_e32 v42, s7, v1
	v_add_u32_e32 v14, s18, v12
	v_ashrrev_i32_e32 v42, 31, v42
	v_mul_lo_u32 v46, s13, v34
	v_mul_hi_u32 v46, v34, v46
	v_add_u32_e32 v34, v34, v46
	v_mul_hi_u32 v34, v44, v34
	v_mul_lo_u32 v46, v34, s12
	v_sub_u32_e32 v44, v44, v46
	v_add_u32_e32 v46, 1, v34
	v_cmp_le_u32_e32 vcc, s12, v44
	v_and_b32_e32 v9, 0x3ff, v0
	v_add_u32_e32 v16, s18, v14
	v_cndmask_b32_e32 v34, v34, v46, vcc
	v_subrev_u32_e32 v46, s12, v44
	v_cndmask_b32_e32 v44, v44, v46, vcc
	v_add_u32_e32 v46, 1, v34
	v_cmp_le_u32_e32 vcc, s12, v44
	v_lshlrev_b32_e32 v5, 2, v9
	s_movk_i32 s0, 0x84
	v_cndmask_b32_e32 v34, v34, v46, vcc
	v_xor_b32_e32 v34, v34, v42
	v_add_u32_e32 v18, s18, v16
	v_add_u32_e32 v40, 0x60, v9
	v_sub_u32_e32 v34, v34, v42
	v_mad_u32_u24 v11, v4, s0, v5
	v_add_u32_e32 v20, s18, v18
	v_cmp_gt_u32_e64 s[0:1], 4, v9
	v_add_u32_e32 v38, 64, v9
	v_cmp_gt_i32_e32 vcc, s4, v34
	v_lshrrev_b32_e32 v40, 1, v40
	v_add_u32_e32 v22, s18, v20
	v_add_u32_e32 v36, 32, v9
	v_mul_lo_u32 v47, v34, s5
	s_and_b64 s[12:13], s[0:1], vcc
	v_lshlrev_b32_e32 v34, 4, v9
	v_and_b32_e32 v40, 0xfc, v40
	s_movk_i32 s0, 0x4800
	v_lshrrev_b32_e32 v38, 1, v38
	v_add_u32_e32 v24, s18, v22
	v_lshlrev_b32_e32 v30, 4, v30
	v_add3_u32 v50, v34, v40, s0
	v_and_b32_e32 v38, 0xfc, v38
	s_movk_i32 s0, 0x4600
	v_lshrrev_b32_e32 v36, 1, v36
	v_bfe_u32 v8, v0, 3, 7
	v_add3_u32 v51, v34, v38, s0
	v_and_b32_e32 v36, 0xfc, v36
	s_movk_i32 s0, 0x4400
	v_add_u32_e32 v56, v7, v30
	v_add_u32_e32 v30, s18, v24
	v_add3_u32 v52, v34, v36, s0
	v_lshlrev_b32_e32 v36, 2, v8
	v_add_u32_e32 v55, v6, v32
	v_add_u32_e32 v32, s18, v30
	v_add3_u32 v53, v34, v36, s19
	v_add_u32_e32 v34, s18, v32
	v_add_u32_e32 v36, s18, v34
	;; [unrolled: 1-line block ×4, first 2 shown]
	v_and_b32_e32 v2, 28, v5
	v_add_u32_e32 v5, 0x4e40, v5
	v_lshlrev_b32_e32 v4, 4, v4
	v_add_u32_e32 v42, s18, v40
	v_add_u32_e32 v13, 0x420, v11
	;; [unrolled: 1-line block ×18, first 2 shown]
	v_mov_b32_e32 v4, v3
	v_mov_b32_e32 v5, v3
	v_mov_b32_e32 v6, v3
	v_mov_b32_e32 v7, v3
	v_mul_u32_u24_e32 v58, 0x84, v9
	v_add_u32_e32 v44, s18, v42
	v_lshl_add_u32 v46, s16, 6, v28
	v_lshl_add_u64 v[48:49], s[2:3], 0, v[2:3]
	s_branch .LBB225_5
.LBB225_4:                              ;   in Loop: Header=BB225_5 Depth=1
	s_add_i32 s15, s15, 4
	s_cmp_ge_i32 s15, s16
	s_cbranch_scc1 .LBB225_14
.LBB225_5:                              ; =>This Loop Header: Depth=1
                                        ;     Child Loop BB225_11 Depth 2
	s_mul_i32 s0, s15, 34
	s_mul_hi_u32 s1, s15, 34
	s_add_u32 s0, s10, s0
	s_addc_u32 s1, s17, s1
	v_mad_u64_u32 v[60:61], s[18:19], v8, 34, s[0:1]
	v_mad_u64_u32 v[62:63], s[18:19], v10, 34, v[60:61]
	;; [unrolled: 1-line block ×8, first 2 shown]
	v_lshl_add_u64 v[62:63], v[62:63], 0, v[2:3]
	v_lshl_add_u64 v[64:65], v[64:65], 0, v[2:3]
	;; [unrolled: 1-line block ×7, first 2 shown]
	v_mad_u64_u32 v[76:77], s[18:19], v24, 34, v[60:61]
	v_lshl_add_u64 v[76:77], v[76:77], 0, v[2:3]
	global_load_dword v59, v[62:63], off offset:2
	global_load_dword v78, v[64:65], off offset:2
	;; [unrolled: 1-line block ×8, first 2 shown]
	v_mad_u64_u32 v[62:63], s[18:19], v30, 34, v[60:61]
	v_mad_u64_u32 v[64:65], s[18:19], v32, 34, v[60:61]
	;; [unrolled: 1-line block ×8, first 2 shown]
	v_lshl_add_u64 v[62:63], v[62:63], 0, v[2:3]
	v_lshl_add_u64 v[60:61], v[60:61], 0, v[2:3]
	;; [unrolled: 1-line block ×8, first 2 shown]
	global_load_dword v76, v[62:63], off offset:2
	global_load_dword v77, v[64:65], off offset:2
	;; [unrolled: 1-line block ×8, first 2 shown]
	v_mad_u64_u32 v[60:61], s[0:1], v26, 34, s[0:1]
	v_mad_u64_u32 v[62:63], s[0:1], v28, 34, v[60:61]
	;; [unrolled: 1-line block ×3, first 2 shown]
	global_load_ushort v62, v[62:63], off
	s_lshl_b32 s0, s15, 5
	global_load_ushort v60, v[60:61], off
	s_cmp_ge_i32 s0, s11
	s_waitcnt vmcnt(17)
	ds_write_b32 v11, v59
	s_waitcnt vmcnt(16)
	ds_write_b32 v13, v78
	;; [unrolled: 2-line block ×16, first 2 shown]
	s_waitcnt vmcnt(1)
	v_cvt_f32_f16_e32 v59, v62
	s_waitcnt vmcnt(0)
	v_cvt_f32_f16_e32 v60, v60
	ds_write_b32 v55, v59
	ds_write_b32 v56, v60
	s_cbranch_scc1 .LBB225_4
; %bb.6:                                ;   in Loop: Header=BB225_5 Depth=1
	v_add_u32_e32 v59, s15, v8
	v_cmp_gt_i32_e64 s[0:1], s5, v59
	s_and_b64 s[18:19], vcc, s[0:1]
	s_and_saveexec_b64 s[0:1], s[18:19]
	s_cbranch_execz .LBB225_8
; %bb.7:                                ;   in Loop: Header=BB225_5 Depth=1
	v_add_u32_e32 v59, v47, v59
	v_mad_i64_i32 v[60:61], s[18:19], v59, 36, v[48:49]
	global_load_dword v59, v[60:61], off offset:4
	s_waitcnt vmcnt(0)
	ds_write_b32 v45, v59
.LBB225_8:                              ;   in Loop: Header=BB225_5 Depth=1
	s_or_b64 exec, exec, s[0:1]
	v_or_b32_e32 v59, s15, v9
	v_cmp_gt_i32_e64 s[0:1], s5, v59
	s_and_b64 s[18:19], s[12:13], s[0:1]
	s_and_saveexec_b64 s[0:1], s[18:19]
	s_cbranch_execz .LBB225_10
; %bb.9:                                ;   in Loop: Header=BB225_5 Depth=1
	v_add_u32_e32 v59, v47, v59
	v_mad_i64_i32 v[60:61], s[18:19], v59, 36, s[2:3]
	global_load_dword v59, v[60:61], off
	s_waitcnt vmcnt(0)
	v_cvt_f32_f16_e32 v59, v59
	ds_write_b32 v57, v59
.LBB225_10:                             ;   in Loop: Header=BB225_5 Depth=1
	s_or_b64 exec, exec, s[0:1]
	s_mov_b32 s0, -8
	v_mov_b32_e32 v59, v43
	v_mov_b32_e32 v60, v54
	;; [unrolled: 1-line block ×7, first 2 shown]
	s_waitcnt lgkmcnt(0)
	s_barrier
.LBB225_11:                             ;   Parent Loop BB225_5 Depth=1
                                        ; =>  This Inner Loop Header: Depth=2
	ds_read_b128 v[66:69], v59
	ds_read_b128 v[70:73], v59 offset:16
	v_add_u32_e32 v88, 0x1080, v65
	v_add_u32_e32 v90, 0x1088, v65
	;; [unrolled: 1-line block ×12, first 2 shown]
	ds_read2_b32 v[74:75], v65 offset0:2 offset1:3
	ds_read2_b32 v[76:77], v65 offset0:4 offset1:5
	;; [unrolled: 1-line block ×3, first 2 shown]
	ds_read_b32 v80, v60
	ds_read_b32 v82, v61
	ds_read2_b32 v[84:85], v65 offset1:1
	ds_read_b32 v83, v62
	ds_read_b32 v86, v63
	;; [unrolled: 1-line block ×3, first 2 shown]
	ds_read2_b32 v[88:89], v88 offset1:1
	ds_read2_b32 v[90:91], v90 offset1:1
	;; [unrolled: 1-line block ×12, first 2 shown]
	v_mov_b32_e32 v81, 0
	v_mov_b32_e32 v112, 0
	v_mov_b32_e32 v113, 0
	v_mov_b32_e32 v114, 0
	s_waitcnt lgkmcnt(14)
	v_dot4c_i32_i8_e32 v81, v84, v66
	s_waitcnt lgkmcnt(11)
	v_dot4c_i32_i8_e32 v112, v88, v66
	;; [unrolled: 2-line block ×4, first 2 shown]
	v_dot4c_i32_i8_e32 v81, v85, v67
	v_dot4c_i32_i8_e32 v112, v89, v67
	v_dot4c_i32_i8_e32 v113, v97, v67
	v_dot4c_i32_i8_e32 v114, v105, v67
	v_dot4c_i32_i8_e32 v81, v74, v68
	v_dot4c_i32_i8_e32 v112, v90, v68
	v_dot4c_i32_i8_e32 v113, v98, v68
	s_waitcnt lgkmcnt(2)
	v_dot4c_i32_i8_e32 v114, v106, v68
	v_dot4c_i32_i8_e32 v81, v75, v69
	v_dot4c_i32_i8_e32 v112, v91, v69
	v_dot4c_i32_i8_e32 v113, v99, v69
	v_dot4c_i32_i8_e32 v114, v107, v69
	v_dot4c_i32_i8_e32 v81, v76, v70
	v_dot4c_i32_i8_e32 v112, v92, v70
	v_dot4c_i32_i8_e32 v113, v100, v70
	s_waitcnt lgkmcnt(1)
	v_dot4c_i32_i8_e32 v114, v108, v70
	;; [unrolled: 9-line block ×3, first 2 shown]
	v_dot4c_i32_i8_e32 v81, v79, v73
	v_dot4c_i32_i8_e32 v112, v95, v73
	;; [unrolled: 1-line block ×4, first 2 shown]
	v_cvt_f32_i32_e32 v66, v81
	v_cvt_f32_i32_e32 v67, v112
	v_cvt_f32_i32_e32 v68, v113
	v_cvt_f32_i32_e32 v69, v114
	s_add_i32 s0, s0, 8
	v_pk_mul_f32 v[70:71], v[80:81], v[82:83] op_sel_hi:[0,1]
	v_pk_mul_f32 v[72:73], v[80:81], v[86:87] op_sel_hi:[0,1]
	v_add_u32_e32 v65, 32, v65
	v_add_u32_e32 v64, 4, v64
	;; [unrolled: 1-line block ×7, first 2 shown]
	s_cmp_lt_u32 s0, 24
	v_pk_fma_f32 v[6:7], v[72:73], v[68:69], v[6:7]
	v_pk_fma_f32 v[4:5], v[70:71], v[66:67], v[4:5]
	s_cbranch_scc1 .LBB225_11
; %bb.12:                               ;   in Loop: Header=BB225_5 Depth=1
	s_barrier
	s_branch .LBB225_4
.LBB225_13:
	v_mov_b32_e32 v4, v3
	v_mov_b32_e32 v5, v3
	;; [unrolled: 1-line block ×3, first 2 shown]
	v_mov_b64_e32 v[6:7], v[4:5]
	v_mov_b64_e32 v[4:5], v[2:3]
.LBB225_14:
	s_mul_i32 s0, s7, s4
	s_waitcnt vmcnt(0)
	v_cmp_gt_i32_e32 vcc, s0, v1
	s_and_saveexec_b64 s[0:1], vcc
	s_cbranch_execz .LBB225_23
; %bb.15:
	v_and_b32_e32 v0, 0x3ff, v0
	v_add_u32_e32 v2, s14, v0
	v_mul_lo_u32 v0, v1, s6
	v_cmp_gt_u32_e32 vcc, s6, v2
	s_and_saveexec_b64 s[0:1], vcc
	s_cbranch_execz .LBB225_17
; %bb.16:
	v_bfe_u32 v1, v4, 16, 1
	s_movk_i32 s2, 0x7fff
	v_add3_u32 v1, v4, v1, s2
	v_cmp_o_f32_e32 vcc, v4, v4
	v_mov_b32_e32 v3, 0x7fc0
	v_add_u32_e32 v8, v0, v2
	v_mov_b32_e32 v9, 0
	v_cndmask_b32_sdwa v1, v3, v1, vcc dst_sel:DWORD dst_unused:UNUSED_PAD src0_sel:DWORD src1_sel:WORD_1
	v_lshl_add_u64 v[8:9], v[8:9], 1, s[8:9]
	global_store_short v[8:9], v1, off
.LBB225_17:
	s_or_b64 exec, exec, s[0:1]
	v_add_u32_e32 v1, 32, v2
	v_cmp_gt_u32_e32 vcc, s6, v1
	s_and_saveexec_b64 s[0:1], vcc
	s_cbranch_execz .LBB225_19
; %bb.18:
	v_bfe_u32 v3, v5, 16, 1
	s_movk_i32 s2, 0x7fff
	v_add3_u32 v3, v5, v3, s2
	v_cmp_o_f32_e32 vcc, v5, v5
	v_mov_b32_e32 v4, 0x7fc0
	v_mov_b32_e32 v5, 0
	v_cndmask_b32_sdwa v3, v4, v3, vcc dst_sel:DWORD dst_unused:UNUSED_PAD src0_sel:DWORD src1_sel:WORD_1
	v_add_u32_e32 v4, v0, v1
	v_lshl_add_u64 v[4:5], v[4:5], 1, s[8:9]
	global_store_short v[4:5], v3, off
.LBB225_19:
	s_or_b64 exec, exec, s[0:1]
	v_add_u32_e32 v1, 64, v2
	v_cmp_gt_u32_e32 vcc, s6, v1
	s_and_saveexec_b64 s[0:1], vcc
	s_cbranch_execz .LBB225_21
; %bb.20:
	v_bfe_u32 v3, v6, 16, 1
	s_movk_i32 s2, 0x7fff
	v_add3_u32 v3, v6, v3, s2
	v_cmp_o_f32_e32 vcc, v6, v6
	v_mov_b32_e32 v4, 0x7fc0
	v_mov_b32_e32 v5, 0
	v_cndmask_b32_sdwa v3, v4, v3, vcc dst_sel:DWORD dst_unused:UNUSED_PAD src0_sel:DWORD src1_sel:WORD_1
	v_add_u32_e32 v4, v0, v1
	v_lshl_add_u64 v[4:5], v[4:5], 1, s[8:9]
	global_store_short v[4:5], v3, off
.LBB225_21:
	s_or_b64 exec, exec, s[0:1]
	v_add_u32_e32 v1, 0x60, v2
	v_cmp_gt_u32_e32 vcc, s6, v1
	s_and_b64 exec, exec, vcc
	s_cbranch_execz .LBB225_23
; %bb.22:
	v_bfe_u32 v2, v7, 16, 1
	s_movk_i32 s0, 0x7fff
	v_add3_u32 v2, v7, v2, s0
	v_cmp_o_f32_e32 vcc, v7, v7
	v_mov_b32_e32 v3, 0x7fc0
	v_add_u32_e32 v0, v0, v1
	v_mov_b32_e32 v1, 0
	v_cndmask_b32_sdwa v2, v3, v2, vcc dst_sel:DWORD dst_unused:UNUSED_PAD src0_sel:DWORD src1_sel:WORD_1
	v_lshl_add_u64 v[0:1], v[0:1], 1, s[8:9]
	global_store_short v[0:1], v2, off
.LBB225_23:
	s_endpgm
	.section	.rodata,"a",@progbits
	.p2align	6, 0x0
	.amdhsa_kernel _ZL8moe_q8_0IN3c108BFloat16ELb0EEvPKvS3_PT_PKiS7_S7_iiiiiii
		.amdhsa_group_segment_fixed_size 20160
		.amdhsa_private_segment_fixed_size 0
		.amdhsa_kernarg_size 76
		.amdhsa_user_sgpr_count 2
		.amdhsa_user_sgpr_dispatch_ptr 0
		.amdhsa_user_sgpr_queue_ptr 0
		.amdhsa_user_sgpr_kernarg_segment_ptr 1
		.amdhsa_user_sgpr_dispatch_id 0
		.amdhsa_user_sgpr_kernarg_preload_length 0
		.amdhsa_user_sgpr_kernarg_preload_offset 0
		.amdhsa_user_sgpr_private_segment_size 0
		.amdhsa_uses_dynamic_stack 0
		.amdhsa_enable_private_segment 0
		.amdhsa_system_sgpr_workgroup_id_x 1
		.amdhsa_system_sgpr_workgroup_id_y 1
		.amdhsa_system_sgpr_workgroup_id_z 0
		.amdhsa_system_sgpr_workgroup_info 0
		.amdhsa_system_vgpr_workitem_id 1
		.amdhsa_next_free_vgpr 115
		.amdhsa_next_free_sgpr 20
		.amdhsa_accum_offset 116
		.amdhsa_reserve_vcc 1
		.amdhsa_float_round_mode_32 0
		.amdhsa_float_round_mode_16_64 0
		.amdhsa_float_denorm_mode_32 3
		.amdhsa_float_denorm_mode_16_64 3
		.amdhsa_dx10_clamp 1
		.amdhsa_ieee_mode 1
		.amdhsa_fp16_overflow 0
		.amdhsa_tg_split 0
		.amdhsa_exception_fp_ieee_invalid_op 0
		.amdhsa_exception_fp_denorm_src 0
		.amdhsa_exception_fp_ieee_div_zero 0
		.amdhsa_exception_fp_ieee_overflow 0
		.amdhsa_exception_fp_ieee_underflow 0
		.amdhsa_exception_fp_ieee_inexact 0
		.amdhsa_exception_int_div_zero 0
	.end_amdhsa_kernel
	.section	.text._ZL8moe_q8_0IN3c108BFloat16ELb0EEvPKvS3_PT_PKiS7_S7_iiiiiii,"axG",@progbits,_ZL8moe_q8_0IN3c108BFloat16ELb0EEvPKvS3_PT_PKiS7_S7_iiiiiii,comdat
.Lfunc_end225:
	.size	_ZL8moe_q8_0IN3c108BFloat16ELb0EEvPKvS3_PT_PKiS7_S7_iiiiiii, .Lfunc_end225-_ZL8moe_q8_0IN3c108BFloat16ELb0EEvPKvS3_PT_PKiS7_S7_iiiiiii
                                        ; -- End function
	.set _ZL8moe_q8_0IN3c108BFloat16ELb0EEvPKvS3_PT_PKiS7_S7_iiiiiii.num_vgpr, 115
	.set _ZL8moe_q8_0IN3c108BFloat16ELb0EEvPKvS3_PT_PKiS7_S7_iiiiiii.num_agpr, 0
	.set _ZL8moe_q8_0IN3c108BFloat16ELb0EEvPKvS3_PT_PKiS7_S7_iiiiiii.numbered_sgpr, 20
	.set _ZL8moe_q8_0IN3c108BFloat16ELb0EEvPKvS3_PT_PKiS7_S7_iiiiiii.num_named_barrier, 0
	.set _ZL8moe_q8_0IN3c108BFloat16ELb0EEvPKvS3_PT_PKiS7_S7_iiiiiii.private_seg_size, 0
	.set _ZL8moe_q8_0IN3c108BFloat16ELb0EEvPKvS3_PT_PKiS7_S7_iiiiiii.uses_vcc, 1
	.set _ZL8moe_q8_0IN3c108BFloat16ELb0EEvPKvS3_PT_PKiS7_S7_iiiiiii.uses_flat_scratch, 0
	.set _ZL8moe_q8_0IN3c108BFloat16ELb0EEvPKvS3_PT_PKiS7_S7_iiiiiii.has_dyn_sized_stack, 0
	.set _ZL8moe_q8_0IN3c108BFloat16ELb0EEvPKvS3_PT_PKiS7_S7_iiiiiii.has_recursion, 0
	.set _ZL8moe_q8_0IN3c108BFloat16ELb0EEvPKvS3_PT_PKiS7_S7_iiiiiii.has_indirect_call, 0
	.section	.AMDGPU.csdata,"",@progbits
; Kernel info:
; codeLenInByte = 2736
; TotalNumSgprs: 26
; NumVgprs: 115
; NumAgprs: 0
; TotalNumVgprs: 115
; ScratchSize: 0
; MemoryBound: 0
; FloatMode: 240
; IeeeMode: 1
; LDSByteSize: 20160 bytes/workgroup (compile time only)
; SGPRBlocks: 3
; VGPRBlocks: 14
; NumSGPRsForWavesPerEU: 26
; NumVGPRsForWavesPerEU: 115
; AccumOffset: 116
; Occupancy: 4
; WaveLimiterHint : 1
; COMPUTE_PGM_RSRC2:SCRATCH_EN: 0
; COMPUTE_PGM_RSRC2:USER_SGPR: 2
; COMPUTE_PGM_RSRC2:TRAP_HANDLER: 0
; COMPUTE_PGM_RSRC2:TGID_X_EN: 1
; COMPUTE_PGM_RSRC2:TGID_Y_EN: 1
; COMPUTE_PGM_RSRC2:TGID_Z_EN: 0
; COMPUTE_PGM_RSRC2:TIDIG_COMP_CNT: 1
; COMPUTE_PGM_RSRC3_GFX90A:ACCUM_OFFSET: 28
; COMPUTE_PGM_RSRC3_GFX90A:TG_SPLIT: 0
	.section	.text._ZL8moe_q8_0IN3c108BFloat16ELb1EEvPKvS3_PT_PKiS7_S7_iiiiiii,"axG",@progbits,_ZL8moe_q8_0IN3c108BFloat16ELb1EEvPKvS3_PT_PKiS7_S7_iiiiiii,comdat
	.globl	_ZL8moe_q8_0IN3c108BFloat16ELb1EEvPKvS3_PT_PKiS7_S7_iiiiiii ; -- Begin function _ZL8moe_q8_0IN3c108BFloat16ELb1EEvPKvS3_PT_PKiS7_S7_iiiiiii
	.p2align	8
	.type	_ZL8moe_q8_0IN3c108BFloat16ELb1EEvPKvS3_PT_PKiS7_S7_iiiiiii,@function
_ZL8moe_q8_0IN3c108BFloat16ELb1EEvPKvS3_PT_PKiS7_S7_iiiiiii: ; @_ZL8moe_q8_0IN3c108BFloat16ELb1EEvPKvS3_PT_PKiS7_S7_iiiiiii
; %bb.0:
	s_load_dwordx4 s[4:7], s[0:1], 0x18
	s_mov_b32 s8, s3
	s_mov_b32 s9, 0
	s_lshl_b64 s[10:11], s[8:9], 2
	s_waitcnt lgkmcnt(0)
	s_add_u32 s6, s6, s10
	s_addc_u32 s7, s7, s11
	s_load_dword s14, s[6:7], 0x0
	s_waitcnt lgkmcnt(0)
	s_cmpk_gt_u32 s14, 0xff
	s_cbranch_scc1 .LBB226_23
; %bb.1:
	s_load_dwordx2 s[6:7], s[0:1], 0x28
	s_lshl_b32 s3, s8, 3
	s_waitcnt lgkmcnt(0)
	s_load_dword s6, s[6:7], 0x0
	s_waitcnt lgkmcnt(0)
	s_cmp_gt_u32 s3, s6
	s_cbranch_scc1 .LBB226_23
; %bb.2:
	v_bfe_u32 v4, v0, 10, 10
	v_mov_b32_e32 v6, s4
	v_mov_b32_e32 v7, s5
	v_add_u32_e32 v2, s3, v4
	v_mov_b32_e32 v3, 0
	v_lshl_add_u64 v[6:7], v[2:3], 2, v[6:7]
	global_load_dword v1, v[6:7], off
	s_load_dwordx8 s[4:11], s[0:1], 0x30
	s_load_dwordx2 s[12:13], s[0:1], 0x10
	s_waitcnt lgkmcnt(0)
	s_lshl_b32 s11, s2, 7
	s_mov_b32 s16, 0
	s_cmp_lt_i32 s5, 32
	s_cbranch_scc1 .LBB226_13
; %bb.3:
	s_ashr_i32 s15, s5, 31
	s_lshr_b32 s15, s15, 27
	s_load_dwordx4 s[0:3], s[0:1], 0x0
	s_add_i32 s15, s5, s15
	s_ashr_i32 s17, s15, 5
	s_ashr_i32 s15, s8, 31
	s_lshr_b32 s15, s15, 27
	s_add_i32 s8, s8, s15
	s_mul_i32 s14, s14, s4
	s_ashr_i32 s8, s8, 5
	s_ashr_i32 s4, s14, 31
	s_waitcnt lgkmcnt(0)
	s_add_u32 s0, s0, s14
	s_addc_u32 s1, s1, s4
	s_mul_i32 s4, s17, s11
	s_mul_hi_i32 s14, s4, 34
	s_mul_i32 s4, s4, 34
	s_add_u32 s4, s0, s4
	s_addc_u32 s18, s1, s14
	s_not_b32 s0, s11
	s_add_i32 s6, s6, s0
	v_add_u32_e32 v5, 8, v4
	v_min_i32_e32 v45, s6, v5
	v_add_u32_e32 v5, 16, v4
	v_min_i32_e32 v47, s6, v5
	;; [unrolled: 2-line block ×15, first 2 shown]
	v_bfe_u32 v5, v0, 2, 8
	v_and_b32_e32 v9, 0x3ff, v0
	v_lshl_add_u32 v5, v4, 3, v5
	v_lshlrev_b32_e32 v6, 2, v9
	v_min_i32_e32 v44, s6, v4
	s_movk_i32 s14, 0x84
	v_min_i32_e32 v75, s6, v5
	v_add_u32_e32 v5, 64, v5
	v_mad_u64_u32 v[10:11], s[0:1], v44, s14, v[6:7]
	v_mad_u64_u32 v[12:13], s[0:1], v45, s14, v[6:7]
	;; [unrolled: 1-line block ×10, first 2 shown]
	v_min_i32_e32 v77, s6, v5
	v_ashrrev_i32_e32 v7, 31, v75
	v_ashrrev_i32_e32 v5, 31, v77
	s_abs_i32 s1, s10
	v_lshrrev_b32_e32 v7, 29, v7
	v_lshrrev_b32_e32 v5, 29, v5
	v_cvt_f32_u32_e32 v13, s1
	v_add_u32_e32 v7, v75, v7
	v_add_u32_e32 v5, v77, v5
	v_and_b32_e32 v30, 3, v0
	v_ashrrev_i32_e32 v7, 3, v7
	v_ashrrev_i32_e32 v5, 3, v5
	v_lshlrev_b32_e32 v7, 2, v7
	v_lshlrev_b32_e32 v11, 2, v30
	s_movk_i32 s0, 0x4200
	v_lshlrev_b32_e32 v5, 2, v5
	v_add3_u32 v7, v7, v11, s0
	v_add3_u32 v5, v5, v11, s0
	v_rcp_iflag_f32_e32 v11, v13
	s_sub_i32 s6, 0, s1
	s_waitcnt vmcnt(0)
	v_sub_u32_e32 v19, 0, v1
	v_max_i32_e32 v19, v1, v19
	v_mul_f32_e32 v11, 0x4f7ffffe, v11
	v_cvt_u32_f32_e32 v11, v11
	v_xor_b32_e32 v23, s10, v1
	v_ashrrev_i32_e32 v23, 31, v23
	v_add_u32_e32 v17, 0x60, v9
	v_mul_lo_u32 v21, s6, v11
	v_mul_hi_u32 v21, v11, v21
	v_add_u32_e32 v11, v11, v21
	v_mul_hi_u32 v11, v19, v11
	v_mul_lo_u32 v21, v11, s1
	v_sub_u32_e32 v19, v19, v21
	v_add_u32_e32 v21, 1, v11
	v_cmp_le_u32_e32 vcc, s1, v19
	v_add_u32_e32 v13, 64, v9
	v_add_u32_e32 v15, 32, v9
	v_cndmask_b32_e32 v11, v11, v21, vcc
	v_subrev_u32_e32 v21, s1, v19
	v_cndmask_b32_e32 v19, v19, v21, vcc
	v_add_u32_e32 v21, 1, v11
	v_cmp_le_u32_e32 vcc, s1, v19
	v_lshlrev_b32_e32 v19, 4, v9
	s_movk_i32 s1, 0x4800
	v_cndmask_b32_e32 v11, v11, v21, vcc
	v_xor_b32_e32 v11, v11, v23
	v_sub_u32_e32 v27, v11, v23
	v_lshrrev_b32_e32 v11, 1, v17
	v_and_b32_e32 v11, 0xfc, v11
	v_lshrrev_b32_e32 v13, 1, v13
	v_bfe_u32 v8, v0, 3, 7
	v_add3_u32 v11, v19, v11, s1
	v_and_b32_e32 v13, 0xfc, v13
	s_movk_i32 s1, 0x4600
	v_lshrrev_b32_e32 v15, 1, v15
	v_add3_u32 v13, v19, v13, s1
	v_and_b32_e32 v15, 0xfc, v15
	s_movk_i32 s1, 0x4400
	v_lshlrev_b32_e32 v17, 2, v8
	v_add3_u32 v15, v19, v15, s1
	v_add3_u32 v17, v19, v17, s0
	v_lshlrev_b32_e32 v19, 4, v75
	v_add_u32_e32 v19, v7, v19
	v_lshlrev_b32_e32 v7, 4, v77
	v_and_b32_e32 v2, 28, v6
	v_add_u32_e32 v21, v5, v7
	v_add_u32_e32 v5, 0x4e40, v6
	v_mad_u64_u32 v[32:33], s[0:1], v63, s14, v[6:7]
	v_mad_u64_u32 v[34:35], s[0:1], v65, s14, v[6:7]
	;; [unrolled: 1-line block ×6, first 2 shown]
	v_mov_b32_e32 v6, 0x4a40
	v_lshl_add_u32 v23, v4, 7, v6
	v_and_b32_e32 v6, 31, v0
	v_cmp_gt_u32_e64 s[0:1], 4, v9
	v_lshlrev_b32_e32 v4, 4, v4
	v_cmp_gt_i32_e32 vcc, s7, v27
	v_lshl_add_u32 v25, v6, 2, v23
	v_mul_lo_u32 v27, v27, s8
	s_and_b64 s[14:15], s[0:1], vcc
	v_add_u32_e32 v29, v5, v4
	v_add_u32_e32 v31, 0x4e40, v4
	v_mov_b32_e32 v4, v3
	v_mov_b32_e32 v5, v3
	v_mov_b32_e32 v6, v3
	v_mov_b32_e32 v7, v3
	v_mul_lo_u32 v44, v44, s17
	v_mul_lo_u32 v46, v45, s17
	;; [unrolled: 1-line block ×18, first 2 shown]
	v_mul_u32_u24_e32 v33, 0x84, v9
	v_lshl_add_u64 v[80:81], s[2:3], 0, v[2:3]
	s_branch .LBB226_5
.LBB226_4:                              ;   in Loop: Header=BB226_5 Depth=1
	s_add_i32 s16, s16, 4
	s_cmp_ge_i32 s16, s17
	s_cbranch_scc1 .LBB226_14
.LBB226_5:                              ; =>This Loop Header: Depth=1
                                        ;     Child Loop BB226_11 Depth 2
	s_mul_i32 s0, s16, 34
	s_mul_hi_u32 s1, s16, 34
	s_add_u32 s0, s4, s0
	s_addc_u32 s1, s18, s1
	v_mad_u64_u32 v[82:83], s[20:21], v8, 34, s[0:1]
	v_mad_i64_i32 v[84:85], s[20:21], v44, 34, v[82:83]
	v_mad_i64_i32 v[86:87], s[20:21], v46, 34, v[82:83]
	;; [unrolled: 1-line block ×7, first 2 shown]
	v_lshl_add_u64 v[84:85], v[84:85], 0, v[2:3]
	v_lshl_add_u64 v[86:87], v[86:87], 0, v[2:3]
	;; [unrolled: 1-line block ×7, first 2 shown]
	v_mad_i64_i32 v[98:99], s[20:21], v58, 34, v[82:83]
	v_lshl_add_u64 v[98:99], v[98:99], 0, v[2:3]
	global_load_dword v35, v[84:85], off offset:2
	global_load_dword v37, v[86:87], off offset:2
	;; [unrolled: 1-line block ×8, first 2 shown]
	v_mad_i64_i32 v[84:85], s[20:21], v60, 34, v[82:83]
	v_mad_i64_i32 v[86:87], s[20:21], v62, 34, v[82:83]
	;; [unrolled: 1-line block ×8, first 2 shown]
	v_lshl_add_u64 v[84:85], v[84:85], 0, v[2:3]
	v_lshl_add_u64 v[82:83], v[82:83], 0, v[2:3]
	;; [unrolled: 1-line block ×8, first 2 shown]
	global_load_dword v51, v[84:85], off offset:2
	global_load_dword v53, v[86:87], off offset:2
	;; [unrolled: 1-line block ×8, first 2 shown]
	v_mad_u64_u32 v[82:83], s[0:1], v30, 34, s[0:1]
	v_mad_i64_i32 v[84:85], s[0:1], v76, 34, v[82:83]
	v_mad_i64_i32 v[82:83], s[0:1], v78, 34, v[82:83]
	global_load_ushort v67, v[84:85], off
	global_load_ushort v69, v[82:83], off
	s_lshl_b32 s0, s16, 5
	s_cmp_ge_i32 s0, s5
	s_waitcnt vmcnt(17)
	ds_write_b32 v10, v35
	s_waitcnt vmcnt(16)
	ds_write_b32 v12, v37
	;; [unrolled: 2-line block ×16, first 2 shown]
	s_waitcnt vmcnt(1)
	v_cvt_f32_f16_e32 v35, v67
	s_waitcnt vmcnt(0)
	v_cvt_f32_f16_e32 v37, v69
	ds_write_b32 v19, v35
	ds_write_b32 v21, v37
	s_cbranch_scc1 .LBB226_4
; %bb.6:                                ;   in Loop: Header=BB226_5 Depth=1
	v_add_u32_e32 v35, s16, v8
	v_cmp_gt_i32_e64 s[0:1], s8, v35
	s_and_b64 s[20:21], vcc, s[0:1]
	s_and_saveexec_b64 s[0:1], s[20:21]
	s_cbranch_execz .LBB226_8
; %bb.7:                                ;   in Loop: Header=BB226_5 Depth=1
	v_add_u32_e32 v35, v27, v35
	v_mad_i64_i32 v[82:83], s[20:21], v35, 36, v[80:81]
	global_load_dword v35, v[82:83], off offset:4
	s_waitcnt vmcnt(0)
	ds_write_b32 v25, v35
.LBB226_8:                              ;   in Loop: Header=BB226_5 Depth=1
	s_or_b64 exec, exec, s[0:1]
	v_or_b32_e32 v35, s16, v9
	v_cmp_gt_i32_e64 s[0:1], s8, v35
	s_and_b64 s[20:21], s[14:15], s[0:1]
	s_and_saveexec_b64 s[0:1], s[20:21]
	s_cbranch_execz .LBB226_10
; %bb.9:                                ;   in Loop: Header=BB226_5 Depth=1
	v_add_u32_e32 v35, v27, v35
	v_mad_i64_i32 v[82:83], s[20:21], v35, 36, s[2:3]
	global_load_dword v35, v[82:83], off
	s_waitcnt vmcnt(0)
	v_cvt_f32_f16_e32 v35, v35
	ds_write_b32 v29, v35
.LBB226_10:                             ;   in Loop: Header=BB226_5 Depth=1
	s_or_b64 exec, exec, s[0:1]
	s_mov_b32 s0, -8
	v_mov_b32_e32 v35, v23
	v_mov_b32_e32 v37, v31
	;; [unrolled: 1-line block ×7, first 2 shown]
	s_waitcnt lgkmcnt(0)
	s_barrier
.LBB226_11:                             ;   Parent Loop BB226_5 Depth=1
                                        ; =>  This Inner Loop Header: Depth=2
	ds_read_b128 v[82:85], v35
	ds_read_b128 v[86:89], v35 offset:16
	v_add_u32_e32 v51, 0x1080, v47
	ds_read2_b32 v[90:91], v47 offset0:2 offset1:3
	ds_read2_b32 v[92:93], v47 offset0:4 offset1:5
	;; [unrolled: 1-line block ×3, first 2 shown]
	v_add_u32_e32 v55, 0x1088, v47
	v_add_u32_e32 v57, 0x1090, v47
	;; [unrolled: 1-line block ×8, first 2 shown]
	ds_read_b32 v96, v37
	ds_read_b32 v98, v39
	ds_read2_b32 v[100:101], v47 offset1:1
	ds_read_b32 v99, v41
	ds_read_b32 v102, v43
	;; [unrolled: 1-line block ×3, first 2 shown]
	v_add_u32_e32 v75, 0x3188, v47
	v_add_u32_e32 v77, 0x3190, v47
	;; [unrolled: 1-line block ×3, first 2 shown]
	ds_read2_b32 v[104:105], v51 offset1:1
	ds_read2_b32 v[106:107], v55 offset1:1
	;; [unrolled: 1-line block ×12, first 2 shown]
	v_mov_b32_e32 v49, 0
	v_mov_b32_e32 v53, 0
	;; [unrolled: 1-line block ×4, first 2 shown]
	s_waitcnt lgkmcnt(14)
	v_dot4c_i32_i8_e32 v49, v100, v82
	s_waitcnt lgkmcnt(11)
	v_dot4c_i32_i8_e32 v53, v104, v82
	;; [unrolled: 2-line block ×4, first 2 shown]
	v_dot4c_i32_i8_e32 v49, v101, v83
	v_dot4c_i32_i8_e32 v53, v105, v83
	v_dot4c_i32_i8_e32 v63, v113, v83
	v_dot4c_i32_i8_e32 v73, v121, v83
	v_dot4c_i32_i8_e32 v49, v90, v84
	v_dot4c_i32_i8_e32 v53, v106, v84
	v_dot4c_i32_i8_e32 v63, v114, v84
	s_waitcnt lgkmcnt(2)
	v_dot4c_i32_i8_e32 v73, v122, v84
	v_dot4c_i32_i8_e32 v49, v91, v85
	v_dot4c_i32_i8_e32 v53, v107, v85
	v_dot4c_i32_i8_e32 v63, v115, v85
	v_dot4c_i32_i8_e32 v73, v123, v85
	v_dot4c_i32_i8_e32 v49, v92, v86
	v_dot4c_i32_i8_e32 v53, v108, v86
	v_dot4c_i32_i8_e32 v63, v116, v86
	s_waitcnt lgkmcnt(1)
	v_dot4c_i32_i8_e32 v73, v124, v86
	;; [unrolled: 9-line block ×3, first 2 shown]
	v_dot4c_i32_i8_e32 v49, v95, v89
	v_dot4c_i32_i8_e32 v53, v111, v89
	;; [unrolled: 1-line block ×4, first 2 shown]
	v_cvt_f32_i32_e32 v82, v49
	v_cvt_f32_i32_e32 v83, v53
	;; [unrolled: 1-line block ×4, first 2 shown]
	s_add_i32 s0, s0, 8
	v_pk_mul_f32 v[86:87], v[96:97], v[98:99] op_sel_hi:[0,1]
	v_pk_mul_f32 v[88:89], v[96:97], v[102:103] op_sel_hi:[0,1]
	v_add_u32_e32 v47, 32, v47
	v_add_u32_e32 v45, 4, v45
	;; [unrolled: 1-line block ×7, first 2 shown]
	s_cmp_lt_u32 s0, 24
	v_pk_fma_f32 v[6:7], v[88:89], v[84:85], v[6:7]
	v_pk_fma_f32 v[4:5], v[86:87], v[82:83], v[4:5]
	s_cbranch_scc1 .LBB226_11
; %bb.12:                               ;   in Loop: Header=BB226_5 Depth=1
	s_barrier
	s_branch .LBB226_4
.LBB226_13:
	v_mov_b32_e32 v4, v3
	v_mov_b32_e32 v5, v3
	;; [unrolled: 1-line block ×3, first 2 shown]
	v_mov_b64_e32 v[6:7], v[4:5]
	v_mov_b64_e32 v[4:5], v[2:3]
.LBB226_14:
	s_mul_i32 s0, s10, s7
	s_waitcnt vmcnt(0)
	v_cmp_gt_i32_e32 vcc, s0, v1
	s_and_saveexec_b64 s[0:1], vcc
	s_cbranch_execz .LBB226_23
; %bb.15:
	v_and_b32_e32 v0, 0x3ff, v0
	v_add_u32_e32 v2, s11, v0
	v_mul_lo_u32 v0, v1, s9
	v_cmp_gt_u32_e32 vcc, s9, v2
	s_and_saveexec_b64 s[0:1], vcc
	s_cbranch_execz .LBB226_17
; %bb.16:
	v_bfe_u32 v1, v4, 16, 1
	s_movk_i32 s2, 0x7fff
	v_add3_u32 v1, v4, v1, s2
	v_cmp_o_f32_e32 vcc, v4, v4
	v_mov_b32_e32 v3, 0x7fc0
	v_add_u32_e32 v8, v0, v2
	v_mov_b32_e32 v9, 0
	v_cndmask_b32_sdwa v1, v3, v1, vcc dst_sel:DWORD dst_unused:UNUSED_PAD src0_sel:DWORD src1_sel:WORD_1
	v_lshl_add_u64 v[8:9], v[8:9], 1, s[12:13]
	global_store_short v[8:9], v1, off
.LBB226_17:
	s_or_b64 exec, exec, s[0:1]
	v_add_u32_e32 v1, 32, v2
	v_cmp_gt_u32_e32 vcc, s9, v1
	s_and_saveexec_b64 s[0:1], vcc
	s_cbranch_execz .LBB226_19
; %bb.18:
	v_bfe_u32 v3, v5, 16, 1
	s_movk_i32 s2, 0x7fff
	v_add3_u32 v3, v5, v3, s2
	v_cmp_o_f32_e32 vcc, v5, v5
	v_mov_b32_e32 v4, 0x7fc0
	v_mov_b32_e32 v5, 0
	v_cndmask_b32_sdwa v3, v4, v3, vcc dst_sel:DWORD dst_unused:UNUSED_PAD src0_sel:DWORD src1_sel:WORD_1
	v_add_u32_e32 v4, v0, v1
	v_lshl_add_u64 v[4:5], v[4:5], 1, s[12:13]
	global_store_short v[4:5], v3, off
.LBB226_19:
	s_or_b64 exec, exec, s[0:1]
	v_add_u32_e32 v1, 64, v2
	v_cmp_gt_u32_e32 vcc, s9, v1
	s_and_saveexec_b64 s[0:1], vcc
	s_cbranch_execz .LBB226_21
; %bb.20:
	v_bfe_u32 v3, v6, 16, 1
	s_movk_i32 s2, 0x7fff
	v_add3_u32 v3, v6, v3, s2
	v_cmp_o_f32_e32 vcc, v6, v6
	v_mov_b32_e32 v4, 0x7fc0
	v_mov_b32_e32 v5, 0
	v_cndmask_b32_sdwa v3, v4, v3, vcc dst_sel:DWORD dst_unused:UNUSED_PAD src0_sel:DWORD src1_sel:WORD_1
	v_add_u32_e32 v4, v0, v1
	v_lshl_add_u64 v[4:5], v[4:5], 1, s[12:13]
	global_store_short v[4:5], v3, off
.LBB226_21:
	s_or_b64 exec, exec, s[0:1]
	v_add_u32_e32 v1, 0x60, v2
	v_cmp_gt_u32_e32 vcc, s9, v1
	s_and_b64 exec, exec, vcc
	s_cbranch_execz .LBB226_23
; %bb.22:
	v_bfe_u32 v2, v7, 16, 1
	s_movk_i32 s0, 0x7fff
	v_add3_u32 v2, v7, v2, s0
	v_cmp_o_f32_e32 vcc, v7, v7
	v_mov_b32_e32 v3, 0x7fc0
	v_add_u32_e32 v0, v0, v1
	v_mov_b32_e32 v1, 0
	v_cndmask_b32_sdwa v2, v3, v2, vcc dst_sel:DWORD dst_unused:UNUSED_PAD src0_sel:DWORD src1_sel:WORD_1
	v_lshl_add_u64 v[0:1], v[0:1], 1, s[12:13]
	global_store_short v[0:1], v2, off
.LBB226_23:
	s_endpgm
	.section	.rodata,"a",@progbits
	.p2align	6, 0x0
	.amdhsa_kernel _ZL8moe_q8_0IN3c108BFloat16ELb1EEvPKvS3_PT_PKiS7_S7_iiiiiii
		.amdhsa_group_segment_fixed_size 20160
		.amdhsa_private_segment_fixed_size 0
		.amdhsa_kernarg_size 76
		.amdhsa_user_sgpr_count 2
		.amdhsa_user_sgpr_dispatch_ptr 0
		.amdhsa_user_sgpr_queue_ptr 0
		.amdhsa_user_sgpr_kernarg_segment_ptr 1
		.amdhsa_user_sgpr_dispatch_id 0
		.amdhsa_user_sgpr_kernarg_preload_length 0
		.amdhsa_user_sgpr_kernarg_preload_offset 0
		.amdhsa_user_sgpr_private_segment_size 0
		.amdhsa_uses_dynamic_stack 0
		.amdhsa_enable_private_segment 0
		.amdhsa_system_sgpr_workgroup_id_x 1
		.amdhsa_system_sgpr_workgroup_id_y 1
		.amdhsa_system_sgpr_workgroup_id_z 0
		.amdhsa_system_sgpr_workgroup_info 0
		.amdhsa_system_vgpr_workitem_id 1
		.amdhsa_next_free_vgpr 128
		.amdhsa_next_free_sgpr 22
		.amdhsa_accum_offset 128
		.amdhsa_reserve_vcc 1
		.amdhsa_float_round_mode_32 0
		.amdhsa_float_round_mode_16_64 0
		.amdhsa_float_denorm_mode_32 3
		.amdhsa_float_denorm_mode_16_64 3
		.amdhsa_dx10_clamp 1
		.amdhsa_ieee_mode 1
		.amdhsa_fp16_overflow 0
		.amdhsa_tg_split 0
		.amdhsa_exception_fp_ieee_invalid_op 0
		.amdhsa_exception_fp_denorm_src 0
		.amdhsa_exception_fp_ieee_div_zero 0
		.amdhsa_exception_fp_ieee_overflow 0
		.amdhsa_exception_fp_ieee_underflow 0
		.amdhsa_exception_fp_ieee_inexact 0
		.amdhsa_exception_int_div_zero 0
	.end_amdhsa_kernel
	.section	.text._ZL8moe_q8_0IN3c108BFloat16ELb1EEvPKvS3_PT_PKiS7_S7_iiiiiii,"axG",@progbits,_ZL8moe_q8_0IN3c108BFloat16ELb1EEvPKvS3_PT_PKiS7_S7_iiiiiii,comdat
.Lfunc_end226:
	.size	_ZL8moe_q8_0IN3c108BFloat16ELb1EEvPKvS3_PT_PKiS7_S7_iiiiiii, .Lfunc_end226-_ZL8moe_q8_0IN3c108BFloat16ELb1EEvPKvS3_PT_PKiS7_S7_iiiiiii
                                        ; -- End function
	.set _ZL8moe_q8_0IN3c108BFloat16ELb1EEvPKvS3_PT_PKiS7_S7_iiiiiii.num_vgpr, 128
	.set _ZL8moe_q8_0IN3c108BFloat16ELb1EEvPKvS3_PT_PKiS7_S7_iiiiiii.num_agpr, 0
	.set _ZL8moe_q8_0IN3c108BFloat16ELb1EEvPKvS3_PT_PKiS7_S7_iiiiiii.numbered_sgpr, 22
	.set _ZL8moe_q8_0IN3c108BFloat16ELb1EEvPKvS3_PT_PKiS7_S7_iiiiiii.num_named_barrier, 0
	.set _ZL8moe_q8_0IN3c108BFloat16ELb1EEvPKvS3_PT_PKiS7_S7_iiiiiii.private_seg_size, 0
	.set _ZL8moe_q8_0IN3c108BFloat16ELb1EEvPKvS3_PT_PKiS7_S7_iiiiiii.uses_vcc, 1
	.set _ZL8moe_q8_0IN3c108BFloat16ELb1EEvPKvS3_PT_PKiS7_S7_iiiiiii.uses_flat_scratch, 0
	.set _ZL8moe_q8_0IN3c108BFloat16ELb1EEvPKvS3_PT_PKiS7_S7_iiiiiii.has_dyn_sized_stack, 0
	.set _ZL8moe_q8_0IN3c108BFloat16ELb1EEvPKvS3_PT_PKiS7_S7_iiiiiii.has_recursion, 0
	.set _ZL8moe_q8_0IN3c108BFloat16ELb1EEvPKvS3_PT_PKiS7_S7_iiiiiii.has_indirect_call, 0
	.section	.AMDGPU.csdata,"",@progbits
; Kernel info:
; codeLenInByte = 2964
; TotalNumSgprs: 28
; NumVgprs: 128
; NumAgprs: 0
; TotalNumVgprs: 128
; ScratchSize: 0
; MemoryBound: 0
; FloatMode: 240
; IeeeMode: 1
; LDSByteSize: 20160 bytes/workgroup (compile time only)
; SGPRBlocks: 3
; VGPRBlocks: 15
; NumSGPRsForWavesPerEU: 28
; NumVGPRsForWavesPerEU: 128
; AccumOffset: 128
; Occupancy: 4
; WaveLimiterHint : 1
; COMPUTE_PGM_RSRC2:SCRATCH_EN: 0
; COMPUTE_PGM_RSRC2:USER_SGPR: 2
; COMPUTE_PGM_RSRC2:TRAP_HANDLER: 0
; COMPUTE_PGM_RSRC2:TGID_X_EN: 1
; COMPUTE_PGM_RSRC2:TGID_Y_EN: 1
; COMPUTE_PGM_RSRC2:TGID_Z_EN: 0
; COMPUTE_PGM_RSRC2:TIDIG_COMP_CNT: 1
; COMPUTE_PGM_RSRC3_GFX90A:ACCUM_OFFSET: 31
; COMPUTE_PGM_RSRC3_GFX90A:TG_SPLIT: 0
	.section	.text._ZL8moe_q2_KIN3c108BFloat16ELb0EEvPKvS3_PT_PKiS7_S7_iiiiiii,"axG",@progbits,_ZL8moe_q2_KIN3c108BFloat16ELb0EEvPKvS3_PT_PKiS7_S7_iiiiiii,comdat
	.globl	_ZL8moe_q2_KIN3c108BFloat16ELb0EEvPKvS3_PT_PKiS7_S7_iiiiiii ; -- Begin function _ZL8moe_q2_KIN3c108BFloat16ELb0EEvPKvS3_PT_PKiS7_S7_iiiiiii
	.p2align	8
	.type	_ZL8moe_q2_KIN3c108BFloat16ELb0EEvPKvS3_PT_PKiS7_S7_iiiiiii,@function
_ZL8moe_q2_KIN3c108BFloat16ELb0EEvPKvS3_PT_PKiS7_S7_iiiiiii: ; @_ZL8moe_q2_KIN3c108BFloat16ELb0EEvPKvS3_PT_PKiS7_S7_iiiiiii
; %bb.0:
	s_load_dwordx4 s[4:7], s[0:1], 0x18
	s_mov_b32 s8, s3
	s_mov_b32 s9, 0
	s_lshl_b64 s[10:11], s[8:9], 2
	s_waitcnt lgkmcnt(0)
	s_add_u32 s6, s6, s10
	s_addc_u32 s7, s7, s11
	s_load_dword s3, s[6:7], 0x0
	s_waitcnt lgkmcnt(0)
	s_cmpk_gt_u32 s3, 0xff
	s_cbranch_scc1 .LBB227_46
; %bb.1:
	s_load_dwordx2 s[6:7], s[0:1], 0x28
	s_waitcnt lgkmcnt(0)
	s_load_dword s7, s[6:7], 0x0
	s_lshl_b32 s6, s8, 3
	s_waitcnt lgkmcnt(0)
	s_cmp_gt_u32 s6, s7
	s_cbranch_scc1 .LBB227_46
; %bb.2:
	v_bfe_u32 v2, v0, 10, 10
	v_mov_b32_e32 v4, s4
	v_mov_b32_e32 v5, s5
	v_add_u32_e32 v26, s6, v2
	v_mov_b32_e32 v27, 0
	v_lshl_add_u64 v[4:5], v[26:27], 2, v[4:5]
	global_load_dword v1, v[4:5], off
	s_load_dwordx2 s[14:15], s[0:1], 0x30
	s_load_dwordx2 s[12:13], s[0:1], 0x10
	s_load_dwordx4 s[4:7], s[0:1], 0x3c
	s_lshl_b32 s18, s2, 7
	v_mov_b32_e32 v26, v27
	s_waitcnt lgkmcnt(0)
	s_cmpk_lt_i32 s15, 0x100
	v_mov_b32_e32 v29, v27
	v_mov_b32_e32 v28, v27
	s_cbranch_scc1 .LBB227_37
; %bb.3:
	s_load_dwordx4 s[8:11], s[0:1], 0x0
	s_ashr_i32 s0, s15, 31
	s_lshr_b32 s0, s0, 24
	s_add_i32 s0, s15, s0
	s_ashr_i32 s19, s0, 8
	s_ashr_i32 s0, s5, 31
	s_lshr_b32 s0, s0, 27
	s_add_i32 s0, s5, s0
	s_mul_i32 s3, s3, s14
	s_ashr_i32 s5, s0, 5
	s_ashr_i32 s0, s3, 31
	s_waitcnt lgkmcnt(0)
	s_add_u32 s1, s8, s3
	s_mul_i32 s2, s19, s18
	s_addc_u32 s0, s9, s0
	s_mul_hi_i32 s3, s2, 0x54
	s_mulk_i32 s2, 0x54
	s_add_u32 s20, s1, s2
	s_addc_u32 s21, s0, s3
	s_abs_i32 s3, s7
	v_cvt_f32_u32_e32 v31, s3
	s_lshl_b32 s2, s19, 3
	v_mov_b32_e32 v4, s2
	v_mad_i32_i24 v14, s19, v2, v4
	v_lshlrev_b32_e32 v6, 4, v2
	v_bfe_u32 v4, v0, 1, 9
	v_and_b32_e32 v13, 0x3ff, v0
	v_and_b32_e32 v16, 1, v0
	v_add_u32_e32 v4, v4, v6
	v_rcp_iflag_f32_e32 v31, v31
	v_lshlrev_b32_e32 v3, 2, v13
	s_movk_i32 s0, 0x84
	v_and_b32_e32 v5, 0x7f, v4
	v_lshlrev_b32_e32 v7, 2, v16
	v_lshrrev_b32_e32 v4, 2, v4
	v_mad_u32_u24 v15, v2, s0, v3
	v_mul_i32_i24_e32 v18, s19, v5
	v_lshl_or_b32 v5, v5, 3, v7
	v_and_b32_e32 v4, 28, v4
	s_movk_i32 s0, 0x5280
	v_bfe_u32 v19, v0, 3, 7
	v_add3_u32 v17, v5, v4, s0
	v_lshl_add_u32 v4, v2, 2, v19
	v_and_b32_e32 v7, 7, v0
	v_and_b32_e32 v5, 0x1ffc, v4
	v_lshlrev_b32_e32 v8, 2, v7
	s_movk_i32 s0, 0x4200
	s_lshl_b32 s16, s19, 5
	v_mul_f32_e32 v31, 0x4f7ffffe, v31
	v_add3_u32 v9, v5, v8, s0
	v_add_u32_e32 v5, 32, v4
	v_mov_b32_e32 v23, s16
	v_cvt_u32_f32_e32 v31, v31
	v_mul_i32_i24_e32 v22, s19, v4
	v_lshlrev_b32_e32 v26, 5, v4
	v_mad_i32_i24 v24, s19, v4, v23
	v_and_b32_e32 v23, 0x3ffc, v5
	v_lshlrev_b32_e32 v28, 5, v5
	v_add_u32_e32 v5, 64, v4
	v_add_u32_e32 v4, 0x60, v4
	v_add3_u32 v27, v23, v8, s0
	v_and_b32_e32 v23, 0x3ffc, v5
	v_lshlrev_b32_e32 v34, 5, v5
	v_and_b32_e32 v5, 0x3ffc, v4
	v_add3_u32 v29, v23, v8, s0
	v_add3_u32 v8, v5, v8, s0
	v_lshlrev_b32_e32 v36, 5, v4
	v_add_u32_e32 v35, 0x5aa0, v6
	v_add_u32_e32 v6, 32, v13
	s_sub_i32 s0, 0, s3
	v_lshlrev_b32_e32 v38, 1, v6
	v_mul_lo_u32 v45, s0, v31
	v_add_u32_e32 v61, v8, v36
	v_add_u32_e32 v36, s2, v14
	v_lshrrev_b32_e32 v40, 4, v6
	v_add_u32_e32 v30, 64, v13
	s_waitcnt vmcnt(0)
	v_sub_u32_e32 v33, 0, v1
	v_mul_hi_u32 v45, v31, v45
	v_lshlrev_b32_e32 v67, 2, v38
	v_add_u32_e32 v38, s2, v36
	v_lshlrev_b32_e32 v42, 1, v30
	v_max_i32_e32 v33, v1, v33
	v_add_u32_e32 v31, v31, v45
	v_lshlrev_b32_e32 v65, 2, v40
	v_add_u32_e32 v40, s2, v38
	v_lshrrev_b32_e32 v44, 4, v30
	v_add_u32_e32 v32, 0x60, v13
	v_mul_hi_u32 v31, v33, v31
	v_lshlrev_b32_e32 v73, 2, v42
	v_add_u32_e32 v42, s2, v40
	v_lshlrev_b32_e32 v46, 1, v32
	v_mul_lo_u32 v45, v31, s3
	v_lshlrev_b32_e32 v69, 2, v44
	v_add_u32_e32 v44, s2, v42
	v_lshrrev_b32_e32 v48, 4, v32
	v_sub_u32_e32 v33, v33, v45
	v_lshlrev_b32_e32 v75, 2, v46
	v_add_u32_e32 v46, s2, v44
	v_add_u32_e32 v45, 1, v31
	v_cmp_le_u32_e64 s[0:1], s3, v33
	v_lshlrev_b32_e32 v74, 2, v48
	v_add_u32_e32 v48, s2, v46
	v_cndmask_b32_e64 v31, v31, v45, s[0:1]
	v_subrev_u32_e32 v45, s3, v33
	v_add_u32_e32 v50, s2, v48
	v_cndmask_b32_e64 v33, v33, v45, s[0:1]
	v_add_u32_e32 v52, s2, v50
	v_add_u32_e32 v45, 1, v31
	v_xor_b32_e32 v47, s7, v1
	v_cmp_le_u32_e64 s[0:1], s3, v33
	v_add_u32_e32 v54, s2, v52
	v_ashrrev_i32_e32 v47, 31, v47
	v_cndmask_b32_e64 v31, v31, v45, s[0:1]
	v_add_u32_e32 v56, s2, v54
	v_lshrrev_b32_e32 v39, 3, v6
	v_xor_b32_e32 v31, v31, v47
	v_lshlrev_b32_e32 v33, 5, v13
	v_and_b32_e32 v6, 0x1fc, v6
	v_add_u32_e32 v58, s2, v56
	v_mov_b32_e32 v11, 0
	v_mov_b32_e32 v23, 0x56a0
	v_sub_u32_e32 v31, v31, v47
	v_add_u32_e32 v47, v33, v6
	v_and_b32_e32 v6, 0x1fc, v30
	v_add_u32_e32 v60, s2, v58
	v_and_b32_e32 v10, 60, v3
	v_mul_i32_i24_e32 v12, s19, v2
	v_and_b32_e32 v20, 12, v3
	v_and_b32_e32 v25, 31, v0
	;; [unrolled: 1-line block ×3, first 2 shown]
	v_mov_b32_e32 v5, v11
	v_lshl_add_u32 v23, v2, 7, v23
	v_cmp_gt_u32_e32 vcc, 4, v13
	v_add_u32_e32 v37, v35, v3
	v_mul_u32_u24_e32 v2, 33, v13
	v_lshlrev_b32_e32 v3, 1, v13
	v_lshrrev_b32_e32 v41, 3, v30
	v_cmp_gt_i32_e64 s[0:1], s4, v31
	v_and_b32_e32 v45, 0xfc, v0
	v_add_u32_e32 v49, v33, v6
	v_and_b32_e32 v6, 0x1fc, v32
	v_mul_lo_u32 v30, v31, s5
	v_add_u32_e32 v59, v29, v34
	v_bfe_u32 v34, v0, 4, 6
	v_add_u32_e32 v62, s2, v60
	v_cmp_lt_u32_e64 s[2:3], 3, v7
	v_add_u32_e32 v66, s16, v24
	s_movk_i32 s14, 0x54
	s_mov_b32 s22, 0
	v_mov_b32_e32 v21, v11
	v_lshl_add_u32 v25, v25, 2, v23
	v_lshrrev_b32_e32 v43, 3, v32
	v_add_u32_e32 v45, v33, v45
	v_add_u32_e32 v51, v33, v6
	v_lshl_add_u64 v[32:33], s[10:11], 0, v[4:5]
	s_and_b64 s[8:9], vcc, s[0:1]
	v_lshlrev_b32_e32 v53, 2, v2
	v_ashrrev_i32_e32 v31, 31, v30
	v_add_u32_e32 v55, v9, v26
	v_add_u32_e32 v57, v27, v28
	v_lshlrev_b32_e32 v63, 2, v3
	s_mov_b32 s23, 0x1010101
	v_mov_b32_e32 v28, v11
	v_mov_b32_e32 v29, v11
	;; [unrolled: 1-line block ×4, first 2 shown]
	v_lshlrev_b32_e32 v76, 2, v34
	v_mov_b32_e32 v77, 4
	v_mov_b32_e32 v78, 15
	v_cndmask_b32_e64 v64, 0, 1, s[2:3]
	v_add_u32_e32 v68, s16, v66
	s_branch .LBB227_5
.LBB227_4:                              ;   in Loop: Header=BB227_5 Depth=1
	s_add_i32 s22, s22, 2
	s_cmp_ge_i32 s22, s19
	s_cbranch_scc1 .LBB227_37
.LBB227_5:                              ; =>This Loop Header: Depth=1
                                        ;     Child Loop BB227_11 Depth 2
                                        ;     Child Loop BB227_19 Depth 2
	;; [unrolled: 1-line block ×4, first 2 shown]
	s_mul_i32 s2, s22, 0x54
	s_mul_hi_u32 s3, s22, 0x54
	s_add_u32 s2, s20, s2
	s_addc_u32 s3, s21, s3
	v_mov_b64_e32 v[2:3], s[2:3]
	v_mad_u64_u32 v[4:5], s[2:3], v34, s14, v[2:3]
	v_mad_u64_u32 v[6:7], s[2:3], v12, s14, v[4:5]
	v_lshl_add_u64 v[6:7], v[6:7], 0, v[10:11]
	v_mad_u64_u32 v[8:9], s[2:3], v14, s14, v[4:5]
	v_mad_u64_u32 v[70:71], s[2:3], v36, s14, v[4:5]
	;; [unrolled: 1-line block ×7, first 2 shown]
	v_lshl_add_u64 v[8:9], v[8:9], 0, v[10:11]
	v_lshl_add_u64 v[70:71], v[70:71], 0, v[10:11]
	v_lshl_add_u64 v[80:81], v[80:81], 0, v[10:11]
	v_lshl_add_u64 v[82:83], v[82:83], 0, v[10:11]
	v_lshl_add_u64 v[84:85], v[84:85], 0, v[10:11]
	v_lshl_add_u64 v[86:87], v[86:87], 0, v[10:11]
	v_lshl_add_u64 v[88:89], v[88:89], 0, v[10:11]
	global_load_dword v72, v[6:7], off offset:16
	global_load_dword v79, v[8:9], off offset:16
	;; [unrolled: 1-line block ×8, first 2 shown]
	v_mad_u64_u32 v[6:7], s[2:3], v48, s14, v[4:5]
	v_mad_u64_u32 v[8:9], s[2:3], v50, s14, v[4:5]
	;; [unrolled: 1-line block ×8, first 2 shown]
	v_lshl_add_u64 v[6:7], v[6:7], 0, v[10:11]
	v_lshl_add_u64 v[4:5], v[4:5], 0, v[10:11]
	;; [unrolled: 1-line block ×8, first 2 shown]
	global_load_dword v88, v[6:7], off offset:16
	global_load_dword v89, v[8:9], off offset:16
	;; [unrolled: 1-line block ×8, first 2 shown]
	v_mad_u64_u32 v[4:5], s[2:3], v18, s14, v[2:3]
	v_mad_u64_u32 v[2:3], s[2:3], v64, s14, v[2:3]
	v_lshl_add_u64 v[2:3], v[2:3], 0, v[20:21]
	v_mad_u64_u32 v[4:5], s[2:3], v16, s14, v[4:5]
	v_mad_u64_u32 v[6:7], s[2:3], v22, s14, v[2:3]
	;; [unrolled: 1-line block ×5, first 2 shown]
	global_load_dword v80, v[4:5], off offset:80
	global_load_dword v81, v[6:7], off
	global_load_dword v82, v[8:9], off
	;; [unrolled: 1-line block ×3, first 2 shown]
	s_lshl_b32 s24, s22, 8
	global_load_dword v2, v[2:3], off
	v_add_u32_e32 v3, 0x420, v15
	s_cmp_lt_i32 s24, s15
	s_waitcnt vmcnt(20)
	ds_write_b32 v15, v72
	s_waitcnt vmcnt(19)
	ds_write_b32 v3, v79
	v_add_u32_e32 v3, 0x840, v15
	s_waitcnt vmcnt(18)
	ds_write_b32 v3, v90
	v_add_u32_e32 v3, 0xc60, v15
	;; [unrolled: 3-line block ×14, first 2 shown]
	s_waitcnt vmcnt(5)
	ds_write_b32 v3, v101
	s_waitcnt vmcnt(4)
	ds_write_b32 v17, v80
	;; [unrolled: 2-line block ×6, first 2 shown]
	s_cbranch_scc0 .LBB227_4
; %bb.6:                                ;   in Loop: Header=BB227_5 Depth=1
	s_lshl_b32 s25, s22, 3
	v_add_u32_e32 v2, s25, v19
	v_cmp_gt_i32_e64 s[2:3], s5, v2
	s_and_b64 s[16:17], s[0:1], s[2:3]
	s_and_saveexec_b64 s[2:3], s[16:17]
	s_cbranch_execz .LBB227_8
; %bb.7:                                ;   in Loop: Header=BB227_5 Depth=1
	v_add_u32_e32 v2, v30, v2
	v_mad_i64_i32 v[2:3], s[16:17], v2, 36, v[32:33]
	global_load_dword v2, v[2:3], off offset:4
	s_waitcnt vmcnt(0)
	ds_write_b32 v25, v2
.LBB227_8:                              ;   in Loop: Header=BB227_5 Depth=1
	s_or_b64 exec, exec, s[2:3]
	v_add_u32_e32 v70, s25, v13
	v_cmp_gt_i32_e64 s[2:3], s5, v70
	s_and_b64 s[16:17], s[8:9], s[2:3]
	s_and_saveexec_b64 s[2:3], s[16:17]
	s_cbranch_execz .LBB227_10
; %bb.9:                                ;   in Loop: Header=BB227_5 Depth=1
	v_add_u32_e32 v2, v30, v70
	v_mad_i64_i32 v[2:3], s[16:17], v2, 36, s[10:11]
	global_load_dword v2, v[2:3], off
	s_waitcnt vmcnt(0)
	v_cvt_f32_f16_e32 v2, v2
	ds_write_b32 v37, v2
.LBB227_10:                             ;   in Loop: Header=BB227_5 Depth=1
	s_or_b64 exec, exec, s[2:3]
	s_mov_b32 s2, 0
	v_mov_b32_e32 v71, v35
	v_mov_b32_e32 v79, v23
	s_waitcnt lgkmcnt(0)
	s_barrier
.LBB227_11:                             ;   Parent Loop BB227_5 Depth=1
                                        ; =>  This Inner Loop Header: Depth=2
	s_and_b32 s16, s2, 0x3ffffff8
	v_lshl_add_u32 v80, s16, 2, v53
	ds_read_b32 v72, v71
	ds_read_b128 v[6:9], v79
	ds_read_b128 v[2:5], v79 offset:16
	ds_read2_b32 v[82:83], v80 offset1:1
	s_lshr_b32 s16, s2, 2
	s_and_b32 s16, s16, 0x3ffffffc
	s_addk_i32 s16, 0x5280
	v_add3_u32 v90, s16, v76, v63
	ds_read_b32 v90, v90
	s_waitcnt lgkmcnt(1)
	v_ashrrev_i32_e32 v81, s2, v82
	v_ashrrev_i32_e32 v82, s2, v83
	v_and_b32_e32 v84, 0x3030303, v82
	ds_read2_b32 v[82:83], v80 offset0:2 offset1:3
	v_add3_u32 v92, s16, v65, v67
	ds_read_b32 v92, v92
	v_and_b32_e32 v81, 0x3030303, v81
	v_mov_b32_e32 v91, 0
	s_waitcnt lgkmcnt(1)
	v_ashrrev_i32_e32 v82, s2, v82
	v_and_b32_e32 v85, 0x3030303, v82
	v_ashrrev_i32_e32 v82, s2, v83
	v_and_b32_e32 v86, 0x3030303, v82
	ds_read2_b32 v[82:83], v80 offset0:4 offset1:5
	s_and_b32 s3, s2, -16
	v_dot4c_i32_i8_e32 v91, v81, v6
	v_mov_b32_e32 v81, 0
	s_add_i32 s3, s2, s3
	s_waitcnt lgkmcnt(0)
	v_ashrrev_i32_e32 v82, s2, v82
	v_and_b32_e32 v87, 0x3030303, v82
	v_ashrrev_i32_e32 v82, s2, v83
	v_and_b32_e32 v88, 0x3030303, v82
	ds_read2_b32 v[82:83], v80 offset0:6 offset1:7
	v_add_u32_e32 v89, 0x4200, v45
	v_dot4c_i32_i8_e32 v81, v87, v2
	v_add_u32_e32 v89, s3, v89
	v_dot4c_i32_i8_e32 v81, v88, v3
	s_waitcnt lgkmcnt(0)
	v_ashrrev_i32_e32 v82, s2, v82
	v_and_b32_e32 v82, 0x3030303, v82
	v_dot4c_i32_i8_e32 v81, v82, v4
	ds_read_u16 v82, v89
	v_ashrrev_i32_e32 v83, s2, v83
	v_and_b32_e32 v83, 0x3030303, v83
	v_dot4c_i32_i8_e32 v91, v84, v7
	v_dot4c_i32_i8_e32 v91, v85, v8
	v_dot4c_i32_i8_e32 v81, v83, v5
	s_waitcnt lgkmcnt(0)
	v_bfe_u32 v83, v82, 4, 4
	v_dot4c_i32_i8_e32 v91, v86, v9
	v_mul_lo_u32 v83, v83, s23
	v_mov_b32_e32 v86, 0
	v_dot4c_i32_i8_e32 v86, v83, v6
	v_dot4c_i32_i8_e32 v86, v83, v7
	;; [unrolled: 1-line block ×4, first 2 shown]
	v_lshrrev_b32_sdwa v83, v77, v82 dst_sel:DWORD dst_unused:UNUSED_PAD src0_sel:DWORD src1_sel:BYTE_1
	v_mul_lo_u32 v83, v83, s23
	v_dot4c_i32_i8_e32 v86, v83, v2
	v_dot4c_i32_i8_e32 v86, v83, v3
	;; [unrolled: 1-line block ×4, first 2 shown]
	v_and_b32_e32 v83, 15, v82
	v_and_b32_sdwa v82, v82, v78 dst_sel:DWORD dst_unused:UNUSED_PAD src0_sel:BYTE_1 src1_sel:DWORD
	v_and_b32_e32 v84, 0xffff, v82
	v_and_b32_e32 v82, 0xffff, v83
	v_mul_lo_u32 v82, v91, v82
	v_mad_u64_u32 v[82:83], s[26:27], v81, v84, v[82:83]
	v_cvt_f32_f16_e32 v84, v90
	v_cvt_f32_f16_sdwa v85, v90 dst_sel:DWORD dst_unused:UNUSED_PAD src0_sel:WORD_1
	v_cvt_f32_i32_e32 v82, v82
	v_cvt_f32_i32_e32 v83, v86
	v_add_u32_e32 v81, 0x1080, v80
	v_mov_b32_e32 v93, 0
	v_add_u32_e32 v91, 0x4600, v47
	v_pk_mul_f32 v[82:83], v[84:85], v[82:83]
	ds_read2_b32 v[84:85], v81 offset1:1
	v_add_u32_e32 v91, s3, v91
	v_add_u32_e32 v79, 32, v79
	;; [unrolled: 1-line block ×3, first 2 shown]
	s_waitcnt lgkmcnt(0)
	v_ashrrev_i32_e32 v81, s2, v84
	v_ashrrev_i32_e32 v84, s2, v85
	v_and_b32_e32 v86, 0x3030303, v84
	v_add_u32_e32 v84, 0x1088, v80
	ds_read2_b32 v[84:85], v84 offset1:1
	v_and_b32_e32 v81, 0x3030303, v81
	v_dot4c_i32_i8_e32 v93, v81, v6
	v_mov_b32_e32 v81, 0
	v_dot4c_i32_i8_e32 v93, v86, v7
	s_waitcnt lgkmcnt(0)
	v_ashrrev_i32_e32 v84, s2, v84
	v_and_b32_e32 v87, 0x3030303, v84
	v_ashrrev_i32_e32 v84, s2, v85
	v_and_b32_e32 v88, 0x3030303, v84
	v_add_u32_e32 v84, 0x1090, v80
	ds_read2_b32 v[84:85], v84 offset1:1
	v_mov_b32_e32 v86, 0
	v_dot4c_i32_i8_e32 v93, v87, v8
	v_dot4c_i32_i8_e32 v93, v88, v9
	s_waitcnt lgkmcnt(0)
	v_ashrrev_i32_e32 v84, s2, v84
	v_and_b32_e32 v89, 0x3030303, v84
	v_ashrrev_i32_e32 v84, s2, v85
	v_and_b32_e32 v90, 0x3030303, v84
	v_add_u32_e32 v84, 0x1098, v80
	ds_read2_b32 v[84:85], v84 offset1:1
	v_dot4c_i32_i8_e32 v81, v89, v2
	v_dot4c_i32_i8_e32 v81, v90, v3
	v_add3_u32 v90, s16, v69, v73
	v_add_u32_e32 v89, 0x4a00, v49
	s_waitcnt lgkmcnt(0)
	v_ashrrev_i32_e32 v84, s2, v84
	v_and_b32_e32 v84, 0x3030303, v84
	v_dot4c_i32_i8_e32 v81, v84, v4
	ds_read_u16 v84, v91
	v_ashrrev_i32_e32 v85, s2, v85
	v_and_b32_e32 v85, 0x3030303, v85
	v_dot4c_i32_i8_e32 v81, v85, v5
	ds_read_b32 v90, v90
	s_waitcnt lgkmcnt(1)
	v_bfe_u32 v85, v84, 4, 4
	v_mul_lo_u32 v85, v85, s23
	v_dot4c_i32_i8_e32 v86, v85, v6
	v_dot4c_i32_i8_e32 v86, v85, v7
	;; [unrolled: 1-line block ×4, first 2 shown]
	v_lshrrev_b32_sdwa v85, v77, v84 dst_sel:DWORD dst_unused:UNUSED_PAD src0_sel:DWORD src1_sel:BYTE_1
	v_mul_lo_u32 v85, v85, s23
	v_dot4c_i32_i8_e32 v86, v85, v2
	v_dot4c_i32_i8_e32 v86, v85, v3
	;; [unrolled: 1-line block ×4, first 2 shown]
	v_and_b32_e32 v85, 15, v84
	v_and_b32_sdwa v84, v84, v78 dst_sel:DWORD dst_unused:UNUSED_PAD src0_sel:BYTE_1 src1_sel:DWORD
	v_and_b32_e32 v87, 0xffff, v84
	v_and_b32_e32 v84, 0xffff, v85
	v_mul_lo_u32 v84, v93, v84
	v_mad_u64_u32 v[84:85], s[26:27], v81, v87, v[84:85]
	v_cvt_f32_f16_e32 v81, v92
	v_cvt_f32_i32_e32 v84, v84
	v_cvt_f32_f16_sdwa v87, v92 dst_sel:DWORD dst_unused:UNUSED_PAD src0_sel:WORD_1
	v_mov_b32_e32 v91, 0
	v_add_u32_e32 v89, s3, v89
	v_mul_f32_e32 v85, v81, v84
	v_cvt_f32_i32_e32 v81, v86
	v_mov_b32_e32 v84, v82
	v_mov_b32_e32 v86, v83
	;; [unrolled: 1-line block ×3, first 2 shown]
	v_mul_f32_e32 v87, v87, v81
	v_pk_add_f32 v[82:83], v[84:85], v[86:87] neg_lo:[0,1] neg_hi:[0,1]
	v_add_u32_e32 v81, 0x2100, v80
	v_pk_fma_f32 v[28:29], v[72:73], v[82:83], v[28:29] op_sel_hi:[0,1,1]
	ds_read2_b32 v[82:83], v81 offset1:1
	s_waitcnt lgkmcnt(0)
	v_ashrrev_i32_e32 v81, s2, v82
	v_ashrrev_i32_e32 v82, s2, v83
	v_and_b32_e32 v84, 0x3030303, v82
	v_add_u32_e32 v82, 0x2108, v80
	ds_read2_b32 v[82:83], v82 offset1:1
	v_and_b32_e32 v81, 0x3030303, v81
	v_dot4c_i32_i8_e32 v91, v81, v6
	v_mov_b32_e32 v81, 0
	v_dot4c_i32_i8_e32 v91, v84, v7
	s_waitcnt lgkmcnt(0)
	v_ashrrev_i32_e32 v82, s2, v82
	v_and_b32_e32 v85, 0x3030303, v82
	v_ashrrev_i32_e32 v82, s2, v83
	v_and_b32_e32 v86, 0x3030303, v82
	v_add_u32_e32 v82, 0x2110, v80
	ds_read2_b32 v[82:83], v82 offset1:1
	v_dot4c_i32_i8_e32 v91, v85, v8
	v_dot4c_i32_i8_e32 v91, v86, v9
	v_mov_b32_e32 v86, 0
	v_cvt_f32_f16_sdwa v85, v90 dst_sel:DWORD dst_unused:UNUSED_PAD src0_sel:WORD_1
	s_waitcnt lgkmcnt(0)
	v_ashrrev_i32_e32 v82, s2, v82
	v_and_b32_e32 v87, 0x3030303, v82
	v_ashrrev_i32_e32 v82, s2, v83
	v_and_b32_e32 v88, 0x3030303, v82
	v_add_u32_e32 v82, 0x2118, v80
	ds_read2_b32 v[82:83], v82 offset1:1
	v_dot4c_i32_i8_e32 v81, v87, v2
	v_dot4c_i32_i8_e32 v81, v88, v3
	s_waitcnt lgkmcnt(0)
	v_ashrrev_i32_e32 v82, s2, v82
	v_and_b32_e32 v82, 0x3030303, v82
	v_dot4c_i32_i8_e32 v81, v82, v4
	ds_read_u16 v82, v89
	v_ashrrev_i32_e32 v83, s2, v83
	v_and_b32_e32 v83, 0x3030303, v83
	v_dot4c_i32_i8_e32 v81, v83, v5
	s_waitcnt lgkmcnt(0)
	v_bfe_u32 v83, v82, 4, 4
	v_mul_lo_u32 v83, v83, s23
	v_dot4c_i32_i8_e32 v86, v83, v6
	v_dot4c_i32_i8_e32 v86, v83, v7
	;; [unrolled: 1-line block ×4, first 2 shown]
	v_lshrrev_b32_sdwa v83, v77, v82 dst_sel:DWORD dst_unused:UNUSED_PAD src0_sel:DWORD src1_sel:BYTE_1
	v_mul_lo_u32 v83, v83, s23
	v_dot4c_i32_i8_e32 v86, v83, v2
	v_dot4c_i32_i8_e32 v86, v83, v3
	;; [unrolled: 1-line block ×4, first 2 shown]
	v_and_b32_e32 v83, 15, v82
	v_and_b32_sdwa v82, v82, v78 dst_sel:DWORD dst_unused:UNUSED_PAD src0_sel:BYTE_1 src1_sel:DWORD
	v_and_b32_e32 v84, 0xffff, v82
	v_and_b32_e32 v82, 0xffff, v83
	v_mul_lo_u32 v82, v91, v82
	v_mad_u64_u32 v[82:83], s[26:27], v81, v84, v[82:83]
	v_cvt_f32_f16_e32 v84, v90
	v_cvt_f32_i32_e32 v82, v82
	v_cvt_f32_i32_e32 v83, v86
	v_add_u32_e32 v81, 0x3180, v80
	v_add3_u32 v91, s16, v74, v75
	v_add_u32_e32 v90, 0x4e00, v51
	v_pk_mul_f32 v[82:83], v[84:85], v[82:83]
	ds_read2_b32 v[84:85], v81 offset1:1
	ds_read_b32 v91, v91
	v_add_u32_e32 v90, s3, v90
	s_add_i32 s3, s2, 2
	s_cmp_lt_u32 s2, 6
	s_waitcnt lgkmcnt(1)
	v_ashrrev_i32_e32 v81, s2, v84
	v_and_b32_e32 v86, 0x3030303, v81
	v_ashrrev_i32_e32 v81, s2, v85
	v_and_b32_e32 v87, 0x3030303, v81
	v_add_u32_e32 v81, 0x3188, v80
	ds_read2_b32 v[84:85], v81 offset1:1
	v_dot4c_i32_i8_e32 v92, v86, v6
	v_mov_b32_e32 v86, 0
	v_dot4c_i32_i8_e32 v92, v87, v7
	s_waitcnt lgkmcnt(0)
	v_ashrrev_i32_e32 v81, s2, v84
	v_and_b32_e32 v88, 0x3030303, v81
	v_ashrrev_i32_e32 v81, s2, v85
	v_and_b32_e32 v89, 0x3030303, v81
	v_add_u32_e32 v81, 0x3190, v80
	ds_read2_b32 v[84:85], v81 offset1:1
	v_add_u32_e32 v80, 0x3198, v80
	v_dot4c_i32_i8_e32 v92, v88, v8
	v_dot4c_i32_i8_e32 v92, v89, v9
	s_waitcnt lgkmcnt(0)
	v_ashrrev_i32_e32 v81, s2, v84
	v_and_b32_e32 v84, 0x3030303, v81
	v_ashrrev_i32_e32 v81, s2, v85
	v_and_b32_e32 v85, 0x3030303, v81
	ds_read2_b32 v[80:81], v80 offset1:1
	v_dot4c_i32_i8_e32 v86, v84, v2
	v_dot4c_i32_i8_e32 v86, v85, v3
	v_mov_b32_e32 v84, 0
	s_waitcnt lgkmcnt(0)
	v_ashrrev_i32_e32 v80, s2, v80
	v_and_b32_e32 v80, 0x3030303, v80
	v_dot4c_i32_i8_e32 v86, v80, v4
	ds_read_u16 v80, v90
	v_ashrrev_i32_e32 v81, s2, v81
	v_and_b32_e32 v81, 0x3030303, v81
	v_dot4c_i32_i8_e32 v86, v81, v5
	s_mov_b32 s2, s3
	s_waitcnt lgkmcnt(0)
	v_bfe_u32 v81, v80, 4, 4
	v_mul_lo_u32 v81, v81, s23
	v_dot4c_i32_i8_e32 v84, v81, v6
	v_dot4c_i32_i8_e32 v84, v81, v7
	;; [unrolled: 1-line block ×3, first 2 shown]
	v_lshrrev_b32_sdwa v6, v77, v80 dst_sel:DWORD dst_unused:UNUSED_PAD src0_sel:DWORD src1_sel:BYTE_1
	v_dot4c_i32_i8_e32 v84, v81, v9
	v_mul_lo_u32 v6, v6, s23
	v_dot4c_i32_i8_e32 v84, v6, v2
	v_and_b32_e32 v2, 15, v80
	v_dot4c_i32_i8_e32 v84, v6, v3
	v_and_b32_sdwa v3, v80, v78 dst_sel:DWORD dst_unused:UNUSED_PAD src0_sel:BYTE_1 src1_sel:DWORD
	v_and_b32_e32 v2, 0xffff, v2
	v_dot4c_i32_i8_e32 v84, v6, v4
	v_and_b32_e32 v3, 0xffff, v3
	v_mul_lo_u32 v2, v92, v2
	v_dot4c_i32_i8_e32 v84, v6, v5
	v_mad_u64_u32 v[2:3], s[16:17], v86, v3, v[2:3]
	v_cvt_f32_f16_e32 v4, v91
	v_cvt_f32_f16_sdwa v5, v91 dst_sel:DWORD dst_unused:UNUSED_PAD src0_sel:WORD_1
	v_cvt_f32_i32_e32 v2, v2
	v_cvt_f32_i32_e32 v3, v84
	v_pk_mul_f32 v[2:3], v[4:5], v[2:3]
	v_mov_b32_e32 v4, v82
	v_mov_b32_e32 v5, v2
	;; [unrolled: 1-line block ×3, first 2 shown]
	v_pk_add_f32 v[2:3], v[4:5], v[2:3] neg_lo:[0,1] neg_hi:[0,1]
	s_nop 0
	v_pk_fma_f32 v[26:27], v[72:73], v[2:3], v[26:27] op_sel_hi:[0,1,1]
	s_cbranch_scc1 .LBB227_11
; %bb.12:                               ;   in Loop: Header=BB227_5 Depth=1
	s_or_b32 s2, s24, 0x80
	s_cmp_ge_i32 s2, s15
	s_barrier
	s_cbranch_scc1 .LBB227_4
; %bb.13:                               ;   in Loop: Header=BB227_5 Depth=1
	v_add_u32_e32 v2, s25, v39
	v_cmp_gt_i32_e64 s[2:3], s5, v2
	s_and_b64 s[16:17], s[0:1], s[2:3]
	s_and_saveexec_b64 s[2:3], s[16:17]
	s_cbranch_execz .LBB227_15
; %bb.14:                               ;   in Loop: Header=BB227_5 Depth=1
	v_add_u32_e32 v2, v30, v2
	v_mad_i64_i32 v[2:3], s[16:17], v2, 36, v[32:33]
	global_load_dword v2, v[2:3], off offset:4
	s_waitcnt vmcnt(0)
	ds_write_b32 v25, v2
.LBB227_15:                             ;   in Loop: Header=BB227_5 Depth=1
	s_or_b64 exec, exec, s[2:3]
	s_and_saveexec_b64 s[16:17], vcc
	s_cbranch_execz .LBB227_18
; %bb.16:                               ;   in Loop: Header=BB227_5 Depth=1
	v_or_b32_e32 v2, 4, v70
	v_cmp_gt_i32_e64 s[2:3], s5, v2
	s_and_b64 s[2:3], s[0:1], s[2:3]
	s_and_b64 exec, exec, s[2:3]
	s_cbranch_execz .LBB227_18
; %bb.17:                               ;   in Loop: Header=BB227_5 Depth=1
	v_ashrrev_i32_e32 v71, 31, v70
	v_lshl_add_u64 v[2:3], v[30:31], 0, v[70:71]
	v_mad_u64_u32 v[4:5], s[2:3], v2, 36, s[10:11]
	v_mad_i32_i24 v5, v3, 36, v5
	global_load_dword v2, v[4:5], off offset:144
	s_waitcnt vmcnt(0)
	v_cvt_f32_f16_e32 v2, v2
	ds_write_b32 v37, v2
.LBB227_18:                             ;   in Loop: Header=BB227_5 Depth=1
	s_or_b64 exec, exec, s[16:17]
	s_mov_b32 s2, 8
	v_mov_b32_e32 v71, v23
	v_mov_b32_e32 v79, v35
	s_waitcnt lgkmcnt(0)
	s_barrier
.LBB227_19:                             ;   Parent Loop BB227_5 Depth=1
                                        ; =>  This Inner Loop Header: Depth=2
	s_and_b32 s17, s2, 0x3ffffff8
	v_lshl_add_u32 v80, s17, 2, v53
	ds_read_b32 v72, v79
	ds_read_b128 v[6:9], v71
	ds_read_b128 v[2:5], v71 offset:16
	ds_read2_b32 v[82:83], v80 offset1:1
	s_lshr_b32 s17, s2, 2
	s_and_b32 s17, s17, 0x3ffffffc
	s_addk_i32 s17, 0x5280
	s_add_i32 s3, s2, -8
	v_add3_u32 v90, s17, v76, v63
	ds_read_b32 v90, v90
	s_waitcnt lgkmcnt(1)
	v_ashrrev_i32_e32 v81, s3, v82
	v_ashrrev_i32_e32 v82, s3, v83
	v_and_b32_e32 v84, 0x3030303, v82
	ds_read2_b32 v[82:83], v80 offset0:2 offset1:3
	v_add3_u32 v92, s17, v65, v67
	ds_read_b32 v92, v92
	v_and_b32_e32 v81, 0x3030303, v81
	v_mov_b32_e32 v91, 0
	s_waitcnt lgkmcnt(1)
	v_ashrrev_i32_e32 v82, s3, v82
	v_and_b32_e32 v85, 0x3030303, v82
	v_ashrrev_i32_e32 v82, s3, v83
	v_and_b32_e32 v86, 0x3030303, v82
	ds_read2_b32 v[82:83], v80 offset0:4 offset1:5
	s_and_b32 s16, s2, -16
	v_dot4c_i32_i8_e32 v91, v81, v6
	v_mov_b32_e32 v81, 0
	s_add_i32 s16, s2, s16
	s_waitcnt lgkmcnt(0)
	v_ashrrev_i32_e32 v82, s3, v82
	v_and_b32_e32 v87, 0x3030303, v82
	v_ashrrev_i32_e32 v82, s3, v83
	v_and_b32_e32 v88, 0x3030303, v82
	ds_read2_b32 v[82:83], v80 offset0:6 offset1:7
	v_dot4c_i32_i8_e32 v81, v87, v2
	v_add_u32_e32 v89, s16, v45
	v_dot4c_i32_i8_e32 v81, v88, v3
	v_dot4c_i32_i8_e32 v91, v84, v7
	s_waitcnt lgkmcnt(0)
	v_ashrrev_i32_e32 v82, s3, v82
	v_and_b32_e32 v82, 0x3030303, v82
	v_dot4c_i32_i8_e32 v81, v82, v4
	ds_read_u16 v82, v89 offset:16896
	v_ashrrev_i32_e32 v83, s3, v83
	v_and_b32_e32 v83, 0x3030303, v83
	v_dot4c_i32_i8_e32 v91, v85, v8
	v_dot4c_i32_i8_e32 v81, v83, v5
	s_waitcnt lgkmcnt(0)
	v_bfe_u32 v83, v82, 4, 4
	v_dot4c_i32_i8_e32 v91, v86, v9
	v_mul_lo_u32 v83, v83, s23
	v_mov_b32_e32 v86, 0
	v_dot4c_i32_i8_e32 v86, v83, v6
	v_dot4c_i32_i8_e32 v86, v83, v7
	;; [unrolled: 1-line block ×4, first 2 shown]
	v_lshrrev_b32_sdwa v83, v77, v82 dst_sel:DWORD dst_unused:UNUSED_PAD src0_sel:DWORD src1_sel:BYTE_1
	v_mul_lo_u32 v83, v83, s23
	v_dot4c_i32_i8_e32 v86, v83, v2
	v_dot4c_i32_i8_e32 v86, v83, v3
	;; [unrolled: 1-line block ×4, first 2 shown]
	v_and_b32_e32 v83, 15, v82
	v_and_b32_sdwa v82, v82, v78 dst_sel:DWORD dst_unused:UNUSED_PAD src0_sel:BYTE_1 src1_sel:DWORD
	v_and_b32_e32 v84, 0xffff, v82
	v_and_b32_e32 v82, 0xffff, v83
	v_mul_lo_u32 v82, v91, v82
	v_mad_u64_u32 v[82:83], s[26:27], v81, v84, v[82:83]
	v_cvt_f32_f16_e32 v84, v90
	v_cvt_f32_f16_sdwa v85, v90 dst_sel:DWORD dst_unused:UNUSED_PAD src0_sel:WORD_1
	v_cvt_f32_i32_e32 v82, v82
	v_cvt_f32_i32_e32 v83, v86
	v_add_u32_e32 v81, 0x1080, v80
	v_mov_b32_e32 v93, 0
	v_add_u32_e32 v91, s16, v47
	v_pk_mul_f32 v[82:83], v[84:85], v[82:83]
	ds_read2_b32 v[84:85], v81 offset1:1
	v_add_u32_e32 v79, 4, v79
	v_add_u32_e32 v71, 32, v71
	s_waitcnt lgkmcnt(0)
	v_ashrrev_i32_e32 v81, s3, v84
	v_ashrrev_i32_e32 v84, s3, v85
	v_and_b32_e32 v86, 0x3030303, v84
	v_add_u32_e32 v84, 0x1088, v80
	ds_read2_b32 v[84:85], v84 offset1:1
	v_and_b32_e32 v81, 0x3030303, v81
	v_dot4c_i32_i8_e32 v93, v81, v6
	v_mov_b32_e32 v81, 0
	v_dot4c_i32_i8_e32 v93, v86, v7
	s_waitcnt lgkmcnt(0)
	v_ashrrev_i32_e32 v84, s3, v84
	v_and_b32_e32 v87, 0x3030303, v84
	v_ashrrev_i32_e32 v84, s3, v85
	v_and_b32_e32 v88, 0x3030303, v84
	v_add_u32_e32 v84, 0x1090, v80
	ds_read2_b32 v[84:85], v84 offset1:1
	v_mov_b32_e32 v86, 0
	v_dot4c_i32_i8_e32 v93, v87, v8
	v_dot4c_i32_i8_e32 v93, v88, v9
	s_waitcnt lgkmcnt(0)
	v_ashrrev_i32_e32 v84, s3, v84
	v_and_b32_e32 v89, 0x3030303, v84
	v_ashrrev_i32_e32 v84, s3, v85
	v_and_b32_e32 v90, 0x3030303, v84
	v_add_u32_e32 v84, 0x1098, v80
	ds_read2_b32 v[84:85], v84 offset1:1
	v_dot4c_i32_i8_e32 v81, v89, v2
	v_dot4c_i32_i8_e32 v81, v90, v3
	v_add3_u32 v90, s17, v69, v73
	v_add_u32_e32 v89, s16, v49
	s_waitcnt lgkmcnt(0)
	v_ashrrev_i32_e32 v84, s3, v84
	v_and_b32_e32 v84, 0x3030303, v84
	v_dot4c_i32_i8_e32 v81, v84, v4
	ds_read_u16 v84, v91 offset:17920
	v_ashrrev_i32_e32 v85, s3, v85
	v_and_b32_e32 v85, 0x3030303, v85
	v_dot4c_i32_i8_e32 v81, v85, v5
	ds_read_b32 v90, v90
	s_waitcnt lgkmcnt(1)
	v_bfe_u32 v85, v84, 4, 4
	v_mul_lo_u32 v85, v85, s23
	v_dot4c_i32_i8_e32 v86, v85, v6
	v_dot4c_i32_i8_e32 v86, v85, v7
	;; [unrolled: 1-line block ×4, first 2 shown]
	v_lshrrev_b32_sdwa v85, v77, v84 dst_sel:DWORD dst_unused:UNUSED_PAD src0_sel:DWORD src1_sel:BYTE_1
	v_mul_lo_u32 v85, v85, s23
	v_dot4c_i32_i8_e32 v86, v85, v2
	v_dot4c_i32_i8_e32 v86, v85, v3
	;; [unrolled: 1-line block ×4, first 2 shown]
	v_and_b32_e32 v85, 15, v84
	v_and_b32_sdwa v84, v84, v78 dst_sel:DWORD dst_unused:UNUSED_PAD src0_sel:BYTE_1 src1_sel:DWORD
	v_and_b32_e32 v87, 0xffff, v84
	v_and_b32_e32 v84, 0xffff, v85
	v_mul_lo_u32 v84, v93, v84
	v_mad_u64_u32 v[84:85], s[26:27], v81, v87, v[84:85]
	v_cvt_f32_f16_e32 v81, v92
	v_cvt_f32_i32_e32 v84, v84
	v_cvt_f32_f16_sdwa v87, v92 dst_sel:DWORD dst_unused:UNUSED_PAD src0_sel:WORD_1
	v_mov_b32_e32 v91, 0
	v_mov_b32_e32 v92, 0
	v_mul_f32_e32 v85, v81, v84
	v_cvt_f32_i32_e32 v81, v86
	v_mov_b32_e32 v84, v82
	v_mov_b32_e32 v86, v83
	v_mul_f32_e32 v87, v87, v81
	v_pk_add_f32 v[82:83], v[84:85], v[86:87] neg_lo:[0,1] neg_hi:[0,1]
	v_add_u32_e32 v81, 0x2100, v80
	v_pk_fma_f32 v[28:29], v[72:73], v[82:83], v[28:29] op_sel_hi:[0,1,1]
	ds_read2_b32 v[82:83], v81 offset1:1
	s_waitcnt lgkmcnt(0)
	v_ashrrev_i32_e32 v81, s3, v82
	v_ashrrev_i32_e32 v82, s3, v83
	v_and_b32_e32 v84, 0x3030303, v82
	v_add_u32_e32 v82, 0x2108, v80
	ds_read2_b32 v[82:83], v82 offset1:1
	v_and_b32_e32 v81, 0x3030303, v81
	v_dot4c_i32_i8_e32 v91, v81, v6
	v_mov_b32_e32 v81, 0
	v_dot4c_i32_i8_e32 v91, v84, v7
	s_waitcnt lgkmcnt(0)
	v_ashrrev_i32_e32 v82, s3, v82
	v_and_b32_e32 v85, 0x3030303, v82
	v_ashrrev_i32_e32 v82, s3, v83
	v_and_b32_e32 v86, 0x3030303, v82
	v_add_u32_e32 v82, 0x2110, v80
	ds_read2_b32 v[82:83], v82 offset1:1
	v_dot4c_i32_i8_e32 v91, v85, v8
	v_dot4c_i32_i8_e32 v91, v86, v9
	v_mov_b32_e32 v86, 0
	v_cvt_f32_f16_sdwa v85, v90 dst_sel:DWORD dst_unused:UNUSED_PAD src0_sel:WORD_1
	s_waitcnt lgkmcnt(0)
	v_ashrrev_i32_e32 v82, s3, v82
	v_and_b32_e32 v87, 0x3030303, v82
	v_ashrrev_i32_e32 v82, s3, v83
	v_and_b32_e32 v88, 0x3030303, v82
	v_add_u32_e32 v82, 0x2118, v80
	ds_read2_b32 v[82:83], v82 offset1:1
	v_dot4c_i32_i8_e32 v81, v87, v2
	v_dot4c_i32_i8_e32 v81, v88, v3
	s_waitcnt lgkmcnt(0)
	v_ashrrev_i32_e32 v82, s3, v82
	v_and_b32_e32 v82, 0x3030303, v82
	v_dot4c_i32_i8_e32 v81, v82, v4
	ds_read_u16 v82, v89 offset:18944
	v_ashrrev_i32_e32 v83, s3, v83
	v_and_b32_e32 v83, 0x3030303, v83
	v_dot4c_i32_i8_e32 v81, v83, v5
	s_waitcnt lgkmcnt(0)
	v_bfe_u32 v83, v82, 4, 4
	v_mul_lo_u32 v83, v83, s23
	v_dot4c_i32_i8_e32 v86, v83, v6
	v_dot4c_i32_i8_e32 v86, v83, v7
	;; [unrolled: 1-line block ×4, first 2 shown]
	v_lshrrev_b32_sdwa v83, v77, v82 dst_sel:DWORD dst_unused:UNUSED_PAD src0_sel:DWORD src1_sel:BYTE_1
	v_mul_lo_u32 v83, v83, s23
	v_dot4c_i32_i8_e32 v86, v83, v2
	v_dot4c_i32_i8_e32 v86, v83, v3
	;; [unrolled: 1-line block ×4, first 2 shown]
	v_and_b32_e32 v83, 15, v82
	v_and_b32_sdwa v82, v82, v78 dst_sel:DWORD dst_unused:UNUSED_PAD src0_sel:BYTE_1 src1_sel:DWORD
	v_and_b32_e32 v84, 0xffff, v82
	v_and_b32_e32 v82, 0xffff, v83
	v_mul_lo_u32 v82, v91, v82
	v_mad_u64_u32 v[82:83], s[26:27], v81, v84, v[82:83]
	v_cvt_f32_f16_e32 v84, v90
	v_cvt_f32_i32_e32 v82, v82
	v_cvt_f32_i32_e32 v83, v86
	v_add_u32_e32 v81, 0x3180, v80
	v_add3_u32 v91, s17, v74, v75
	ds_read_b32 v91, v91
	v_pk_mul_f32 v[82:83], v[84:85], v[82:83]
	ds_read2_b32 v[84:85], v81 offset1:1
	v_add_u32_e32 v90, s16, v51
	s_waitcnt lgkmcnt(0)
	v_ashrrev_i32_e32 v81, s3, v84
	v_and_b32_e32 v86, 0x3030303, v81
	v_ashrrev_i32_e32 v81, s3, v85
	v_and_b32_e32 v87, 0x3030303, v81
	v_add_u32_e32 v81, 0x3188, v80
	ds_read2_b32 v[84:85], v81 offset1:1
	v_dot4c_i32_i8_e32 v92, v86, v6
	v_mov_b32_e32 v86, 0
	v_dot4c_i32_i8_e32 v92, v87, v7
	s_waitcnt lgkmcnt(0)
	v_ashrrev_i32_e32 v81, s3, v84
	v_and_b32_e32 v88, 0x3030303, v81
	v_ashrrev_i32_e32 v81, s3, v85
	v_and_b32_e32 v89, 0x3030303, v81
	v_add_u32_e32 v81, 0x3190, v80
	ds_read2_b32 v[84:85], v81 offset1:1
	v_add_u32_e32 v80, 0x3198, v80
	v_dot4c_i32_i8_e32 v92, v88, v8
	v_dot4c_i32_i8_e32 v92, v89, v9
	s_waitcnt lgkmcnt(0)
	v_ashrrev_i32_e32 v81, s3, v84
	v_and_b32_e32 v84, 0x3030303, v81
	v_ashrrev_i32_e32 v81, s3, v85
	v_and_b32_e32 v85, 0x3030303, v81
	ds_read2_b32 v[80:81], v80 offset1:1
	v_dot4c_i32_i8_e32 v86, v84, v2
	v_dot4c_i32_i8_e32 v86, v85, v3
	v_mov_b32_e32 v84, 0
	s_waitcnt lgkmcnt(0)
	v_ashrrev_i32_e32 v80, s3, v80
	v_and_b32_e32 v80, 0x3030303, v80
	v_dot4c_i32_i8_e32 v86, v80, v4
	ds_read_u16 v80, v90 offset:19968
	v_ashrrev_i32_e32 v81, s3, v81
	v_and_b32_e32 v81, 0x3030303, v81
	v_dot4c_i32_i8_e32 v86, v81, v5
	s_add_i32 s3, s2, 2
	s_waitcnt lgkmcnt(0)
	v_bfe_u32 v81, v80, 4, 4
	v_mul_lo_u32 v81, v81, s23
	v_dot4c_i32_i8_e32 v84, v81, v6
	v_dot4c_i32_i8_e32 v84, v81, v7
	;; [unrolled: 1-line block ×3, first 2 shown]
	v_lshrrev_b32_sdwa v6, v77, v80 dst_sel:DWORD dst_unused:UNUSED_PAD src0_sel:DWORD src1_sel:BYTE_1
	v_dot4c_i32_i8_e32 v84, v81, v9
	v_mul_lo_u32 v6, v6, s23
	v_dot4c_i32_i8_e32 v84, v6, v2
	v_and_b32_e32 v2, 15, v80
	v_dot4c_i32_i8_e32 v84, v6, v3
	v_and_b32_sdwa v3, v80, v78 dst_sel:DWORD dst_unused:UNUSED_PAD src0_sel:BYTE_1 src1_sel:DWORD
	v_and_b32_e32 v2, 0xffff, v2
	v_dot4c_i32_i8_e32 v84, v6, v4
	v_and_b32_e32 v3, 0xffff, v3
	v_mul_lo_u32 v2, v92, v2
	v_dot4c_i32_i8_e32 v84, v6, v5
	v_mad_u64_u32 v[2:3], s[16:17], v86, v3, v[2:3]
	v_cvt_f32_f16_e32 v4, v91
	v_cvt_f32_f16_sdwa v5, v91 dst_sel:DWORD dst_unused:UNUSED_PAD src0_sel:WORD_1
	v_cvt_f32_i32_e32 v2, v2
	v_cvt_f32_i32_e32 v3, v84
	s_cmp_lt_u32 s2, 14
	s_mov_b32 s2, s3
	v_pk_mul_f32 v[2:3], v[4:5], v[2:3]
	v_mov_b32_e32 v4, v82
	v_mov_b32_e32 v5, v2
	;; [unrolled: 1-line block ×3, first 2 shown]
	v_pk_add_f32 v[2:3], v[4:5], v[2:3] neg_lo:[0,1] neg_hi:[0,1]
	s_nop 0
	v_pk_fma_f32 v[26:27], v[72:73], v[2:3], v[26:27] op_sel_hi:[0,1,1]
	s_cbranch_scc1 .LBB227_19
; %bb.20:                               ;   in Loop: Header=BB227_5 Depth=1
	s_or_b32 s2, s24, 0x100
	s_cmp_ge_i32 s2, s15
	s_barrier
	s_cbranch_scc1 .LBB227_4
; %bb.21:                               ;   in Loop: Header=BB227_5 Depth=1
	v_add_u32_e32 v2, s25, v41
	v_cmp_gt_i32_e64 s[2:3], s5, v2
	s_and_b64 s[16:17], s[0:1], s[2:3]
	s_and_saveexec_b64 s[2:3], s[16:17]
	s_cbranch_execz .LBB227_23
; %bb.22:                               ;   in Loop: Header=BB227_5 Depth=1
	v_add_u32_e32 v2, v30, v2
	v_mad_i64_i32 v[2:3], s[16:17], v2, 36, v[32:33]
	global_load_dword v2, v[2:3], off offset:4
	s_waitcnt vmcnt(0)
	ds_write_b32 v25, v2
.LBB227_23:                             ;   in Loop: Header=BB227_5 Depth=1
	s_or_b64 exec, exec, s[2:3]
	s_and_saveexec_b64 s[16:17], vcc
	s_cbranch_execz .LBB227_26
; %bb.24:                               ;   in Loop: Header=BB227_5 Depth=1
	v_or_b32_e32 v2, 8, v70
	v_cmp_gt_i32_e64 s[2:3], s5, v2
	s_and_b64 s[2:3], s[0:1], s[2:3]
	s_and_b64 exec, exec, s[2:3]
	s_cbranch_execz .LBB227_26
; %bb.25:                               ;   in Loop: Header=BB227_5 Depth=1
	v_ashrrev_i32_e32 v71, 31, v70
	v_lshl_add_u64 v[2:3], v[30:31], 0, v[70:71]
	v_mad_u64_u32 v[4:5], s[2:3], v2, 36, s[10:11]
	v_mad_i32_i24 v5, v3, 36, v5
	global_load_dword v2, v[4:5], off offset:288
	s_waitcnt vmcnt(0)
	v_cvt_f32_f16_e32 v2, v2
	ds_write_b32 v37, v2
.LBB227_26:                             ;   in Loop: Header=BB227_5 Depth=1
	s_or_b64 exec, exec, s[16:17]
	s_mov_b32 s2, 16
	v_mov_b32_e32 v71, v23
	v_mov_b32_e32 v79, v35
	s_waitcnt lgkmcnt(0)
	s_barrier
.LBB227_27:                             ;   Parent Loop BB227_5 Depth=1
                                        ; =>  This Inner Loop Header: Depth=2
	s_and_b32 s17, s2, 0x3ffffff8
	v_lshl_add_u32 v80, s17, 2, v53
	ds_read_b32 v72, v79
	ds_read_b128 v[6:9], v71
	ds_read_b128 v[2:5], v71 offset:16
	ds_read2_b32 v[82:83], v80 offset1:1
	s_lshr_b32 s17, s2, 2
	s_and_b32 s17, s17, 0x3ffffffc
	s_addk_i32 s17, 0x5280
	s_add_i32 s3, s2, -16
	v_add3_u32 v90, s17, v76, v63
	ds_read_b32 v90, v90
	s_waitcnt lgkmcnt(1)
	v_ashrrev_i32_e32 v81, s3, v82
	v_ashrrev_i32_e32 v82, s3, v83
	v_and_b32_e32 v84, 0x3030303, v82
	ds_read2_b32 v[82:83], v80 offset0:2 offset1:3
	v_add3_u32 v92, s17, v65, v67
	ds_read_b32 v92, v92
	v_and_b32_e32 v81, 0x3030303, v81
	v_mov_b32_e32 v91, 0
	s_waitcnt lgkmcnt(1)
	v_ashrrev_i32_e32 v82, s3, v82
	v_and_b32_e32 v85, 0x3030303, v82
	v_ashrrev_i32_e32 v82, s3, v83
	v_and_b32_e32 v86, 0x3030303, v82
	ds_read2_b32 v[82:83], v80 offset0:4 offset1:5
	s_and_b32 s16, s2, -16
	v_dot4c_i32_i8_e32 v91, v81, v6
	v_mov_b32_e32 v81, 0
	s_add_i32 s16, s2, s16
	s_waitcnt lgkmcnt(0)
	v_ashrrev_i32_e32 v82, s3, v82
	v_and_b32_e32 v87, 0x3030303, v82
	v_ashrrev_i32_e32 v82, s3, v83
	v_and_b32_e32 v88, 0x3030303, v82
	ds_read2_b32 v[82:83], v80 offset0:6 offset1:7
	v_dot4c_i32_i8_e32 v81, v87, v2
	v_add_u32_e32 v89, s16, v45
	v_dot4c_i32_i8_e32 v81, v88, v3
	v_dot4c_i32_i8_e32 v91, v84, v7
	s_waitcnt lgkmcnt(0)
	v_ashrrev_i32_e32 v82, s3, v82
	v_and_b32_e32 v82, 0x3030303, v82
	v_dot4c_i32_i8_e32 v81, v82, v4
	ds_read_u16 v82, v89 offset:16880
	v_ashrrev_i32_e32 v83, s3, v83
	v_and_b32_e32 v83, 0x3030303, v83
	v_dot4c_i32_i8_e32 v91, v85, v8
	v_dot4c_i32_i8_e32 v81, v83, v5
	s_waitcnt lgkmcnt(0)
	v_bfe_u32 v83, v82, 4, 4
	v_dot4c_i32_i8_e32 v91, v86, v9
	v_mul_lo_u32 v83, v83, s23
	v_mov_b32_e32 v86, 0
	v_dot4c_i32_i8_e32 v86, v83, v6
	v_dot4c_i32_i8_e32 v86, v83, v7
	;; [unrolled: 1-line block ×4, first 2 shown]
	v_lshrrev_b32_sdwa v83, v77, v82 dst_sel:DWORD dst_unused:UNUSED_PAD src0_sel:DWORD src1_sel:BYTE_1
	v_mul_lo_u32 v83, v83, s23
	v_dot4c_i32_i8_e32 v86, v83, v2
	v_dot4c_i32_i8_e32 v86, v83, v3
	;; [unrolled: 1-line block ×4, first 2 shown]
	v_and_b32_e32 v83, 15, v82
	v_and_b32_sdwa v82, v82, v78 dst_sel:DWORD dst_unused:UNUSED_PAD src0_sel:BYTE_1 src1_sel:DWORD
	v_and_b32_e32 v84, 0xffff, v82
	v_and_b32_e32 v82, 0xffff, v83
	v_mul_lo_u32 v82, v91, v82
                                        ; kill: def $vgpr83 killed $sgpr0 killed $exec
	v_cvt_f32_f16_sdwa v85, v90 dst_sel:DWORD dst_unused:UNUSED_PAD src0_sel:WORD_1
	v_mad_u64_u32 v[82:83], s[26:27], v81, v84, v[82:83]
	v_cvt_f32_f16_e32 v84, v90
	v_cvt_f32_i32_e32 v82, v82
	v_cvt_f32_i32_e32 v83, v86
	v_add_u32_e32 v81, 0x1080, v80
	v_mov_b32_e32 v93, 0
	v_add_u32_e32 v91, s16, v47
	v_pk_mul_f32 v[82:83], v[84:85], v[82:83]
	ds_read2_b32 v[84:85], v81 offset1:1
	v_add_u32_e32 v79, 4, v79
	v_add_u32_e32 v71, 32, v71
	s_waitcnt lgkmcnt(0)
	v_ashrrev_i32_e32 v81, s3, v84
	v_ashrrev_i32_e32 v84, s3, v85
	v_and_b32_e32 v86, 0x3030303, v84
	v_add_u32_e32 v84, 0x1088, v80
	ds_read2_b32 v[84:85], v84 offset1:1
	v_and_b32_e32 v81, 0x3030303, v81
	v_dot4c_i32_i8_e32 v93, v81, v6
	v_mov_b32_e32 v81, 0
	v_dot4c_i32_i8_e32 v93, v86, v7
	s_waitcnt lgkmcnt(0)
	v_ashrrev_i32_e32 v84, s3, v84
	v_and_b32_e32 v87, 0x3030303, v84
	v_ashrrev_i32_e32 v84, s3, v85
	v_and_b32_e32 v88, 0x3030303, v84
	v_add_u32_e32 v84, 0x1090, v80
	ds_read2_b32 v[84:85], v84 offset1:1
	v_mov_b32_e32 v86, 0
	v_dot4c_i32_i8_e32 v93, v87, v8
	v_dot4c_i32_i8_e32 v93, v88, v9
	s_waitcnt lgkmcnt(0)
	v_ashrrev_i32_e32 v84, s3, v84
	v_and_b32_e32 v89, 0x3030303, v84
	v_ashrrev_i32_e32 v84, s3, v85
	v_and_b32_e32 v90, 0x3030303, v84
	v_add_u32_e32 v84, 0x1098, v80
	ds_read2_b32 v[84:85], v84 offset1:1
	v_dot4c_i32_i8_e32 v81, v89, v2
	v_dot4c_i32_i8_e32 v81, v90, v3
	v_add3_u32 v90, s17, v69, v73
	v_add_u32_e32 v89, s16, v49
	s_waitcnt lgkmcnt(0)
	v_ashrrev_i32_e32 v84, s3, v84
	v_and_b32_e32 v84, 0x3030303, v84
	v_dot4c_i32_i8_e32 v81, v84, v4
	ds_read_u16 v84, v91 offset:17904
	v_ashrrev_i32_e32 v85, s3, v85
	v_and_b32_e32 v85, 0x3030303, v85
	v_dot4c_i32_i8_e32 v81, v85, v5
	ds_read_b32 v90, v90
	s_waitcnt lgkmcnt(1)
	v_bfe_u32 v85, v84, 4, 4
	v_mul_lo_u32 v85, v85, s23
	v_dot4c_i32_i8_e32 v86, v85, v6
	v_dot4c_i32_i8_e32 v86, v85, v7
	;; [unrolled: 1-line block ×4, first 2 shown]
	v_lshrrev_b32_sdwa v85, v77, v84 dst_sel:DWORD dst_unused:UNUSED_PAD src0_sel:DWORD src1_sel:BYTE_1
	v_mul_lo_u32 v85, v85, s23
	v_dot4c_i32_i8_e32 v86, v85, v2
	v_dot4c_i32_i8_e32 v86, v85, v3
	;; [unrolled: 1-line block ×4, first 2 shown]
	v_and_b32_e32 v85, 15, v84
	v_and_b32_sdwa v84, v84, v78 dst_sel:DWORD dst_unused:UNUSED_PAD src0_sel:BYTE_1 src1_sel:DWORD
	v_and_b32_e32 v87, 0xffff, v84
	v_and_b32_e32 v84, 0xffff, v85
	v_mul_lo_u32 v84, v93, v84
                                        ; kill: def $vgpr85 killed $sgpr0 killed $exec
	v_mov_b32_e32 v91, 0
	v_mad_u64_u32 v[84:85], s[26:27], v81, v87, v[84:85]
	v_cvt_f32_f16_e32 v81, v92
	v_cvt_f32_i32_e32 v84, v84
	v_cvt_f32_f16_sdwa v87, v92 dst_sel:DWORD dst_unused:UNUSED_PAD src0_sel:WORD_1
	v_mov_b32_e32 v92, 0
	v_mul_f32_e32 v85, v81, v84
	v_cvt_f32_i32_e32 v81, v86
	v_mov_b32_e32 v84, v82
	v_mov_b32_e32 v86, v83
	v_mul_f32_e32 v87, v87, v81
	v_pk_add_f32 v[82:83], v[84:85], v[86:87] neg_lo:[0,1] neg_hi:[0,1]
	v_add_u32_e32 v81, 0x2100, v80
	v_pk_fma_f32 v[28:29], v[72:73], v[82:83], v[28:29] op_sel_hi:[0,1,1]
	ds_read2_b32 v[82:83], v81 offset1:1
	s_waitcnt lgkmcnt(0)
	v_ashrrev_i32_e32 v81, s3, v82
	v_ashrrev_i32_e32 v82, s3, v83
	v_and_b32_e32 v84, 0x3030303, v82
	v_add_u32_e32 v82, 0x2108, v80
	ds_read2_b32 v[82:83], v82 offset1:1
	v_and_b32_e32 v81, 0x3030303, v81
	v_dot4c_i32_i8_e32 v91, v81, v6
	v_mov_b32_e32 v81, 0
	v_dot4c_i32_i8_e32 v91, v84, v7
	s_waitcnt lgkmcnt(0)
	v_ashrrev_i32_e32 v82, s3, v82
	v_and_b32_e32 v85, 0x3030303, v82
	v_ashrrev_i32_e32 v82, s3, v83
	v_and_b32_e32 v86, 0x3030303, v82
	v_add_u32_e32 v82, 0x2110, v80
	ds_read2_b32 v[82:83], v82 offset1:1
	v_dot4c_i32_i8_e32 v91, v85, v8
	v_dot4c_i32_i8_e32 v91, v86, v9
	v_mov_b32_e32 v86, 0
	v_cvt_f32_f16_sdwa v85, v90 dst_sel:DWORD dst_unused:UNUSED_PAD src0_sel:WORD_1
	s_waitcnt lgkmcnt(0)
	v_ashrrev_i32_e32 v82, s3, v82
	v_and_b32_e32 v87, 0x3030303, v82
	v_ashrrev_i32_e32 v82, s3, v83
	v_and_b32_e32 v88, 0x3030303, v82
	v_add_u32_e32 v82, 0x2118, v80
	ds_read2_b32 v[82:83], v82 offset1:1
	v_dot4c_i32_i8_e32 v81, v87, v2
	v_dot4c_i32_i8_e32 v81, v88, v3
	s_waitcnt lgkmcnt(0)
	v_ashrrev_i32_e32 v82, s3, v82
	v_and_b32_e32 v82, 0x3030303, v82
	v_dot4c_i32_i8_e32 v81, v82, v4
	ds_read_u16 v82, v89 offset:18928
	v_ashrrev_i32_e32 v83, s3, v83
	v_and_b32_e32 v83, 0x3030303, v83
	v_dot4c_i32_i8_e32 v81, v83, v5
	s_waitcnt lgkmcnt(0)
	v_bfe_u32 v83, v82, 4, 4
	v_mul_lo_u32 v83, v83, s23
	v_dot4c_i32_i8_e32 v86, v83, v6
	v_dot4c_i32_i8_e32 v86, v83, v7
	;; [unrolled: 1-line block ×4, first 2 shown]
	v_lshrrev_b32_sdwa v83, v77, v82 dst_sel:DWORD dst_unused:UNUSED_PAD src0_sel:DWORD src1_sel:BYTE_1
	v_mul_lo_u32 v83, v83, s23
	v_dot4c_i32_i8_e32 v86, v83, v2
	v_dot4c_i32_i8_e32 v86, v83, v3
	;; [unrolled: 1-line block ×4, first 2 shown]
	v_and_b32_e32 v83, 15, v82
	v_and_b32_sdwa v82, v82, v78 dst_sel:DWORD dst_unused:UNUSED_PAD src0_sel:BYTE_1 src1_sel:DWORD
	v_and_b32_e32 v84, 0xffff, v82
	v_and_b32_e32 v82, 0xffff, v83
	v_mul_lo_u32 v82, v91, v82
                                        ; kill: def $vgpr83 killed $sgpr0 killed $exec
	v_add3_u32 v91, s17, v74, v75
	v_mad_u64_u32 v[82:83], s[26:27], v81, v84, v[82:83]
	v_cvt_f32_f16_e32 v84, v90
	v_cvt_f32_i32_e32 v82, v82
	v_cvt_f32_i32_e32 v83, v86
	v_add_u32_e32 v81, 0x3180, v80
	ds_read_b32 v91, v91
	v_add_u32_e32 v90, s16, v51
	v_pk_mul_f32 v[82:83], v[84:85], v[82:83]
	ds_read2_b32 v[84:85], v81 offset1:1
	s_waitcnt lgkmcnt(0)
	v_ashrrev_i32_e32 v81, s3, v84
	v_and_b32_e32 v86, 0x3030303, v81
	v_ashrrev_i32_e32 v81, s3, v85
	v_and_b32_e32 v87, 0x3030303, v81
	v_add_u32_e32 v81, 0x3188, v80
	ds_read2_b32 v[84:85], v81 offset1:1
	v_dot4c_i32_i8_e32 v92, v86, v6
	v_mov_b32_e32 v86, 0
	v_dot4c_i32_i8_e32 v92, v87, v7
	s_waitcnt lgkmcnt(0)
	v_ashrrev_i32_e32 v81, s3, v84
	v_and_b32_e32 v88, 0x3030303, v81
	v_ashrrev_i32_e32 v81, s3, v85
	v_and_b32_e32 v89, 0x3030303, v81
	v_add_u32_e32 v81, 0x3190, v80
	ds_read2_b32 v[84:85], v81 offset1:1
	v_add_u32_e32 v80, 0x3198, v80
	v_dot4c_i32_i8_e32 v92, v88, v8
	v_dot4c_i32_i8_e32 v92, v89, v9
	s_waitcnt lgkmcnt(0)
	v_ashrrev_i32_e32 v81, s3, v84
	v_and_b32_e32 v84, 0x3030303, v81
	v_ashrrev_i32_e32 v81, s3, v85
	v_and_b32_e32 v85, 0x3030303, v81
	ds_read2_b32 v[80:81], v80 offset1:1
	v_dot4c_i32_i8_e32 v86, v84, v2
	v_dot4c_i32_i8_e32 v86, v85, v3
	v_mov_b32_e32 v84, 0
	s_waitcnt lgkmcnt(0)
	v_ashrrev_i32_e32 v80, s3, v80
	v_and_b32_e32 v80, 0x3030303, v80
	v_dot4c_i32_i8_e32 v86, v80, v4
	ds_read_u16 v80, v90 offset:19952
	v_ashrrev_i32_e32 v81, s3, v81
	v_and_b32_e32 v81, 0x3030303, v81
	v_dot4c_i32_i8_e32 v86, v81, v5
	s_add_i32 s3, s2, 2
	s_waitcnt lgkmcnt(0)
	v_bfe_u32 v81, v80, 4, 4
	v_mul_lo_u32 v81, v81, s23
	v_dot4c_i32_i8_e32 v84, v81, v6
	v_dot4c_i32_i8_e32 v84, v81, v7
	;; [unrolled: 1-line block ×3, first 2 shown]
	v_lshrrev_b32_sdwa v6, v77, v80 dst_sel:DWORD dst_unused:UNUSED_PAD src0_sel:DWORD src1_sel:BYTE_1
	v_dot4c_i32_i8_e32 v84, v81, v9
	v_mul_lo_u32 v6, v6, s23
	v_dot4c_i32_i8_e32 v84, v6, v2
	v_and_b32_e32 v2, 15, v80
	v_dot4c_i32_i8_e32 v84, v6, v3
	v_and_b32_sdwa v3, v80, v78 dst_sel:DWORD dst_unused:UNUSED_PAD src0_sel:BYTE_1 src1_sel:DWORD
	v_and_b32_e32 v2, 0xffff, v2
	v_dot4c_i32_i8_e32 v84, v6, v4
	v_and_b32_e32 v3, 0xffff, v3
	v_mul_lo_u32 v2, v92, v2
	v_dot4c_i32_i8_e32 v84, v6, v5
	v_mad_u64_u32 v[2:3], s[16:17], v86, v3, v[2:3]
	v_cvt_f32_f16_e32 v4, v91
	v_cvt_f32_f16_sdwa v5, v91 dst_sel:DWORD dst_unused:UNUSED_PAD src0_sel:WORD_1
	v_cvt_f32_i32_e32 v2, v2
	v_cvt_f32_i32_e32 v3, v84
	s_cmp_lt_u32 s2, 22
	s_mov_b32 s2, s3
	v_pk_mul_f32 v[2:3], v[4:5], v[2:3]
	v_mov_b32_e32 v4, v82
	v_mov_b32_e32 v5, v2
	;; [unrolled: 1-line block ×3, first 2 shown]
	v_pk_add_f32 v[2:3], v[4:5], v[2:3] neg_lo:[0,1] neg_hi:[0,1]
	s_nop 0
	v_pk_fma_f32 v[26:27], v[72:73], v[2:3], v[26:27] op_sel_hi:[0,1,1]
	s_cbranch_scc1 .LBB227_27
; %bb.28:                               ;   in Loop: Header=BB227_5 Depth=1
	s_or_b32 s2, s24, 0x180
	s_cmp_ge_i32 s2, s15
	s_barrier
	s_cbranch_scc1 .LBB227_4
; %bb.29:                               ;   in Loop: Header=BB227_5 Depth=1
	v_add_u32_e32 v2, s25, v43
	v_cmp_gt_i32_e64 s[2:3], s5, v2
	s_and_b64 s[16:17], s[0:1], s[2:3]
	s_and_saveexec_b64 s[2:3], s[16:17]
	s_cbranch_execz .LBB227_31
; %bb.30:                               ;   in Loop: Header=BB227_5 Depth=1
	v_add_u32_e32 v2, v30, v2
	v_mad_i64_i32 v[2:3], s[16:17], v2, 36, v[32:33]
	global_load_dword v2, v[2:3], off offset:4
	s_waitcnt vmcnt(0)
	ds_write_b32 v25, v2
.LBB227_31:                             ;   in Loop: Header=BB227_5 Depth=1
	s_or_b64 exec, exec, s[2:3]
	s_and_saveexec_b64 s[16:17], vcc
	s_cbranch_execz .LBB227_34
; %bb.32:                               ;   in Loop: Header=BB227_5 Depth=1
	v_or_b32_e32 v2, 12, v70
	v_cmp_gt_i32_e64 s[2:3], s5, v2
	s_and_b64 s[2:3], s[0:1], s[2:3]
	s_and_b64 exec, exec, s[2:3]
	s_cbranch_execz .LBB227_34
; %bb.33:                               ;   in Loop: Header=BB227_5 Depth=1
	v_ashrrev_i32_e32 v71, 31, v70
	v_lshl_add_u64 v[2:3], v[30:31], 0, v[70:71]
	v_mad_u64_u32 v[4:5], s[2:3], v2, 36, s[10:11]
	v_mad_i32_i24 v5, v3, 36, v5
	global_load_dword v2, v[4:5], off offset:432
	s_waitcnt vmcnt(0)
	v_cvt_f32_f16_e32 v2, v2
	ds_write_b32 v37, v2
.LBB227_34:                             ;   in Loop: Header=BB227_5 Depth=1
	s_or_b64 exec, exec, s[16:17]
	s_mov_b32 s2, 24
	v_mov_b32_e32 v71, v23
	v_mov_b32_e32 v72, v35
	s_waitcnt lgkmcnt(0)
	s_barrier
.LBB227_35:                             ;   Parent Loop BB227_5 Depth=1
                                        ; =>  This Inner Loop Header: Depth=2
	s_and_b32 s17, s2, 0x3ffffff8
	v_lshl_add_u32 v79, s17, 2, v53
	ds_read_b32 v70, v72
	ds_read_b128 v[6:9], v71
	ds_read_b128 v[2:5], v71 offset:16
	ds_read2_b32 v[80:81], v79 offset1:1
	s_lshr_b32 s17, s2, 2
	s_and_b32 s17, s17, 0x3ffffffc
	s_addk_i32 s17, 0x5280
	s_sub_i32 s3, s2, 24
	v_add3_u32 v89, s17, v76, v63
	ds_read_b32 v89, v89
	s_waitcnt lgkmcnt(1)
	v_ashrrev_i32_e32 v80, s3, v80
	v_and_b32_e32 v82, 0x3030303, v80
	v_ashrrev_i32_e32 v80, s3, v81
	v_and_b32_e32 v83, 0x3030303, v80
	ds_read2_b32 v[80:81], v79 offset0:2 offset1:3
	v_add3_u32 v91, s17, v65, v67
	ds_read_b32 v91, v91
	v_mov_b32_e32 v90, 0
	s_and_b32 s16, s2, -16
	s_waitcnt lgkmcnt(1)
	v_ashrrev_i32_e32 v80, s3, v80
	v_and_b32_e32 v84, 0x3030303, v80
	v_ashrrev_i32_e32 v80, s3, v81
	v_and_b32_e32 v85, 0x3030303, v80
	ds_read2_b32 v[80:81], v79 offset0:4 offset1:5
	v_dot4c_i32_i8_e32 v90, v82, v6
	v_mov_b32_e32 v82, 0
	s_add_i32 s16, s2, s16
	v_add_u32_e32 v88, s16, v45
	s_waitcnt lgkmcnt(0)
	v_ashrrev_i32_e32 v80, s3, v80
	v_and_b32_e32 v86, 0x3030303, v80
	v_ashrrev_i32_e32 v80, s3, v81
	v_and_b32_e32 v87, 0x3030303, v80
	ds_read2_b32 v[80:81], v79 offset0:6 offset1:7
	v_dot4c_i32_i8_e32 v82, v86, v2
	v_dot4c_i32_i8_e32 v82, v87, v3
	;; [unrolled: 1-line block ×4, first 2 shown]
	s_waitcnt lgkmcnt(0)
	v_ashrrev_i32_e32 v80, s3, v80
	v_and_b32_e32 v80, 0x3030303, v80
	v_dot4c_i32_i8_e32 v82, v80, v4
	ds_read_u16 v80, v88 offset:16880
	v_ashrrev_i32_e32 v81, s3, v81
	v_and_b32_e32 v81, 0x3030303, v81
	v_dot4c_i32_i8_e32 v82, v81, v5
	v_mov_b32_e32 v84, 0
	s_waitcnt lgkmcnt(0)
	v_bfe_u32 v81, v80, 4, 4
	v_mul_lo_u32 v81, v81, s23
	v_dot4c_i32_i8_e32 v84, v81, v6
	v_dot4c_i32_i8_e32 v84, v81, v7
	;; [unrolled: 1-line block ×4, first 2 shown]
	v_lshrrev_b32_sdwa v81, v77, v80 dst_sel:DWORD dst_unused:UNUSED_PAD src0_sel:DWORD src1_sel:BYTE_1
	v_mul_lo_u32 v81, v81, s23
	v_dot4c_i32_i8_e32 v84, v81, v2
	v_dot4c_i32_i8_e32 v84, v81, v3
	v_dot4c_i32_i8_e32 v84, v81, v4
	v_dot4c_i32_i8_e32 v84, v81, v5
	v_and_b32_e32 v81, 15, v80
	v_and_b32_sdwa v80, v80, v78 dst_sel:DWORD dst_unused:UNUSED_PAD src0_sel:BYTE_1 src1_sel:DWORD
	v_dot4c_i32_i8_e32 v90, v85, v9
	v_and_b32_e32 v83, 0xffff, v80
	v_and_b32_e32 v80, 0xffff, v81
                                        ; kill: def $vgpr81 killed $sgpr0 killed $exec
	v_mov_b32_e32 v92, 0
	v_mul_lo_u32 v80, v90, v80
	v_mad_u64_u32 v[80:81], s[24:25], v82, v83, v[80:81]
	v_cvt_f32_f16_e32 v82, v89
	v_cvt_f32_f16_sdwa v83, v89 dst_sel:DWORD dst_unused:UNUSED_PAD src0_sel:WORD_1
	v_cvt_f32_i32_e32 v80, v80
	v_cvt_f32_i32_e32 v81, v84
	v_add_u32_e32 v90, s16, v47
	v_add_u32_e32 v72, 4, v72
	v_pk_mul_f32 v[80:81], v[82:83], v[80:81]
	v_add_u32_e32 v82, 0x1080, v79
	ds_read2_b32 v[82:83], v82 offset1:1
	s_waitcnt lgkmcnt(0)
	v_ashrrev_i32_e32 v82, s3, v82
	v_and_b32_e32 v84, 0x3030303, v82
	v_ashrrev_i32_e32 v82, s3, v83
	v_and_b32_e32 v85, 0x3030303, v82
	v_add_u32_e32 v82, 0x1088, v79
	ds_read2_b32 v[82:83], v82 offset1:1
	v_dot4c_i32_i8_e32 v92, v84, v6
	v_mov_b32_e32 v84, 0
	v_dot4c_i32_i8_e32 v92, v85, v7
	v_mov_b32_e32 v85, 0
	s_waitcnt lgkmcnt(0)
	v_ashrrev_i32_e32 v82, s3, v82
	v_and_b32_e32 v86, 0x3030303, v82
	v_ashrrev_i32_e32 v82, s3, v83
	v_and_b32_e32 v87, 0x3030303, v82
	v_add_u32_e32 v82, 0x1090, v79
	ds_read2_b32 v[82:83], v82 offset1:1
	v_dot4c_i32_i8_e32 v92, v86, v8
	v_dot4c_i32_i8_e32 v92, v87, v9
	s_waitcnt lgkmcnt(0)
	v_ashrrev_i32_e32 v82, s3, v82
	v_and_b32_e32 v88, 0x3030303, v82
	v_ashrrev_i32_e32 v82, s3, v83
	v_and_b32_e32 v89, 0x3030303, v82
	v_add_u32_e32 v82, 0x1098, v79
	ds_read2_b32 v[82:83], v82 offset1:1
	v_dot4c_i32_i8_e32 v84, v88, v2
	v_dot4c_i32_i8_e32 v84, v89, v3
	v_add3_u32 v89, s17, v69, v73
	v_add_u32_e32 v88, s16, v49
	s_waitcnt lgkmcnt(0)
	v_ashrrev_i32_e32 v82, s3, v82
	v_and_b32_e32 v82, 0x3030303, v82
	v_dot4c_i32_i8_e32 v84, v82, v4
	ds_read_u16 v82, v90 offset:17904
	v_ashrrev_i32_e32 v83, s3, v83
	v_and_b32_e32 v83, 0x3030303, v83
	v_dot4c_i32_i8_e32 v84, v83, v5
	ds_read_b32 v89, v89
	s_waitcnt lgkmcnt(1)
	v_bfe_u32 v83, v82, 4, 4
	v_mul_lo_u32 v83, v83, s23
	v_dot4c_i32_i8_e32 v85, v83, v6
	v_dot4c_i32_i8_e32 v85, v83, v7
	;; [unrolled: 1-line block ×4, first 2 shown]
	v_lshrrev_b32_sdwa v83, v77, v82 dst_sel:DWORD dst_unused:UNUSED_PAD src0_sel:DWORD src1_sel:BYTE_1
	v_mul_lo_u32 v83, v83, s23
	v_dot4c_i32_i8_e32 v85, v83, v2
	v_dot4c_i32_i8_e32 v85, v83, v3
	;; [unrolled: 1-line block ×4, first 2 shown]
	v_and_b32_e32 v83, 15, v82
	v_and_b32_sdwa v82, v82, v78 dst_sel:DWORD dst_unused:UNUSED_PAD src0_sel:BYTE_1 src1_sel:DWORD
	v_and_b32_e32 v86, 0xffff, v82
	v_and_b32_e32 v82, 0xffff, v83
	v_mul_lo_u32 v82, v92, v82
                                        ; kill: def $vgpr83 killed $sgpr0 killed $exec
	v_mov_b32_e32 v90, 0
	v_mad_u64_u32 v[82:83], s[24:25], v84, v86, v[82:83]
	v_cvt_f32_f16_e32 v83, v91
	v_cvt_f32_i32_e32 v82, v82
	v_cvt_f32_f16_sdwa v84, v91 dst_sel:DWORD dst_unused:UNUSED_PAD src0_sel:WORD_1
	v_mov_b32_e32 v91, 0
	v_mul_f32_e32 v83, v83, v82
	v_cvt_f32_i32_e32 v82, v85
	v_mul_f32_e32 v85, v84, v82
	v_mov_b32_e32 v82, v80
	v_mov_b32_e32 v84, v81
	v_pk_add_f32 v[80:81], v[82:83], v[84:85] neg_lo:[0,1] neg_hi:[0,1]
	s_nop 0
	v_pk_fma_f32 v[28:29], v[70:71], v[80:81], v[28:29] op_sel_hi:[0,1,1]
	v_add_u32_e32 v80, 0x2100, v79
	ds_read2_b32 v[80:81], v80 offset1:1
	s_waitcnt lgkmcnt(0)
	v_ashrrev_i32_e32 v80, s3, v80
	v_and_b32_e32 v82, 0x3030303, v80
	v_ashrrev_i32_e32 v80, s3, v81
	v_and_b32_e32 v83, 0x3030303, v80
	v_add_u32_e32 v80, 0x2108, v79
	ds_read2_b32 v[80:81], v80 offset1:1
	v_dot4c_i32_i8_e32 v90, v82, v6
	v_mov_b32_e32 v82, 0
	v_dot4c_i32_i8_e32 v90, v83, v7
	s_waitcnt lgkmcnt(0)
	v_ashrrev_i32_e32 v80, s3, v80
	v_and_b32_e32 v84, 0x3030303, v80
	v_ashrrev_i32_e32 v80, s3, v81
	v_and_b32_e32 v85, 0x3030303, v80
	v_add_u32_e32 v80, 0x2110, v79
	ds_read2_b32 v[80:81], v80 offset1:1
	v_dot4c_i32_i8_e32 v90, v84, v8
	v_mov_b32_e32 v84, 0
	v_dot4c_i32_i8_e32 v90, v85, v9
	s_waitcnt lgkmcnt(0)
	v_ashrrev_i32_e32 v80, s3, v80
	v_and_b32_e32 v86, 0x3030303, v80
	v_ashrrev_i32_e32 v80, s3, v81
	v_and_b32_e32 v87, 0x3030303, v80
	v_add_u32_e32 v80, 0x2118, v79
	ds_read2_b32 v[80:81], v80 offset1:1
	v_dot4c_i32_i8_e32 v82, v86, v2
	v_dot4c_i32_i8_e32 v82, v87, v3
	s_waitcnt lgkmcnt(0)
	v_ashrrev_i32_e32 v80, s3, v80
	v_and_b32_e32 v80, 0x3030303, v80
	v_dot4c_i32_i8_e32 v82, v80, v4
	ds_read_u16 v80, v88 offset:18928
	v_ashrrev_i32_e32 v81, s3, v81
	v_and_b32_e32 v81, 0x3030303, v81
	v_dot4c_i32_i8_e32 v82, v81, v5
	s_waitcnt lgkmcnt(0)
	v_bfe_u32 v81, v80, 4, 4
	v_mul_lo_u32 v81, v81, s23
	v_dot4c_i32_i8_e32 v84, v81, v6
	v_dot4c_i32_i8_e32 v84, v81, v7
	;; [unrolled: 1-line block ×4, first 2 shown]
	v_lshrrev_b32_sdwa v81, v77, v80 dst_sel:DWORD dst_unused:UNUSED_PAD src0_sel:DWORD src1_sel:BYTE_1
	v_mul_lo_u32 v81, v81, s23
	v_dot4c_i32_i8_e32 v84, v81, v2
	v_dot4c_i32_i8_e32 v84, v81, v3
	;; [unrolled: 1-line block ×4, first 2 shown]
	v_and_b32_e32 v81, 15, v80
	v_and_b32_sdwa v80, v80, v78 dst_sel:DWORD dst_unused:UNUSED_PAD src0_sel:BYTE_1 src1_sel:DWORD
	v_and_b32_e32 v83, 0xffff, v80
	v_and_b32_e32 v80, 0xffff, v81
	v_mul_lo_u32 v80, v90, v80
                                        ; kill: def $vgpr81 killed $sgpr0 killed $exec
	v_add3_u32 v90, s17, v74, v75
	v_mad_u64_u32 v[80:81], s[24:25], v82, v83, v[80:81]
	v_cvt_f32_f16_e32 v82, v89
	v_cvt_f32_f16_sdwa v83, v89 dst_sel:DWORD dst_unused:UNUSED_PAD src0_sel:WORD_1
	v_cvt_f32_i32_e32 v80, v80
	v_cvt_f32_i32_e32 v81, v84
	ds_read_b32 v90, v90
	v_pk_mul_f32 v[80:81], v[82:83], v[80:81]
	v_add_u32_e32 v82, 0x3180, v79
	ds_read2_b32 v[82:83], v82 offset1:1
	s_waitcnt lgkmcnt(0)
	v_ashrrev_i32_e32 v82, s3, v82
	v_and_b32_e32 v84, 0x3030303, v82
	v_ashrrev_i32_e32 v82, s3, v83
	v_and_b32_e32 v85, 0x3030303, v82
	v_add_u32_e32 v82, 0x3188, v79
	ds_read2_b32 v[82:83], v82 offset1:1
	v_dot4c_i32_i8_e32 v91, v84, v6
	v_mov_b32_e32 v84, 0
	v_dot4c_i32_i8_e32 v91, v85, v7
	s_waitcnt lgkmcnt(0)
	v_ashrrev_i32_e32 v82, s3, v82
	v_and_b32_e32 v86, 0x3030303, v82
	v_ashrrev_i32_e32 v82, s3, v83
	v_and_b32_e32 v87, 0x3030303, v82
	v_add_u32_e32 v82, 0x3190, v79
	ds_read2_b32 v[82:83], v82 offset1:1
	v_add_u32_e32 v79, 0x3198, v79
	v_dot4c_i32_i8_e32 v91, v86, v8
	v_dot4c_i32_i8_e32 v91, v87, v9
	s_waitcnt lgkmcnt(0)
	v_ashrrev_i32_e32 v82, s3, v82
	v_and_b32_e32 v88, 0x3030303, v82
	v_ashrrev_i32_e32 v82, s3, v83
	v_and_b32_e32 v89, 0x3030303, v82
	ds_read2_b32 v[82:83], v79 offset1:1
	v_dot4c_i32_i8_e32 v84, v88, v2
	v_dot4c_i32_i8_e32 v84, v89, v3
	s_waitcnt lgkmcnt(0)
	v_ashrrev_i32_e32 v79, s3, v82
	v_and_b32_e32 v79, 0x3030303, v79
	v_ashrrev_i32_e32 v82, s3, v83
	v_add_u32_e32 v83, s16, v51
	v_dot4c_i32_i8_e32 v84, v79, v4
	ds_read_u16 v79, v83 offset:19952
	v_and_b32_e32 v82, 0x3030303, v82
	v_dot4c_i32_i8_e32 v84, v82, v5
	v_mov_b32_e32 v83, 0
	s_add_i32 s3, s2, 2
	s_waitcnt lgkmcnt(0)
	v_bfe_u32 v82, v79, 4, 4
	v_mul_lo_u32 v82, v82, s23
	v_dot4c_i32_i8_e32 v83, v82, v6
	v_dot4c_i32_i8_e32 v83, v82, v7
	v_dot4c_i32_i8_e32 v83, v82, v8
	v_lshrrev_b32_sdwa v6, v77, v79 dst_sel:DWORD dst_unused:UNUSED_PAD src0_sel:DWORD src1_sel:BYTE_1
	v_dot4c_i32_i8_e32 v83, v82, v9
	v_mul_lo_u32 v6, v6, s23
	v_dot4c_i32_i8_e32 v83, v6, v2
	v_and_b32_e32 v2, 15, v79
	v_dot4c_i32_i8_e32 v83, v6, v3
	v_and_b32_sdwa v3, v79, v78 dst_sel:DWORD dst_unused:UNUSED_PAD src0_sel:BYTE_1 src1_sel:DWORD
	v_and_b32_e32 v2, 0xffff, v2
	v_dot4c_i32_i8_e32 v83, v6, v4
	v_and_b32_e32 v3, 0xffff, v3
	v_mul_lo_u32 v2, v91, v2
	v_dot4c_i32_i8_e32 v83, v6, v5
	v_mad_u64_u32 v[2:3], s[16:17], v84, v3, v[2:3]
	v_cvt_f32_f16_e32 v4, v90
	v_cvt_f32_f16_sdwa v5, v90 dst_sel:DWORD dst_unused:UNUSED_PAD src0_sel:WORD_1
	v_cvt_f32_i32_e32 v2, v2
	v_cvt_f32_i32_e32 v3, v83
	s_cmp_lt_u32 s2, 30
	s_mov_b32 s2, s3
	v_pk_mul_f32 v[2:3], v[4:5], v[2:3]
	v_mov_b32_e32 v4, v80
	v_mov_b32_e32 v5, v2
	;; [unrolled: 1-line block ×3, first 2 shown]
	v_pk_add_f32 v[2:3], v[4:5], v[2:3] neg_lo:[0,1] neg_hi:[0,1]
	s_nop 0
	v_pk_fma_f32 v[26:27], v[70:71], v[2:3], v[26:27] op_sel_hi:[0,1,1]
	v_add_u32_e32 v71, 32, v71
	s_cbranch_scc1 .LBB227_35
; %bb.36:                               ;   in Loop: Header=BB227_5 Depth=1
	s_barrier
	s_branch .LBB227_4
.LBB227_37:
	s_mul_i32 s0, s7, s4
	s_waitcnt vmcnt(0)
	v_cmp_gt_i32_e32 vcc, s0, v1
	s_and_saveexec_b64 s[0:1], vcc
	s_cbranch_execz .LBB227_46
; %bb.38:
	v_and_b32_e32 v0, 0x3ff, v0
	v_add_u32_e32 v2, s18, v0
	v_mul_lo_u32 v0, v1, s6
	v_cmp_gt_u32_e32 vcc, s6, v2
	s_and_saveexec_b64 s[0:1], vcc
	s_cbranch_execz .LBB227_40
; %bb.39:
	v_bfe_u32 v1, v28, 16, 1
	s_movk_i32 s2, 0x7fff
	v_add3_u32 v1, v28, v1, s2
	v_cmp_o_f32_e32 vcc, v28, v28
	v_mov_b32_e32 v3, 0x7fc0
	v_add_u32_e32 v4, v0, v2
	v_mov_b32_e32 v5, 0
	v_cndmask_b32_sdwa v1, v3, v1, vcc dst_sel:DWORD dst_unused:UNUSED_PAD src0_sel:DWORD src1_sel:WORD_1
	v_lshl_add_u64 v[4:5], v[4:5], 1, s[12:13]
	global_store_short v[4:5], v1, off
.LBB227_40:
	s_or_b64 exec, exec, s[0:1]
	v_add_u32_e32 v1, 32, v2
	v_cmp_gt_u32_e32 vcc, s6, v1
	s_and_saveexec_b64 s[0:1], vcc
	s_cbranch_execz .LBB227_42
; %bb.41:
	v_bfe_u32 v3, v29, 16, 1
	s_movk_i32 s2, 0x7fff
	v_add3_u32 v3, v29, v3, s2
	v_cmp_o_f32_e32 vcc, v29, v29
	v_mov_b32_e32 v4, 0x7fc0
	v_mov_b32_e32 v5, 0
	v_cndmask_b32_sdwa v3, v4, v3, vcc dst_sel:DWORD dst_unused:UNUSED_PAD src0_sel:DWORD src1_sel:WORD_1
	v_add_u32_e32 v4, v0, v1
	v_lshl_add_u64 v[4:5], v[4:5], 1, s[12:13]
	global_store_short v[4:5], v3, off
.LBB227_42:
	s_or_b64 exec, exec, s[0:1]
	v_add_u32_e32 v1, 64, v2
	v_cmp_gt_u32_e32 vcc, s6, v1
	s_and_saveexec_b64 s[0:1], vcc
	s_cbranch_execz .LBB227_44
; %bb.43:
	v_bfe_u32 v3, v26, 16, 1
	s_movk_i32 s2, 0x7fff
	v_add3_u32 v3, v26, v3, s2
	v_cmp_o_f32_e32 vcc, v26, v26
	v_mov_b32_e32 v4, 0x7fc0
	v_mov_b32_e32 v5, 0
	v_cndmask_b32_sdwa v3, v4, v3, vcc dst_sel:DWORD dst_unused:UNUSED_PAD src0_sel:DWORD src1_sel:WORD_1
	v_add_u32_e32 v4, v0, v1
	v_lshl_add_u64 v[4:5], v[4:5], 1, s[12:13]
	global_store_short v[4:5], v3, off
.LBB227_44:
	s_or_b64 exec, exec, s[0:1]
	v_add_u32_e32 v1, 0x60, v2
	v_cmp_gt_u32_e32 vcc, s6, v1
	s_and_b64 exec, exec, vcc
	s_cbranch_execz .LBB227_46
; %bb.45:
	v_bfe_u32 v2, v27, 16, 1
	s_movk_i32 s0, 0x7fff
	v_add3_u32 v2, v27, v2, s0
	v_cmp_o_f32_e32 vcc, v27, v27
	v_mov_b32_e32 v3, 0x7fc0
	v_add_u32_e32 v0, v0, v1
	v_mov_b32_e32 v1, 0
	v_cndmask_b32_sdwa v2, v3, v2, vcc dst_sel:DWORD dst_unused:UNUSED_PAD src0_sel:DWORD src1_sel:WORD_1
	v_lshl_add_u64 v[0:1], v[0:1], 1, s[12:13]
	global_store_short v[0:1], v2, off
.LBB227_46:
	s_endpgm
	.section	.rodata,"a",@progbits
	.p2align	6, 0x0
	.amdhsa_kernel _ZL8moe_q2_KIN3c108BFloat16ELb0EEvPKvS3_PT_PKiS7_S7_iiiiiii
		.amdhsa_group_segment_fixed_size 23328
		.amdhsa_private_segment_fixed_size 0
		.amdhsa_kernarg_size 76
		.amdhsa_user_sgpr_count 2
		.amdhsa_user_sgpr_dispatch_ptr 0
		.amdhsa_user_sgpr_queue_ptr 0
		.amdhsa_user_sgpr_kernarg_segment_ptr 1
		.amdhsa_user_sgpr_dispatch_id 0
		.amdhsa_user_sgpr_kernarg_preload_length 0
		.amdhsa_user_sgpr_kernarg_preload_offset 0
		.amdhsa_user_sgpr_private_segment_size 0
		.amdhsa_uses_dynamic_stack 0
		.amdhsa_enable_private_segment 0
		.amdhsa_system_sgpr_workgroup_id_x 1
		.amdhsa_system_sgpr_workgroup_id_y 1
		.amdhsa_system_sgpr_workgroup_id_z 0
		.amdhsa_system_sgpr_workgroup_info 0
		.amdhsa_system_vgpr_workitem_id 1
		.amdhsa_next_free_vgpr 102
		.amdhsa_next_free_sgpr 75
		.amdhsa_accum_offset 104
		.amdhsa_reserve_vcc 1
		.amdhsa_float_round_mode_32 0
		.amdhsa_float_round_mode_16_64 0
		.amdhsa_float_denorm_mode_32 3
		.amdhsa_float_denorm_mode_16_64 3
		.amdhsa_dx10_clamp 1
		.amdhsa_ieee_mode 1
		.amdhsa_fp16_overflow 0
		.amdhsa_tg_split 0
		.amdhsa_exception_fp_ieee_invalid_op 0
		.amdhsa_exception_fp_denorm_src 0
		.amdhsa_exception_fp_ieee_div_zero 0
		.amdhsa_exception_fp_ieee_overflow 0
		.amdhsa_exception_fp_ieee_underflow 0
		.amdhsa_exception_fp_ieee_inexact 0
		.amdhsa_exception_int_div_zero 0
	.end_amdhsa_kernel
	.section	.text._ZL8moe_q2_KIN3c108BFloat16ELb0EEvPKvS3_PT_PKiS7_S7_iiiiiii,"axG",@progbits,_ZL8moe_q2_KIN3c108BFloat16ELb0EEvPKvS3_PT_PKiS7_S7_iiiiiii,comdat
.Lfunc_end227:
	.size	_ZL8moe_q2_KIN3c108BFloat16ELb0EEvPKvS3_PT_PKiS7_S7_iiiiiii, .Lfunc_end227-_ZL8moe_q2_KIN3c108BFloat16ELb0EEvPKvS3_PT_PKiS7_S7_iiiiiii
                                        ; -- End function
	.set _ZL8moe_q2_KIN3c108BFloat16ELb0EEvPKvS3_PT_PKiS7_S7_iiiiiii.num_vgpr, 102
	.set _ZL8moe_q2_KIN3c108BFloat16ELb0EEvPKvS3_PT_PKiS7_S7_iiiiiii.num_agpr, 0
	.set _ZL8moe_q2_KIN3c108BFloat16ELb0EEvPKvS3_PT_PKiS7_S7_iiiiiii.numbered_sgpr, 28
	.set _ZL8moe_q2_KIN3c108BFloat16ELb0EEvPKvS3_PT_PKiS7_S7_iiiiiii.num_named_barrier, 0
	.set _ZL8moe_q2_KIN3c108BFloat16ELb0EEvPKvS3_PT_PKiS7_S7_iiiiiii.private_seg_size, 0
	.set _ZL8moe_q2_KIN3c108BFloat16ELb0EEvPKvS3_PT_PKiS7_S7_iiiiiii.uses_vcc, 1
	.set _ZL8moe_q2_KIN3c108BFloat16ELb0EEvPKvS3_PT_PKiS7_S7_iiiiiii.uses_flat_scratch, 0
	.set _ZL8moe_q2_KIN3c108BFloat16ELb0EEvPKvS3_PT_PKiS7_S7_iiiiiii.has_dyn_sized_stack, 0
	.set _ZL8moe_q2_KIN3c108BFloat16ELb0EEvPKvS3_PT_PKiS7_S7_iiiiiii.has_recursion, 0
	.set _ZL8moe_q2_KIN3c108BFloat16ELb0EEvPKvS3_PT_PKiS7_S7_iiiiiii.has_indirect_call, 0
	.section	.AMDGPU.csdata,"",@progbits
; Kernel info:
; codeLenInByte = 9780
; TotalNumSgprs: 34
; NumVgprs: 102
; NumAgprs: 0
; TotalNumVgprs: 102
; ScratchSize: 0
; MemoryBound: 0
; FloatMode: 240
; IeeeMode: 1
; LDSByteSize: 23328 bytes/workgroup (compile time only)
; SGPRBlocks: 10
; VGPRBlocks: 12
; NumSGPRsForWavesPerEU: 81
; NumVGPRsForWavesPerEU: 102
; AccumOffset: 104
; Occupancy: 4
; WaveLimiterHint : 1
; COMPUTE_PGM_RSRC2:SCRATCH_EN: 0
; COMPUTE_PGM_RSRC2:USER_SGPR: 2
; COMPUTE_PGM_RSRC2:TRAP_HANDLER: 0
; COMPUTE_PGM_RSRC2:TGID_X_EN: 1
; COMPUTE_PGM_RSRC2:TGID_Y_EN: 1
; COMPUTE_PGM_RSRC2:TGID_Z_EN: 0
; COMPUTE_PGM_RSRC2:TIDIG_COMP_CNT: 1
; COMPUTE_PGM_RSRC3_GFX90A:ACCUM_OFFSET: 25
; COMPUTE_PGM_RSRC3_GFX90A:TG_SPLIT: 0
	.section	.text._ZL8moe_q2_KIN3c108BFloat16ELb1EEvPKvS3_PT_PKiS7_S7_iiiiiii,"axG",@progbits,_ZL8moe_q2_KIN3c108BFloat16ELb1EEvPKvS3_PT_PKiS7_S7_iiiiiii,comdat
	.globl	_ZL8moe_q2_KIN3c108BFloat16ELb1EEvPKvS3_PT_PKiS7_S7_iiiiiii ; -- Begin function _ZL8moe_q2_KIN3c108BFloat16ELb1EEvPKvS3_PT_PKiS7_S7_iiiiiii
	.p2align	8
	.type	_ZL8moe_q2_KIN3c108BFloat16ELb1EEvPKvS3_PT_PKiS7_S7_iiiiiii,@function
_ZL8moe_q2_KIN3c108BFloat16ELb1EEvPKvS3_PT_PKiS7_S7_iiiiiii: ; @_ZL8moe_q2_KIN3c108BFloat16ELb1EEvPKvS3_PT_PKiS7_S7_iiiiiii
; %bb.0:
	s_load_dwordx4 s[4:7], s[0:1], 0x18
	s_mov_b32 s8, s3
	s_mov_b32 s9, 0
	s_lshl_b64 s[10:11], s[8:9], 2
	s_waitcnt lgkmcnt(0)
	s_add_u32 s6, s6, s10
	s_addc_u32 s7, s7, s11
	s_load_dword s3, s[6:7], 0x0
	s_waitcnt lgkmcnt(0)
	s_cmpk_gt_u32 s3, 0xff
	s_cbranch_scc1 .LBB228_46
; %bb.1:
	s_load_dwordx2 s[6:7], s[0:1], 0x28
	s_waitcnt lgkmcnt(0)
	s_load_dword s7, s[6:7], 0x0
	s_lshl_b32 s6, s8, 3
	s_waitcnt lgkmcnt(0)
	s_cmp_gt_u32 s6, s7
	s_cbranch_scc1 .LBB228_46
; %bb.2:
	v_bfe_u32 v2, v0, 10, 10
	v_mov_b32_e32 v4, s4
	v_mov_b32_e32 v5, s5
	v_add_u32_e32 v34, s6, v2
	v_mov_b32_e32 v35, 0
	v_lshl_add_u64 v[4:5], v[34:35], 2, v[4:5]
	global_load_dword v1, v[4:5], off
	s_load_dwordx8 s[4:11], s[0:1], 0x30
	s_load_dwordx2 s[16:17], s[0:1], 0x10
	s_waitcnt lgkmcnt(0)
	s_lshl_b32 s11, s2, 7
	v_mov_b32_e32 v34, v35
	v_mov_b32_e32 v37, v35
	s_cmpk_lt_i32 s5, 0x100
	v_mov_b32_e32 v36, v35
	s_cbranch_scc1 .LBB228_37
; %bb.3:
	s_load_dwordx4 s[12:15], s[0:1], 0x0
	s_ashr_i32 s0, s5, 31
	s_lshr_b32 s0, s0, 24
	s_add_i32 s0, s5, s0
	s_ashr_i32 s20, s0, 8
	s_ashr_i32 s0, s8, 31
	s_lshr_b32 s0, s0, 27
	s_add_i32 s0, s8, s0
	s_mul_i32 s3, s3, s4
	s_ashr_i32 s8, s0, 5
	s_ashr_i32 s0, s3, 31
	s_waitcnt lgkmcnt(0)
	s_add_u32 s1, s12, s3
	s_mul_i32 s2, s20, s11
	s_addc_u32 s0, s13, s0
	s_mul_hi_i32 s3, s2, 0x54
	s_mulk_i32 s2, 0x54
	s_add_u32 s21, s1, s2
	s_addc_u32 s22, s0, s3
	s_not_b32 s0, s11
	s_add_i32 s1, s6, s0
	v_add_u32_e32 v3, 8, v2
	v_min_i32_e32 v6, s1, v3
	v_add_u32_e32 v3, 16, v2
	v_min_i32_e32 v7, s1, v3
	;; [unrolled: 2-line block ×11, first 2 shown]
	v_add_u32_e32 v3, 0x60, v2
	v_and_b32_e32 v33, 0x3ff, v0
	v_min_i32_e32 v79, s1, v3
	v_add_u32_e32 v3, 0x68, v2
	v_lshlrev_b32_e32 v4, 2, v33
	v_min_i32_e32 v5, s1, v2
	s_movk_i32 s0, 0x84
	v_min_i32_e32 v81, s1, v3
	v_add_u32_e32 v3, 0x70, v2
	v_mad_u64_u32 v[12:13], s[2:3], v5, s0, v[4:5]
	v_min_i32_e32 v83, s1, v3
	v_add_u32_e32 v3, 0x78, v2
	v_min_i32_e32 v85, s1, v3
	v_lshlrev_b32_e32 v3, 4, v2
	v_bfe_u32 v13, v0, 1, 9
	v_add_u32_e32 v13, v13, v3
	v_and_b32_e32 v13, 0x7f, v13
	v_min_i32_e32 v87, s1, v13
	v_ashrrev_i32_e32 v13, 31, v87
	v_lshrrev_b32_e32 v13, 28, v13
	v_add_u32_e32 v13, v87, v13
	v_mad_u64_u32 v[14:15], s[2:3], v6, s0, v[4:5]
	v_mad_u64_u32 v[16:17], s[2:3], v7, s0, v[4:5]
	;; [unrolled: 1-line block ×9, first 2 shown]
	v_and_b32_e32 v32, 1, v0
	v_ashrrev_i32_e32 v13, 4, v13
	v_lshlrev_b32_e32 v13, 2, v13
	v_lshlrev_b32_e32 v15, 2, v32
	s_movk_i32 s2, 0x5280
	v_add3_u32 v25, v13, v15, s2
	v_bfe_u32 v13, v0, 3, 7
	v_lshl_add_u32 v15, v2, 2, v13
	v_min_i32_e32 v89, s1, v15
	v_ashrrev_i32_e32 v19, 31, v89
	v_lshrrev_b32_e32 v19, 30, v19
	v_and_b32_e32 v17, 7, v0
	v_add_u32_e32 v19, v89, v19
	v_cmp_lt_u32_e64 s[2:3], 3, v17
	v_and_b32_e32 v19, -4, v19
	v_lshlrev_b32_e32 v17, 2, v17
	s_movk_i32 s12, 0x4200
	v_add3_u32 v29, v19, v17, s12
	v_add_u32_e32 v19, 32, v15
	v_min_i32_e32 v91, s1, v19
	v_ashrrev_i32_e32 v19, 31, v91
	v_lshrrev_b32_e32 v19, 30, v19
	v_add_u32_e32 v19, v91, v19
	v_and_b32_e32 v19, -4, v19
	v_add3_u32 v31, v19, v17, s12
	v_add_u32_e32 v19, 64, v15
	v_add_u32_e32 v15, 0x60, v15
	v_min_i32_e32 v93, s1, v19
	v_min_i32_e32 v95, s1, v15
	v_ashrrev_i32_e32 v19, 31, v93
	v_ashrrev_i32_e32 v15, 31, v95
	v_lshrrev_b32_e32 v19, 30, v19
	v_lshrrev_b32_e32 v15, 30, v15
	v_add_u32_e32 v19, v93, v19
	v_add_u32_e32 v15, v95, v15
	v_and_b32_e32 v19, -4, v19
	v_and_b32_e32 v15, -4, v15
	s_abs_i32 s1, s10
	v_add3_u32 v34, v19, v17, s12
	v_add3_u32 v35, v15, v17, s12
	v_cvt_f32_u32_e32 v17, s1
	v_mov_b32_e32 v15, 0x56a0
	v_lshl_add_u32 v15, v2, 7, v15
	s_sub_i32 s12, 0, s1
	v_rcp_iflag_f32_e32 v2, v17
	s_waitcnt vmcnt(0)
	v_sub_u32_e32 v19, 0, v1
	v_max_i32_e32 v19, v1, v19
	v_xor_b32_e32 v17, s10, v1
	v_mul_f32_e32 v2, 0x4f7ffffe, v2
	v_cvt_u32_f32_e32 v2, v2
	v_ashrrev_i32_e32 v17, 31, v17
	v_add_u32_e32 v36, 32, v33
	v_add_u32_e32 v37, 64, v33
	v_mul_lo_u32 v21, s12, v2
	v_mul_hi_u32 v21, v2, v21
	v_add_u32_e32 v2, v2, v21
	v_mul_hi_u32 v2, v19, v2
	v_mul_lo_u32 v21, v2, s1
	v_sub_u32_e32 v19, v19, v21
	v_add_u32_e32 v21, 1, v2
	v_cmp_le_u32_e32 vcc, s1, v19
	v_add_u32_e32 v52, 0x60, v33
	v_and_b32_e32 v23, 0x1fc, v52
	v_cndmask_b32_e32 v2, v2, v21, vcc
	v_subrev_u32_e32 v21, s1, v19
	v_cndmask_b32_e32 v19, v19, v21, vcc
	v_add_u32_e32 v21, 1, v2
	v_cmp_le_u32_e32 vcc, s1, v19
	v_and_b32_e32 v19, 0x1fc, v36
	v_lshlrev_b32_e32 v27, 3, v87
	v_cndmask_b32_e32 v2, v2, v21, vcc
	v_xor_b32_e32 v2, v2, v17
	v_sub_u32_e32 v54, v2, v17
	v_lshlrev_b32_e32 v2, 5, v33
	v_and_b32_e32 v17, 0xfc, v0
	v_and_b32_e32 v21, 0x1fc, v37
	v_add_u32_e32 v17, v2, v17
	v_add_u32_e32 v19, v2, v19
	;; [unrolled: 1-line block ×4, first 2 shown]
	v_lshlrev_b32_e32 v2, 5, v89
	v_lshlrev_b32_e32 v38, 5, v91
	v_mov_b32_e32 v11, 0
	v_add_u32_e32 v25, v25, v27
	v_add_u32_e32 v27, v29, v2
	v_lshlrev_b32_e32 v2, 5, v93
	v_add_u32_e32 v29, v31, v38
	v_lshlrev_b32_e32 v38, 5, v95
	v_add_u32_e32 v59, 0x5aa0, v3
	v_and_b32_e32 v10, 60, v4
	v_add_u32_e32 v31, v34, v2
	v_add_u32_e32 v57, v35, v38
	v_and_b32_e32 v38, 12, v4
	v_add_u32_e32 v61, v59, v4
	v_mad_u64_u32 v[40:41], s[12:13], v75, s0, v[4:5]
	v_mad_u64_u32 v[42:43], s[12:13], v77, s0, v[4:5]
	;; [unrolled: 1-line block ×6, first 2 shown]
	v_and_b32_e32 v2, 28, v4
	v_mov_b32_e32 v3, v11
	v_and_b32_e32 v4, 31, v0
	v_lshl_add_u32 v41, v4, 2, v15
	v_lshlrev_b32_e32 v4, 1, v36
	v_lshrrev_b32_e32 v34, 4, v36
	v_lshrrev_b32_e32 v43, 3, v36
	v_lshlrev_b32_e32 v35, 1, v37
	v_lshrrev_b32_e32 v36, 4, v37
	v_lshrrev_b32_e32 v45, 3, v37
	;; [unrolled: 3-line block ×3, first 2 shown]
	v_lshl_add_u64 v[52:53], s[14:15], 0, v[2:3]
	v_mul_u32_u24_e32 v2, 33, v33
	v_cmp_gt_u32_e32 vcc, 4, v33
	v_cmp_gt_i32_e64 s[0:1], s7, v54
	v_lshlrev_b32_e32 v49, 2, v2
	v_mul_lo_u32 v54, v54, s8
	v_lshlrev_b32_e32 v2, 1, v33
	v_bfe_u32 v98, v0, 4, 6
	s_movk_i32 s4, 0x54
	s_mov_b32 s6, 0
	v_mov_b32_e32 v39, v11
	s_and_b64 s[12:13], vcc, s[0:1]
	v_ashrrev_i32_e32 v55, 31, v54
	v_lshlrev_b32_e32 v51, 2, v2
	s_mov_b32 s23, 0x1010101
	v_lshlrev_b32_e32 v63, 2, v34
	v_lshlrev_b32_e32 v65, 2, v4
	;; [unrolled: 1-line block ×6, first 2 shown]
	v_mov_b32_e32 v36, v11
	v_mov_b32_e32 v37, v11
	;; [unrolled: 1-line block ×4, first 2 shown]
	v_mul_lo_u32 v56, v5, s20
	v_mul_lo_u32 v58, v6, s20
	;; [unrolled: 1-line block ×21, first 2 shown]
	v_add_u32_e32 v75, 0x4200, v17
	v_add_u32_e32 v77, 0x4600, v19
	v_add_u32_e32 v79, 0x4a00, v21
	v_add_u32_e32 v81, 0x4e00, v23
	v_lshlrev_b32_e32 v83, 2, v98
	v_mov_b32_e32 v85, 4
	v_mov_b32_e32 v87, 15
	v_cndmask_b32_e64 v100, 0, 1, s[2:3]
	s_branch .LBB228_5
.LBB228_4:                              ;   in Loop: Header=BB228_5 Depth=1
	s_add_i32 s6, s6, 2
	s_cmp_ge_i32 s6, s20
	s_cbranch_scc1 .LBB228_37
.LBB228_5:                              ; =>This Loop Header: Depth=1
                                        ;     Child Loop BB228_11 Depth 2
                                        ;     Child Loop BB228_19 Depth 2
	;; [unrolled: 1-line block ×4, first 2 shown]
	s_mul_i32 s2, s6, 0x54
	s_mul_hi_u32 s3, s6, 0x54
	s_add_u32 s2, s21, s2
	s_addc_u32 s3, s22, s3
	v_mov_b64_e32 v[2:3], s[2:3]
	v_mad_u64_u32 v[4:5], s[2:3], v98, s4, v[2:3]
	v_mad_i64_i32 v[6:7], s[2:3], v56, s4, v[4:5]
	v_mad_i64_i32 v[8:9], s[2:3], v58, s4, v[4:5]
	;; [unrolled: 1-line block ×7, first 2 shown]
	v_lshl_add_u64 v[6:7], v[6:7], 0, v[10:11]
	v_lshl_add_u64 v[8:9], v[8:9], 0, v[10:11]
	;; [unrolled: 1-line block ×7, first 2 shown]
	v_mad_i64_i32 v[112:113], s[2:3], v70, s4, v[4:5]
	v_lshl_add_u64 v[112:113], v[112:113], 0, v[10:11]
	global_load_dword v89, v[6:7], off offset:16
	global_load_dword v91, v[8:9], off offset:16
	;; [unrolled: 1-line block ×8, first 2 shown]
	v_mad_i64_i32 v[6:7], s[2:3], v72, s4, v[4:5]
	v_mad_i64_i32 v[8:9], s[2:3], v74, s4, v[4:5]
	v_mad_i64_i32 v[102:103], s[2:3], v76, s4, v[4:5]
	v_mad_i64_i32 v[104:105], s[2:3], v78, s4, v[4:5]
	v_mad_i64_i32 v[106:107], s[2:3], v80, s4, v[4:5]
	v_mad_i64_i32 v[108:109], s[2:3], v82, s4, v[4:5]
	v_mad_i64_i32 v[110:111], s[2:3], v84, s4, v[4:5]
	v_mad_i64_i32 v[4:5], s[2:3], v86, s4, v[4:5]
	v_lshl_add_u64 v[6:7], v[6:7], 0, v[10:11]
	v_lshl_add_u64 v[4:5], v[4:5], 0, v[10:11]
	;; [unrolled: 1-line block ×8, first 2 shown]
	global_load_dword v112, v[6:7], off offset:16
	global_load_dword v113, v[8:9], off offset:16
	;; [unrolled: 1-line block ×8, first 2 shown]
	v_mad_i64_i32 v[4:5], s[2:3], v88, s4, v[2:3]
	v_mad_u64_u32 v[2:3], s[2:3], v100, s4, v[2:3]
	v_lshl_add_u64 v[2:3], v[2:3], 0, v[38:39]
	v_mad_u64_u32 v[4:5], s[2:3], v32, s4, v[4:5]
	v_mad_i64_i32 v[6:7], s[2:3], v90, s4, v[2:3]
	v_mad_i64_i32 v[8:9], s[2:3], v92, s4, v[2:3]
	;; [unrolled: 1-line block ×4, first 2 shown]
	global_load_dword v104, v[4:5], off offset:80
	global_load_dword v105, v[6:7], off
	global_load_dword v106, v[8:9], off
	;; [unrolled: 1-line block ×3, first 2 shown]
	s_lshl_b32 s24, s6, 8
	global_load_dword v2, v[2:3], off
	s_cmp_lt_i32 s24, s5
	s_waitcnt vmcnt(20)
	ds_write_b32 v12, v89
	s_waitcnt vmcnt(19)
	ds_write_b32 v14, v91
	;; [unrolled: 2-line block ×21, first 2 shown]
	s_cbranch_scc0 .LBB228_4
; %bb.6:                                ;   in Loop: Header=BB228_5 Depth=1
	s_lshl_b32 s25, s6, 3
	v_add_u32_e32 v2, s25, v13
	v_cmp_gt_i32_e64 s[2:3], s8, v2
	s_and_b64 s[18:19], s[0:1], s[2:3]
	s_and_saveexec_b64 s[2:3], s[18:19]
	s_cbranch_execz .LBB228_8
; %bb.7:                                ;   in Loop: Header=BB228_5 Depth=1
	v_add_u32_e32 v2, v54, v2
	v_mad_i64_i32 v[2:3], s[18:19], v2, 36, v[52:53]
	global_load_dword v2, v[2:3], off offset:4
	s_waitcnt vmcnt(0)
	ds_write_b32 v41, v2
.LBB228_8:                              ;   in Loop: Header=BB228_5 Depth=1
	s_or_b64 exec, exec, s[2:3]
	v_add_u32_e32 v102, s25, v33
	v_cmp_gt_i32_e64 s[2:3], s8, v102
	s_and_b64 s[18:19], s[12:13], s[2:3]
	s_and_saveexec_b64 s[2:3], s[18:19]
	s_cbranch_execz .LBB228_10
; %bb.9:                                ;   in Loop: Header=BB228_5 Depth=1
	v_add_u32_e32 v2, v54, v102
	v_mad_i64_i32 v[2:3], s[18:19], v2, 36, s[14:15]
	global_load_dword v2, v[2:3], off
	s_waitcnt vmcnt(0)
	v_cvt_f32_f16_e32 v2, v2
	ds_write_b32 v61, v2
.LBB228_10:                             ;   in Loop: Header=BB228_5 Depth=1
	s_or_b64 exec, exec, s[2:3]
	s_mov_b32 s2, 0
	v_mov_b32_e32 v89, v59
	v_mov_b32_e32 v91, v15
	s_waitcnt lgkmcnt(0)
	s_barrier
.LBB228_11:                             ;   Parent Loop BB228_5 Depth=1
                                        ; =>  This Inner Loop Header: Depth=2
	s_and_b32 s18, s2, 0x3ffffff8
	v_lshl_add_u32 v93, s18, 2, v49
	ds_read_b32 v104, v89
	ds_read_b128 v[6:9], v91
	ds_read_b128 v[2:5], v91 offset:16
	ds_read2_b32 v[106:107], v93 offset1:1
	s_lshr_b32 s18, s2, 2
	s_and_b32 s18, s18, 0x3ffffffc
	s_addk_i32 s18, 0x5280
	v_add3_u32 v109, s18, v83, v51
	s_and_b32 s3, s2, -16
	ds_read_b32 v109, v109
	s_waitcnt lgkmcnt(1)
	v_ashrrev_i32_e32 v95, s2, v106
	v_and_b32_e32 v95, 0x3030303, v95
	v_ashrrev_i32_e32 v97, s2, v107
	ds_read2_b32 v[106:107], v93 offset0:2 offset1:3
	s_add_i32 s3, s2, s3
	v_mov_b32_e32 v110, 0
	v_and_b32_e32 v97, 0x3030303, v97
	v_add_u32_e32 v108, s3, v75
	v_dot4c_i32_i8_e32 v110, v95, v6
	v_dot4c_i32_i8_e32 v110, v97, v7
	ds_read_u16 v97, v108
	s_waitcnt lgkmcnt(1)
	v_ashrrev_i32_e32 v99, s2, v106
	v_and_b32_e32 v99, 0x3030303, v99
	v_ashrrev_i32_e32 v101, s2, v107
	ds_read2_b32 v[106:107], v93 offset0:4 offset1:5
	v_and_b32_e32 v101, 0x3030303, v101
	v_dot4c_i32_i8_e32 v110, v99, v8
	s_waitcnt lgkmcnt(1)
	v_bfe_u32 v99, v97, 4, 4
	v_dot4c_i32_i8_e32 v110, v101, v9
	v_mul_lo_u32 v99, v99, s23
	v_mov_b32_e32 v101, 0
	v_dot4c_i32_i8_e32 v101, v99, v6
	v_dot4c_i32_i8_e32 v101, v99, v7
	v_add3_u32 v111, s18, v63, v65
	v_dot4c_i32_i8_e32 v101, v99, v8
	ds_read_b32 v111, v111
	s_waitcnt lgkmcnt(1)
	v_ashrrev_i32_e32 v103, s2, v106
	v_ashrrev_i32_e32 v105, s2, v107
	ds_read2_b32 v[106:107], v93 offset0:6 offset1:7
	v_dot4c_i32_i8_e32 v101, v99, v9
	v_lshrrev_b32_sdwa v99, v85, v97 dst_sel:DWORD dst_unused:UNUSED_PAD src0_sel:DWORD src1_sel:BYTE_1
	v_mul_lo_u32 v99, v99, s23
	v_dot4c_i32_i8_e32 v101, v99, v2
	v_and_b32_e32 v103, 0x3030303, v103
	v_mov_b32_e32 v95, 0
	v_dot4c_i32_i8_e32 v101, v99, v3
	v_and_b32_e32 v105, 0x3030303, v105
	s_waitcnt lgkmcnt(0)
	v_ashrrev_i32_e32 v106, s2, v106
	v_dot4c_i32_i8_e32 v95, v103, v2
	v_dot4c_i32_i8_e32 v101, v99, v4
	v_and_b32_e32 v106, 0x3030303, v106
	v_ashrrev_i32_e32 v107, s2, v107
	v_dot4c_i32_i8_e32 v95, v105, v3
	v_dot4c_i32_i8_e32 v101, v99, v5
	v_and_b32_e32 v99, 15, v97
	v_and_b32_e32 v107, 0x3030303, v107
	v_dot4c_i32_i8_e32 v95, v106, v4
	v_and_b32_sdwa v97, v97, v87 dst_sel:DWORD dst_unused:UNUSED_PAD src0_sel:BYTE_1 src1_sel:DWORD
	v_and_b32_e32 v99, 0xffff, v99
	v_dot4c_i32_i8_e32 v95, v107, v5
	v_and_b32_e32 v97, 0xffff, v97
	v_mul_lo_u32 v106, v110, v99
	v_cvt_f32_f16_e32 v108, v109
	v_mad_u64_u32 v[106:107], s[26:27], v95, v97, v[106:107]
	v_cvt_f32_f16_sdwa v109, v109 dst_sel:DWORD dst_unused:UNUSED_PAD src0_sel:WORD_1
	v_cvt_f32_i32_e32 v106, v106
	v_cvt_f32_i32_e32 v107, v101
	v_add_u32_e32 v95, 0x1080, v93
	v_add_u32_e32 v99, 0x1088, v93
	v_mov_b32_e32 v112, 0
	v_pk_mul_f32 v[106:107], v[108:109], v[106:107]
	ds_read2_b32 v[108:109], v95 offset1:1
	v_add_u32_e32 v110, s3, v77
	v_add_u32_e32 v103, 0x1090, v93
	v_add_u32_e32 v91, 32, v91
	v_add_u32_e32 v89, 4, v89
	s_waitcnt lgkmcnt(0)
	v_ashrrev_i32_e32 v95, s2, v108
	v_and_b32_e32 v95, 0x3030303, v95
	v_ashrrev_i32_e32 v97, s2, v109
	ds_read2_b32 v[108:109], v99 offset1:1
	v_and_b32_e32 v97, 0x3030303, v97
	v_dot4c_i32_i8_e32 v112, v95, v6
	v_dot4c_i32_i8_e32 v112, v97, v7
	ds_read_u16 v97, v110
	s_waitcnt lgkmcnt(1)
	v_ashrrev_i32_e32 v99, s2, v108
	v_ashrrev_i32_e32 v101, s2, v109
	ds_read2_b32 v[108:109], v103 offset1:1
	v_and_b32_e32 v99, 0x3030303, v99
	v_and_b32_e32 v101, 0x3030303, v101
	v_dot4c_i32_i8_e32 v112, v99, v8
	s_waitcnt lgkmcnt(1)
	v_bfe_u32 v99, v97, 4, 4
	v_dot4c_i32_i8_e32 v112, v101, v9
	v_mul_lo_u32 v99, v99, s23
	v_mov_b32_e32 v101, 0
	v_dot4c_i32_i8_e32 v101, v99, v6
	s_waitcnt lgkmcnt(0)
	v_ashrrev_i32_e32 v103, s2, v108
	v_add_u32_e32 v108, 0x1098, v93
	v_dot4c_i32_i8_e32 v101, v99, v7
	v_ashrrev_i32_e32 v105, s2, v109
	ds_read2_b32 v[108:109], v108 offset1:1
	v_dot4c_i32_i8_e32 v101, v99, v8
	v_dot4c_i32_i8_e32 v101, v99, v9
	v_lshrrev_b32_sdwa v99, v85, v97 dst_sel:DWORD dst_unused:UNUSED_PAD src0_sel:DWORD src1_sel:BYTE_1
	v_mul_lo_u32 v99, v99, s23
	v_dot4c_i32_i8_e32 v101, v99, v2
	v_and_b32_e32 v103, 0x3030303, v103
	v_mov_b32_e32 v95, 0
	v_dot4c_i32_i8_e32 v101, v99, v3
	v_and_b32_e32 v105, 0x3030303, v105
	s_waitcnt lgkmcnt(0)
	v_ashrrev_i32_e32 v108, s2, v108
	v_dot4c_i32_i8_e32 v95, v103, v2
	v_dot4c_i32_i8_e32 v101, v99, v4
	v_and_b32_e32 v108, 0x3030303, v108
	v_ashrrev_i32_e32 v109, s2, v109
	v_dot4c_i32_i8_e32 v95, v105, v3
	v_dot4c_i32_i8_e32 v101, v99, v5
	v_and_b32_e32 v99, 15, v97
	v_and_b32_e32 v109, 0x3030303, v109
	v_dot4c_i32_i8_e32 v95, v108, v4
	v_and_b32_sdwa v97, v97, v87 dst_sel:DWORD dst_unused:UNUSED_PAD src0_sel:BYTE_1 src1_sel:DWORD
	v_and_b32_e32 v99, 0xffff, v99
	v_dot4c_i32_i8_e32 v95, v109, v5
	v_and_b32_e32 v97, 0xffff, v97
	v_mul_lo_u32 v108, v112, v99
	v_mov_b32_e32 v110, v107
	v_mad_u64_u32 v[108:109], s[26:27], v95, v97, v[108:109]
	v_cvt_f32_f16_e32 v95, v111
	v_cvt_f32_i32_e32 v99, v108
	v_cvt_f32_f16_sdwa v97, v111 dst_sel:DWORD dst_unused:UNUSED_PAD src0_sel:WORD_1
	v_mov_b32_e32 v108, v106
	v_add_u32_e32 v103, 0x2110, v93
	v_mul_f32_e32 v109, v95, v99
	v_cvt_f32_i32_e32 v95, v101
	v_add_u32_e32 v99, 0x2108, v93
	v_mul_f32_e32 v111, v97, v95
	v_pk_add_f32 v[106:107], v[108:109], v[110:111] neg_lo:[0,1] neg_hi:[0,1]
	v_add_u32_e32 v95, 0x2100, v93
	v_pk_fma_f32 v[36:37], v[104:105], v[106:107], v[36:37] op_sel_hi:[0,1,1]
	ds_read2_b32 v[106:107], v95 offset1:1
	v_add3_u32 v109, s18, v67, v69
	ds_read_b32 v109, v109
	v_mov_b32_e32 v110, 0
	v_add_u32_e32 v108, s3, v79
	s_waitcnt lgkmcnt(1)
	v_ashrrev_i32_e32 v95, s2, v106
	v_and_b32_e32 v95, 0x3030303, v95
	v_ashrrev_i32_e32 v97, s2, v107
	ds_read2_b32 v[106:107], v99 offset1:1
	v_and_b32_e32 v97, 0x3030303, v97
	v_dot4c_i32_i8_e32 v110, v95, v6
	v_dot4c_i32_i8_e32 v110, v97, v7
	ds_read_u16 v97, v108
	s_waitcnt lgkmcnt(1)
	v_ashrrev_i32_e32 v99, s2, v106
	v_ashrrev_i32_e32 v101, s2, v107
	ds_read2_b32 v[106:107], v103 offset1:1
	v_and_b32_e32 v99, 0x3030303, v99
	v_and_b32_e32 v101, 0x3030303, v101
	v_dot4c_i32_i8_e32 v110, v99, v8
	s_waitcnt lgkmcnt(1)
	v_bfe_u32 v99, v97, 4, 4
	v_dot4c_i32_i8_e32 v110, v101, v9
	v_mul_lo_u32 v99, v99, s23
	v_mov_b32_e32 v101, 0
	v_dot4c_i32_i8_e32 v101, v99, v6
	s_waitcnt lgkmcnt(0)
	v_ashrrev_i32_e32 v103, s2, v106
	v_add_u32_e32 v106, 0x2118, v93
	v_dot4c_i32_i8_e32 v101, v99, v7
	v_ashrrev_i32_e32 v105, s2, v107
	ds_read2_b32 v[106:107], v106 offset1:1
	v_dot4c_i32_i8_e32 v101, v99, v8
	v_dot4c_i32_i8_e32 v101, v99, v9
	v_lshrrev_b32_sdwa v99, v85, v97 dst_sel:DWORD dst_unused:UNUSED_PAD src0_sel:DWORD src1_sel:BYTE_1
	v_mul_lo_u32 v99, v99, s23
	v_dot4c_i32_i8_e32 v101, v99, v2
	v_and_b32_e32 v103, 0x3030303, v103
	v_mov_b32_e32 v95, 0
	v_dot4c_i32_i8_e32 v101, v99, v3
	v_and_b32_e32 v105, 0x3030303, v105
	s_waitcnt lgkmcnt(0)
	v_ashrrev_i32_e32 v106, s2, v106
	v_dot4c_i32_i8_e32 v95, v103, v2
	v_dot4c_i32_i8_e32 v101, v99, v4
	v_and_b32_e32 v106, 0x3030303, v106
	v_ashrrev_i32_e32 v107, s2, v107
	v_dot4c_i32_i8_e32 v95, v105, v3
	v_dot4c_i32_i8_e32 v101, v99, v5
	v_and_b32_e32 v99, 15, v97
	v_and_b32_e32 v107, 0x3030303, v107
	v_dot4c_i32_i8_e32 v95, v106, v4
	v_and_b32_sdwa v97, v97, v87 dst_sel:DWORD dst_unused:UNUSED_PAD src0_sel:BYTE_1 src1_sel:DWORD
	v_and_b32_e32 v99, 0xffff, v99
	v_dot4c_i32_i8_e32 v95, v107, v5
	v_and_b32_e32 v97, 0xffff, v97
	v_mul_lo_u32 v106, v110, v99
	v_cvt_f32_f16_e32 v108, v109
	v_mad_u64_u32 v[106:107], s[26:27], v95, v97, v[106:107]
	v_cvt_f32_f16_sdwa v109, v109 dst_sel:DWORD dst_unused:UNUSED_PAD src0_sel:WORD_1
	v_cvt_f32_i32_e32 v106, v106
	v_cvt_f32_i32_e32 v107, v101
	v_add_u32_e32 v95, 0x3180, v93
	v_add_u32_e32 v99, 0x3188, v93
	;; [unrolled: 1-line block ×3, first 2 shown]
	v_pk_mul_f32 v[106:107], v[108:109], v[106:107]
	ds_read2_b32 v[108:109], v95 offset1:1
	v_add_u32_e32 v93, 0x3198, v93
	v_mov_b32_e32 v111, 0
	v_add3_u32 v110, s18, v71, v73
	ds_read_b32 v110, v110
	s_waitcnt lgkmcnt(1)
	v_ashrrev_i32_e32 v95, s2, v108
	v_ashrrev_i32_e32 v97, s2, v109
	ds_read2_b32 v[108:109], v99 offset1:1
	v_and_b32_e32 v95, 0x3030303, v95
	v_dot4c_i32_i8_e32 v111, v95, v6
	v_mov_b32_e32 v95, 0
	v_and_b32_e32 v97, 0x3030303, v97
	s_waitcnt lgkmcnt(0)
	v_ashrrev_i32_e32 v99, s2, v108
	v_ashrrev_i32_e32 v101, s2, v109
	ds_read2_b32 v[108:109], v103 offset1:1
	v_and_b32_e32 v99, 0x3030303, v99
	v_dot4c_i32_i8_e32 v111, v97, v7
	v_dot4c_i32_i8_e32 v111, v99, v8
	v_mov_b32_e32 v99, 0
	s_waitcnt lgkmcnt(0)
	v_ashrrev_i32_e32 v103, s2, v108
	v_ashrrev_i32_e32 v105, s2, v109
	ds_read2_b32 v[108:109], v93 offset1:1
	v_and_b32_e32 v103, 0x3030303, v103
	v_and_b32_e32 v105, 0x3030303, v105
	v_dot4c_i32_i8_e32 v95, v103, v2
	v_dot4c_i32_i8_e32 v95, v105, v3
	s_waitcnt lgkmcnt(0)
	v_ashrrev_i32_e32 v93, s2, v108
	v_and_b32_e32 v93, 0x3030303, v93
	v_ashrrev_i32_e32 v108, s2, v109
	v_add_u32_e32 v109, s3, v81
	v_dot4c_i32_i8_e32 v95, v93, v4
	ds_read_u16 v93, v109
	v_and_b32_e32 v101, 0x3030303, v101
	v_and_b32_e32 v108, 0x3030303, v108
	v_dot4c_i32_i8_e32 v111, v101, v9
	v_dot4c_i32_i8_e32 v95, v108, v5
	s_waitcnt lgkmcnt(0)
	v_bfe_u32 v97, v93, 4, 4
	v_mul_lo_u32 v97, v97, s23
	v_dot4c_i32_i8_e32 v99, v97, v6
	v_dot4c_i32_i8_e32 v99, v97, v7
	;; [unrolled: 1-line block ×3, first 2 shown]
	v_lshrrev_b32_sdwa v6, v85, v93 dst_sel:DWORD dst_unused:UNUSED_PAD src0_sel:DWORD src1_sel:BYTE_1
	v_dot4c_i32_i8_e32 v99, v97, v9
	v_mul_lo_u32 v6, v6, s23
	v_dot4c_i32_i8_e32 v99, v6, v2
	v_and_b32_e32 v2, 15, v93
	v_dot4c_i32_i8_e32 v99, v6, v3
	v_and_b32_sdwa v3, v93, v87 dst_sel:DWORD dst_unused:UNUSED_PAD src0_sel:BYTE_1 src1_sel:DWORD
	v_and_b32_e32 v2, 0xffff, v2
	v_dot4c_i32_i8_e32 v99, v6, v4
	v_and_b32_e32 v3, 0xffff, v3
	v_mul_lo_u32 v2, v111, v2
	v_dot4c_i32_i8_e32 v99, v6, v5
	v_mad_u64_u32 v[2:3], s[18:19], v95, v3, v[2:3]
	v_cvt_f32_f16_e32 v4, v110
	v_cvt_f32_f16_sdwa v5, v110 dst_sel:DWORD dst_unused:UNUSED_PAD src0_sel:WORD_1
	v_cvt_f32_i32_e32 v2, v2
	v_cvt_f32_i32_e32 v3, v99
	s_add_i32 s3, s2, 2
	s_cmp_lt_u32 s2, 6
	s_mov_b32 s2, s3
	v_pk_mul_f32 v[2:3], v[4:5], v[2:3]
	v_mov_b32_e32 v4, v106
	v_mov_b32_e32 v5, v2
	;; [unrolled: 1-line block ×3, first 2 shown]
	v_pk_add_f32 v[2:3], v[4:5], v[2:3] neg_lo:[0,1] neg_hi:[0,1]
	s_nop 0
	v_pk_fma_f32 v[34:35], v[104:105], v[2:3], v[34:35] op_sel_hi:[0,1,1]
	s_cbranch_scc1 .LBB228_11
; %bb.12:                               ;   in Loop: Header=BB228_5 Depth=1
	s_or_b32 s2, s24, 0x80
	s_cmp_ge_i32 s2, s5
	s_barrier
	s_cbranch_scc1 .LBB228_4
; %bb.13:                               ;   in Loop: Header=BB228_5 Depth=1
	v_add_u32_e32 v2, s25, v43
	v_cmp_gt_i32_e64 s[2:3], s8, v2
	s_and_b64 s[18:19], s[0:1], s[2:3]
	s_and_saveexec_b64 s[2:3], s[18:19]
	s_cbranch_execz .LBB228_15
; %bb.14:                               ;   in Loop: Header=BB228_5 Depth=1
	v_add_u32_e32 v2, v54, v2
	v_mad_i64_i32 v[2:3], s[18:19], v2, 36, v[52:53]
	global_load_dword v2, v[2:3], off offset:4
	s_waitcnt vmcnt(0)
	ds_write_b32 v41, v2
.LBB228_15:                             ;   in Loop: Header=BB228_5 Depth=1
	s_or_b64 exec, exec, s[2:3]
	s_and_saveexec_b64 s[18:19], vcc
	s_cbranch_execz .LBB228_18
; %bb.16:                               ;   in Loop: Header=BB228_5 Depth=1
	v_or_b32_e32 v2, 4, v102
	v_cmp_gt_i32_e64 s[2:3], s8, v2
	s_and_b64 s[2:3], s[0:1], s[2:3]
	s_and_b64 exec, exec, s[2:3]
	s_cbranch_execz .LBB228_18
; %bb.17:                               ;   in Loop: Header=BB228_5 Depth=1
	v_ashrrev_i32_e32 v103, 31, v102
	v_lshl_add_u64 v[2:3], v[54:55], 0, v[102:103]
	v_mad_u64_u32 v[4:5], s[2:3], v2, 36, s[14:15]
	v_mad_i32_i24 v5, v3, 36, v5
	global_load_dword v2, v[4:5], off offset:144
	s_waitcnt vmcnt(0)
	v_cvt_f32_f16_e32 v2, v2
	ds_write_b32 v61, v2
.LBB228_18:                             ;   in Loop: Header=BB228_5 Depth=1
	s_or_b64 exec, exec, s[18:19]
	s_mov_b32 s2, 8
	v_mov_b32_e32 v89, v15
	v_mov_b32_e32 v91, v59
	s_waitcnt lgkmcnt(0)
	s_barrier
.LBB228_19:                             ;   Parent Loop BB228_5 Depth=1
                                        ; =>  This Inner Loop Header: Depth=2
	s_and_b32 s19, s2, 0x3ffffff8
	v_lshl_add_u32 v93, s19, 2, v49
	ds_read_b32 v104, v91
	ds_read_b128 v[6:9], v89
	ds_read_b128 v[2:5], v89 offset:16
	ds_read2_b32 v[106:107], v93 offset1:1
	s_lshr_b32 s19, s2, 2
	s_and_b32 s19, s19, 0x3ffffffc
	s_addk_i32 s19, 0x5280
	s_add_i32 s3, s2, -8
	v_add3_u32 v109, s19, v83, v51
	s_and_b32 s18, s2, -16
	ds_read_b32 v109, v109
	s_waitcnt lgkmcnt(1)
	v_ashrrev_i32_e32 v95, s3, v106
	v_and_b32_e32 v95, 0x3030303, v95
	v_ashrrev_i32_e32 v97, s3, v107
	ds_read2_b32 v[106:107], v93 offset0:2 offset1:3
	s_add_i32 s18, s2, s18
	v_mov_b32_e32 v110, 0
	v_and_b32_e32 v97, 0x3030303, v97
	v_add_u32_e32 v108, s18, v17
	v_dot4c_i32_i8_e32 v110, v95, v6
	v_dot4c_i32_i8_e32 v110, v97, v7
	ds_read_u16 v97, v108 offset:16896
	s_waitcnt lgkmcnt(1)
	v_ashrrev_i32_e32 v99, s3, v106
	v_and_b32_e32 v99, 0x3030303, v99
	v_ashrrev_i32_e32 v101, s3, v107
	ds_read2_b32 v[106:107], v93 offset0:4 offset1:5
	v_and_b32_e32 v101, 0x3030303, v101
	v_dot4c_i32_i8_e32 v110, v99, v8
	s_waitcnt lgkmcnt(1)
	v_bfe_u32 v99, v97, 4, 4
	v_dot4c_i32_i8_e32 v110, v101, v9
	v_mul_lo_u32 v99, v99, s23
	v_mov_b32_e32 v101, 0
	v_dot4c_i32_i8_e32 v101, v99, v6
	v_dot4c_i32_i8_e32 v101, v99, v7
	v_add3_u32 v111, s19, v63, v65
	v_dot4c_i32_i8_e32 v101, v99, v8
	ds_read_b32 v111, v111
	s_waitcnt lgkmcnt(1)
	v_ashrrev_i32_e32 v103, s3, v106
	v_ashrrev_i32_e32 v105, s3, v107
	ds_read2_b32 v[106:107], v93 offset0:6 offset1:7
	v_dot4c_i32_i8_e32 v101, v99, v9
	v_lshrrev_b32_sdwa v99, v85, v97 dst_sel:DWORD dst_unused:UNUSED_PAD src0_sel:DWORD src1_sel:BYTE_1
	v_mul_lo_u32 v99, v99, s23
	v_dot4c_i32_i8_e32 v101, v99, v2
	v_and_b32_e32 v103, 0x3030303, v103
	v_mov_b32_e32 v95, 0
	v_dot4c_i32_i8_e32 v101, v99, v3
	v_and_b32_e32 v105, 0x3030303, v105
	s_waitcnt lgkmcnt(0)
	v_ashrrev_i32_e32 v106, s3, v106
	v_dot4c_i32_i8_e32 v95, v103, v2
	v_dot4c_i32_i8_e32 v101, v99, v4
	v_and_b32_e32 v106, 0x3030303, v106
	v_ashrrev_i32_e32 v107, s3, v107
	v_dot4c_i32_i8_e32 v95, v105, v3
	v_dot4c_i32_i8_e32 v101, v99, v5
	v_and_b32_e32 v99, 15, v97
	v_and_b32_e32 v107, 0x3030303, v107
	v_dot4c_i32_i8_e32 v95, v106, v4
	v_and_b32_sdwa v97, v97, v87 dst_sel:DWORD dst_unused:UNUSED_PAD src0_sel:BYTE_1 src1_sel:DWORD
	v_and_b32_e32 v99, 0xffff, v99
	v_dot4c_i32_i8_e32 v95, v107, v5
	v_and_b32_e32 v97, 0xffff, v97
	v_mul_lo_u32 v106, v110, v99
	v_cvt_f32_f16_e32 v108, v109
	v_mad_u64_u32 v[106:107], s[26:27], v95, v97, v[106:107]
	v_cvt_f32_f16_sdwa v109, v109 dst_sel:DWORD dst_unused:UNUSED_PAD src0_sel:WORD_1
	v_cvt_f32_i32_e32 v106, v106
	v_cvt_f32_i32_e32 v107, v101
	v_add_u32_e32 v95, 0x1080, v93
	v_add_u32_e32 v99, 0x1088, v93
	v_mov_b32_e32 v112, 0
	v_pk_mul_f32 v[106:107], v[108:109], v[106:107]
	ds_read2_b32 v[108:109], v95 offset1:1
	v_add_u32_e32 v110, s18, v19
	v_add_u32_e32 v103, 0x1090, v93
	;; [unrolled: 1-line block ×4, first 2 shown]
	s_waitcnt lgkmcnt(0)
	v_ashrrev_i32_e32 v95, s3, v108
	v_and_b32_e32 v95, 0x3030303, v95
	v_ashrrev_i32_e32 v97, s3, v109
	ds_read2_b32 v[108:109], v99 offset1:1
	v_and_b32_e32 v97, 0x3030303, v97
	v_dot4c_i32_i8_e32 v112, v95, v6
	v_dot4c_i32_i8_e32 v112, v97, v7
	ds_read_u16 v97, v110 offset:17920
	s_waitcnt lgkmcnt(1)
	v_ashrrev_i32_e32 v99, s3, v108
	v_ashrrev_i32_e32 v101, s3, v109
	ds_read2_b32 v[108:109], v103 offset1:1
	v_and_b32_e32 v99, 0x3030303, v99
	v_and_b32_e32 v101, 0x3030303, v101
	v_dot4c_i32_i8_e32 v112, v99, v8
	s_waitcnt lgkmcnt(1)
	v_bfe_u32 v99, v97, 4, 4
	v_dot4c_i32_i8_e32 v112, v101, v9
	v_mul_lo_u32 v99, v99, s23
	v_mov_b32_e32 v101, 0
	v_dot4c_i32_i8_e32 v101, v99, v6
	s_waitcnt lgkmcnt(0)
	v_ashrrev_i32_e32 v103, s3, v108
	v_add_u32_e32 v108, 0x1098, v93
	v_dot4c_i32_i8_e32 v101, v99, v7
	v_ashrrev_i32_e32 v105, s3, v109
	ds_read2_b32 v[108:109], v108 offset1:1
	v_dot4c_i32_i8_e32 v101, v99, v8
	v_dot4c_i32_i8_e32 v101, v99, v9
	v_lshrrev_b32_sdwa v99, v85, v97 dst_sel:DWORD dst_unused:UNUSED_PAD src0_sel:DWORD src1_sel:BYTE_1
	v_mul_lo_u32 v99, v99, s23
	v_dot4c_i32_i8_e32 v101, v99, v2
	v_and_b32_e32 v103, 0x3030303, v103
	v_mov_b32_e32 v95, 0
	v_dot4c_i32_i8_e32 v101, v99, v3
	v_and_b32_e32 v105, 0x3030303, v105
	s_waitcnt lgkmcnt(0)
	v_ashrrev_i32_e32 v108, s3, v108
	v_dot4c_i32_i8_e32 v95, v103, v2
	v_dot4c_i32_i8_e32 v101, v99, v4
	v_and_b32_e32 v108, 0x3030303, v108
	v_ashrrev_i32_e32 v109, s3, v109
	v_dot4c_i32_i8_e32 v95, v105, v3
	v_dot4c_i32_i8_e32 v101, v99, v5
	v_and_b32_e32 v99, 15, v97
	v_and_b32_e32 v109, 0x3030303, v109
	v_dot4c_i32_i8_e32 v95, v108, v4
	v_and_b32_sdwa v97, v97, v87 dst_sel:DWORD dst_unused:UNUSED_PAD src0_sel:BYTE_1 src1_sel:DWORD
	v_and_b32_e32 v99, 0xffff, v99
	v_dot4c_i32_i8_e32 v95, v109, v5
	v_and_b32_e32 v97, 0xffff, v97
	v_mul_lo_u32 v108, v112, v99
	v_mov_b32_e32 v110, v107
	v_mad_u64_u32 v[108:109], s[26:27], v95, v97, v[108:109]
	v_cvt_f32_f16_e32 v95, v111
	v_cvt_f32_i32_e32 v99, v108
	v_cvt_f32_f16_sdwa v97, v111 dst_sel:DWORD dst_unused:UNUSED_PAD src0_sel:WORD_1
	v_mov_b32_e32 v108, v106
	v_add_u32_e32 v103, 0x2110, v93
	v_mul_f32_e32 v109, v95, v99
	v_cvt_f32_i32_e32 v95, v101
	v_add_u32_e32 v99, 0x2108, v93
	v_mul_f32_e32 v111, v97, v95
	v_pk_add_f32 v[106:107], v[108:109], v[110:111] neg_lo:[0,1] neg_hi:[0,1]
	v_add_u32_e32 v95, 0x2100, v93
	v_pk_fma_f32 v[36:37], v[104:105], v[106:107], v[36:37] op_sel_hi:[0,1,1]
	ds_read2_b32 v[106:107], v95 offset1:1
	v_add3_u32 v109, s19, v67, v69
	ds_read_b32 v109, v109
	v_mov_b32_e32 v110, 0
	v_add_u32_e32 v108, s18, v21
	s_waitcnt lgkmcnt(1)
	v_ashrrev_i32_e32 v95, s3, v106
	v_and_b32_e32 v95, 0x3030303, v95
	v_ashrrev_i32_e32 v97, s3, v107
	ds_read2_b32 v[106:107], v99 offset1:1
	v_and_b32_e32 v97, 0x3030303, v97
	v_dot4c_i32_i8_e32 v110, v95, v6
	v_dot4c_i32_i8_e32 v110, v97, v7
	ds_read_u16 v97, v108 offset:18944
	s_waitcnt lgkmcnt(1)
	v_ashrrev_i32_e32 v99, s3, v106
	v_ashrrev_i32_e32 v101, s3, v107
	ds_read2_b32 v[106:107], v103 offset1:1
	v_and_b32_e32 v99, 0x3030303, v99
	v_and_b32_e32 v101, 0x3030303, v101
	v_dot4c_i32_i8_e32 v110, v99, v8
	s_waitcnt lgkmcnt(1)
	v_bfe_u32 v99, v97, 4, 4
	v_dot4c_i32_i8_e32 v110, v101, v9
	v_mul_lo_u32 v99, v99, s23
	v_mov_b32_e32 v101, 0
	v_dot4c_i32_i8_e32 v101, v99, v6
	s_waitcnt lgkmcnt(0)
	v_ashrrev_i32_e32 v103, s3, v106
	v_add_u32_e32 v106, 0x2118, v93
	v_dot4c_i32_i8_e32 v101, v99, v7
	v_ashrrev_i32_e32 v105, s3, v107
	ds_read2_b32 v[106:107], v106 offset1:1
	v_dot4c_i32_i8_e32 v101, v99, v8
	v_dot4c_i32_i8_e32 v101, v99, v9
	v_lshrrev_b32_sdwa v99, v85, v97 dst_sel:DWORD dst_unused:UNUSED_PAD src0_sel:DWORD src1_sel:BYTE_1
	v_mul_lo_u32 v99, v99, s23
	v_dot4c_i32_i8_e32 v101, v99, v2
	v_and_b32_e32 v103, 0x3030303, v103
	v_mov_b32_e32 v95, 0
	v_dot4c_i32_i8_e32 v101, v99, v3
	v_and_b32_e32 v105, 0x3030303, v105
	s_waitcnt lgkmcnt(0)
	v_ashrrev_i32_e32 v106, s3, v106
	v_dot4c_i32_i8_e32 v95, v103, v2
	v_dot4c_i32_i8_e32 v101, v99, v4
	v_and_b32_e32 v106, 0x3030303, v106
	v_ashrrev_i32_e32 v107, s3, v107
	v_dot4c_i32_i8_e32 v95, v105, v3
	v_dot4c_i32_i8_e32 v101, v99, v5
	v_and_b32_e32 v99, 15, v97
	v_and_b32_e32 v107, 0x3030303, v107
	v_dot4c_i32_i8_e32 v95, v106, v4
	v_and_b32_sdwa v97, v97, v87 dst_sel:DWORD dst_unused:UNUSED_PAD src0_sel:BYTE_1 src1_sel:DWORD
	v_and_b32_e32 v99, 0xffff, v99
	v_dot4c_i32_i8_e32 v95, v107, v5
	v_and_b32_e32 v97, 0xffff, v97
	v_mul_lo_u32 v106, v110, v99
	v_cvt_f32_f16_e32 v108, v109
	v_mad_u64_u32 v[106:107], s[26:27], v95, v97, v[106:107]
	v_cvt_f32_f16_sdwa v109, v109 dst_sel:DWORD dst_unused:UNUSED_PAD src0_sel:WORD_1
	v_cvt_f32_i32_e32 v106, v106
	v_cvt_f32_i32_e32 v107, v101
	v_add_u32_e32 v95, 0x3180, v93
	v_add_u32_e32 v99, 0x3188, v93
	v_add_u32_e32 v103, 0x3190, v93
	v_pk_mul_f32 v[106:107], v[108:109], v[106:107]
	ds_read2_b32 v[108:109], v95 offset1:1
	v_add_u32_e32 v93, 0x3198, v93
	v_mov_b32_e32 v111, 0
	v_add3_u32 v110, s19, v71, v73
	ds_read_b32 v110, v110
	s_waitcnt lgkmcnt(1)
	v_ashrrev_i32_e32 v95, s3, v108
	v_ashrrev_i32_e32 v97, s3, v109
	ds_read2_b32 v[108:109], v99 offset1:1
	v_and_b32_e32 v95, 0x3030303, v95
	v_dot4c_i32_i8_e32 v111, v95, v6
	v_mov_b32_e32 v95, 0
	v_and_b32_e32 v97, 0x3030303, v97
	s_waitcnt lgkmcnt(0)
	v_ashrrev_i32_e32 v99, s3, v108
	v_ashrrev_i32_e32 v101, s3, v109
	ds_read2_b32 v[108:109], v103 offset1:1
	v_and_b32_e32 v99, 0x3030303, v99
	v_dot4c_i32_i8_e32 v111, v97, v7
	v_dot4c_i32_i8_e32 v111, v99, v8
	v_mov_b32_e32 v99, 0
	s_waitcnt lgkmcnt(0)
	v_ashrrev_i32_e32 v103, s3, v108
	v_ashrrev_i32_e32 v105, s3, v109
	ds_read2_b32 v[108:109], v93 offset1:1
	v_and_b32_e32 v103, 0x3030303, v103
	v_and_b32_e32 v105, 0x3030303, v105
	v_dot4c_i32_i8_e32 v95, v103, v2
	v_dot4c_i32_i8_e32 v95, v105, v3
	s_waitcnt lgkmcnt(0)
	v_ashrrev_i32_e32 v93, s3, v108
	v_and_b32_e32 v93, 0x3030303, v93
	v_ashrrev_i32_e32 v108, s3, v109
	v_add_u32_e32 v109, s18, v23
	v_dot4c_i32_i8_e32 v95, v93, v4
	ds_read_u16 v93, v109 offset:19968
	v_and_b32_e32 v101, 0x3030303, v101
	v_and_b32_e32 v108, 0x3030303, v108
	v_dot4c_i32_i8_e32 v111, v101, v9
	v_dot4c_i32_i8_e32 v95, v108, v5
	s_waitcnt lgkmcnt(0)
	v_bfe_u32 v97, v93, 4, 4
	v_mul_lo_u32 v97, v97, s23
	v_dot4c_i32_i8_e32 v99, v97, v6
	v_dot4c_i32_i8_e32 v99, v97, v7
	;; [unrolled: 1-line block ×3, first 2 shown]
	v_lshrrev_b32_sdwa v6, v85, v93 dst_sel:DWORD dst_unused:UNUSED_PAD src0_sel:DWORD src1_sel:BYTE_1
	v_dot4c_i32_i8_e32 v99, v97, v9
	v_mul_lo_u32 v6, v6, s23
	v_dot4c_i32_i8_e32 v99, v6, v2
	v_and_b32_e32 v2, 15, v93
	v_dot4c_i32_i8_e32 v99, v6, v3
	v_and_b32_sdwa v3, v93, v87 dst_sel:DWORD dst_unused:UNUSED_PAD src0_sel:BYTE_1 src1_sel:DWORD
	v_and_b32_e32 v2, 0xffff, v2
	v_dot4c_i32_i8_e32 v99, v6, v4
	v_and_b32_e32 v3, 0xffff, v3
	v_mul_lo_u32 v2, v111, v2
	v_dot4c_i32_i8_e32 v99, v6, v5
	v_mad_u64_u32 v[2:3], s[18:19], v95, v3, v[2:3]
	v_cvt_f32_f16_e32 v4, v110
	v_cvt_f32_f16_sdwa v5, v110 dst_sel:DWORD dst_unused:UNUSED_PAD src0_sel:WORD_1
	v_cvt_f32_i32_e32 v2, v2
	v_cvt_f32_i32_e32 v3, v99
	s_add_i32 s3, s2, 2
	s_cmp_lt_u32 s2, 14
	s_mov_b32 s2, s3
	v_pk_mul_f32 v[2:3], v[4:5], v[2:3]
	v_mov_b32_e32 v4, v106
	v_mov_b32_e32 v5, v2
	;; [unrolled: 1-line block ×3, first 2 shown]
	v_pk_add_f32 v[2:3], v[4:5], v[2:3] neg_lo:[0,1] neg_hi:[0,1]
	s_nop 0
	v_pk_fma_f32 v[34:35], v[104:105], v[2:3], v[34:35] op_sel_hi:[0,1,1]
	s_cbranch_scc1 .LBB228_19
; %bb.20:                               ;   in Loop: Header=BB228_5 Depth=1
	s_or_b32 s2, s24, 0x100
	s_cmp_ge_i32 s2, s5
	s_barrier
	s_cbranch_scc1 .LBB228_4
; %bb.21:                               ;   in Loop: Header=BB228_5 Depth=1
	v_add_u32_e32 v2, s25, v45
	v_cmp_gt_i32_e64 s[2:3], s8, v2
	s_and_b64 s[18:19], s[0:1], s[2:3]
	s_and_saveexec_b64 s[2:3], s[18:19]
	s_cbranch_execz .LBB228_23
; %bb.22:                               ;   in Loop: Header=BB228_5 Depth=1
	v_add_u32_e32 v2, v54, v2
	v_mad_i64_i32 v[2:3], s[18:19], v2, 36, v[52:53]
	global_load_dword v2, v[2:3], off offset:4
	s_waitcnt vmcnt(0)
	ds_write_b32 v41, v2
.LBB228_23:                             ;   in Loop: Header=BB228_5 Depth=1
	s_or_b64 exec, exec, s[2:3]
	s_and_saveexec_b64 s[18:19], vcc
	s_cbranch_execz .LBB228_26
; %bb.24:                               ;   in Loop: Header=BB228_5 Depth=1
	v_or_b32_e32 v2, 8, v102
	v_cmp_gt_i32_e64 s[2:3], s8, v2
	s_and_b64 s[2:3], s[0:1], s[2:3]
	s_and_b64 exec, exec, s[2:3]
	s_cbranch_execz .LBB228_26
; %bb.25:                               ;   in Loop: Header=BB228_5 Depth=1
	v_ashrrev_i32_e32 v103, 31, v102
	v_lshl_add_u64 v[2:3], v[54:55], 0, v[102:103]
	v_mad_u64_u32 v[4:5], s[2:3], v2, 36, s[14:15]
	v_mad_i32_i24 v5, v3, 36, v5
	global_load_dword v2, v[4:5], off offset:288
	s_waitcnt vmcnt(0)
	v_cvt_f32_f16_e32 v2, v2
	ds_write_b32 v61, v2
.LBB228_26:                             ;   in Loop: Header=BB228_5 Depth=1
	s_or_b64 exec, exec, s[18:19]
	s_mov_b32 s2, 16
	v_mov_b32_e32 v89, v15
	v_mov_b32_e32 v91, v59
	s_waitcnt lgkmcnt(0)
	s_barrier
.LBB228_27:                             ;   Parent Loop BB228_5 Depth=1
                                        ; =>  This Inner Loop Header: Depth=2
	s_and_b32 s19, s2, 0x3ffffff8
	v_lshl_add_u32 v93, s19, 2, v49
	ds_read_b32 v104, v91
	ds_read_b128 v[6:9], v89
	ds_read_b128 v[2:5], v89 offset:16
	ds_read2_b32 v[106:107], v93 offset1:1
	s_lshr_b32 s19, s2, 2
	s_and_b32 s19, s19, 0x3ffffffc
	s_addk_i32 s19, 0x5280
	s_add_i32 s3, s2, -16
	v_add3_u32 v109, s19, v83, v51
	s_and_b32 s18, s2, -16
	ds_read_b32 v109, v109
	s_waitcnt lgkmcnt(1)
	v_ashrrev_i32_e32 v95, s3, v106
	v_and_b32_e32 v95, 0x3030303, v95
	v_ashrrev_i32_e32 v97, s3, v107
	ds_read2_b32 v[106:107], v93 offset0:2 offset1:3
	s_add_i32 s18, s2, s18
	v_mov_b32_e32 v110, 0
	v_and_b32_e32 v97, 0x3030303, v97
	v_add_u32_e32 v108, s18, v17
	v_dot4c_i32_i8_e32 v110, v95, v6
	v_dot4c_i32_i8_e32 v110, v97, v7
	ds_read_u16 v97, v108 offset:16880
	s_waitcnt lgkmcnt(1)
	v_ashrrev_i32_e32 v99, s3, v106
	v_and_b32_e32 v99, 0x3030303, v99
	v_ashrrev_i32_e32 v101, s3, v107
	ds_read2_b32 v[106:107], v93 offset0:4 offset1:5
	v_and_b32_e32 v101, 0x3030303, v101
	v_dot4c_i32_i8_e32 v110, v99, v8
	s_waitcnt lgkmcnt(1)
	v_bfe_u32 v99, v97, 4, 4
	v_dot4c_i32_i8_e32 v110, v101, v9
	v_mul_lo_u32 v99, v99, s23
	v_mov_b32_e32 v101, 0
	v_dot4c_i32_i8_e32 v101, v99, v6
	v_dot4c_i32_i8_e32 v101, v99, v7
	v_add3_u32 v111, s19, v63, v65
	v_dot4c_i32_i8_e32 v101, v99, v8
	ds_read_b32 v111, v111
	s_waitcnt lgkmcnt(1)
	v_ashrrev_i32_e32 v103, s3, v106
	v_ashrrev_i32_e32 v105, s3, v107
	ds_read2_b32 v[106:107], v93 offset0:6 offset1:7
	v_dot4c_i32_i8_e32 v101, v99, v9
	v_lshrrev_b32_sdwa v99, v85, v97 dst_sel:DWORD dst_unused:UNUSED_PAD src0_sel:DWORD src1_sel:BYTE_1
	v_mul_lo_u32 v99, v99, s23
	v_dot4c_i32_i8_e32 v101, v99, v2
	v_and_b32_e32 v103, 0x3030303, v103
	v_mov_b32_e32 v95, 0
	v_dot4c_i32_i8_e32 v101, v99, v3
	v_and_b32_e32 v105, 0x3030303, v105
	s_waitcnt lgkmcnt(0)
	v_ashrrev_i32_e32 v106, s3, v106
	v_dot4c_i32_i8_e32 v95, v103, v2
	v_dot4c_i32_i8_e32 v101, v99, v4
	v_and_b32_e32 v106, 0x3030303, v106
	v_ashrrev_i32_e32 v107, s3, v107
	v_dot4c_i32_i8_e32 v95, v105, v3
	v_dot4c_i32_i8_e32 v101, v99, v5
	v_and_b32_e32 v99, 15, v97
	v_and_b32_e32 v107, 0x3030303, v107
	v_dot4c_i32_i8_e32 v95, v106, v4
	v_and_b32_sdwa v97, v97, v87 dst_sel:DWORD dst_unused:UNUSED_PAD src0_sel:BYTE_1 src1_sel:DWORD
	v_and_b32_e32 v99, 0xffff, v99
	v_dot4c_i32_i8_e32 v95, v107, v5
	v_and_b32_e32 v97, 0xffff, v97
	v_mul_lo_u32 v106, v110, v99
	v_cvt_f32_f16_e32 v108, v109
	v_mad_u64_u32 v[106:107], s[26:27], v95, v97, v[106:107]
	v_cvt_f32_f16_sdwa v109, v109 dst_sel:DWORD dst_unused:UNUSED_PAD src0_sel:WORD_1
	v_cvt_f32_i32_e32 v106, v106
	v_cvt_f32_i32_e32 v107, v101
	v_add_u32_e32 v95, 0x1080, v93
	v_add_u32_e32 v99, 0x1088, v93
	v_mov_b32_e32 v112, 0
	v_pk_mul_f32 v[106:107], v[108:109], v[106:107]
	ds_read2_b32 v[108:109], v95 offset1:1
	v_add_u32_e32 v110, s18, v19
	v_add_u32_e32 v103, 0x1090, v93
	;; [unrolled: 1-line block ×4, first 2 shown]
	s_waitcnt lgkmcnt(0)
	v_ashrrev_i32_e32 v95, s3, v108
	v_and_b32_e32 v95, 0x3030303, v95
	v_ashrrev_i32_e32 v97, s3, v109
	ds_read2_b32 v[108:109], v99 offset1:1
	v_and_b32_e32 v97, 0x3030303, v97
	v_dot4c_i32_i8_e32 v112, v95, v6
	v_dot4c_i32_i8_e32 v112, v97, v7
	ds_read_u16 v97, v110 offset:17904
	s_waitcnt lgkmcnt(1)
	v_ashrrev_i32_e32 v99, s3, v108
	v_ashrrev_i32_e32 v101, s3, v109
	ds_read2_b32 v[108:109], v103 offset1:1
	v_and_b32_e32 v99, 0x3030303, v99
	v_and_b32_e32 v101, 0x3030303, v101
	v_dot4c_i32_i8_e32 v112, v99, v8
	s_waitcnt lgkmcnt(1)
	v_bfe_u32 v99, v97, 4, 4
	v_dot4c_i32_i8_e32 v112, v101, v9
	v_mul_lo_u32 v99, v99, s23
	v_mov_b32_e32 v101, 0
	v_dot4c_i32_i8_e32 v101, v99, v6
	s_waitcnt lgkmcnt(0)
	v_ashrrev_i32_e32 v103, s3, v108
	v_add_u32_e32 v108, 0x1098, v93
	v_dot4c_i32_i8_e32 v101, v99, v7
	v_ashrrev_i32_e32 v105, s3, v109
	ds_read2_b32 v[108:109], v108 offset1:1
	v_dot4c_i32_i8_e32 v101, v99, v8
	v_dot4c_i32_i8_e32 v101, v99, v9
	v_lshrrev_b32_sdwa v99, v85, v97 dst_sel:DWORD dst_unused:UNUSED_PAD src0_sel:DWORD src1_sel:BYTE_1
	v_mul_lo_u32 v99, v99, s23
	v_dot4c_i32_i8_e32 v101, v99, v2
	v_and_b32_e32 v103, 0x3030303, v103
	v_mov_b32_e32 v95, 0
	v_dot4c_i32_i8_e32 v101, v99, v3
	v_and_b32_e32 v105, 0x3030303, v105
	s_waitcnt lgkmcnt(0)
	v_ashrrev_i32_e32 v108, s3, v108
	v_dot4c_i32_i8_e32 v95, v103, v2
	v_dot4c_i32_i8_e32 v101, v99, v4
	v_and_b32_e32 v108, 0x3030303, v108
	v_ashrrev_i32_e32 v109, s3, v109
	v_dot4c_i32_i8_e32 v95, v105, v3
	v_dot4c_i32_i8_e32 v101, v99, v5
	v_and_b32_e32 v99, 15, v97
	v_and_b32_e32 v109, 0x3030303, v109
	v_dot4c_i32_i8_e32 v95, v108, v4
	v_and_b32_sdwa v97, v97, v87 dst_sel:DWORD dst_unused:UNUSED_PAD src0_sel:BYTE_1 src1_sel:DWORD
	v_and_b32_e32 v99, 0xffff, v99
	v_dot4c_i32_i8_e32 v95, v109, v5
	v_and_b32_e32 v97, 0xffff, v97
	v_mul_lo_u32 v108, v112, v99
	v_mov_b32_e32 v110, v107
	v_mad_u64_u32 v[108:109], s[26:27], v95, v97, v[108:109]
	v_cvt_f32_f16_e32 v95, v111
	v_cvt_f32_i32_e32 v99, v108
	v_cvt_f32_f16_sdwa v97, v111 dst_sel:DWORD dst_unused:UNUSED_PAD src0_sel:WORD_1
	v_mov_b32_e32 v108, v106
	v_add_u32_e32 v103, 0x2110, v93
	v_mul_f32_e32 v109, v95, v99
	v_cvt_f32_i32_e32 v95, v101
	v_add_u32_e32 v99, 0x2108, v93
	v_mul_f32_e32 v111, v97, v95
	v_pk_add_f32 v[106:107], v[108:109], v[110:111] neg_lo:[0,1] neg_hi:[0,1]
	v_add_u32_e32 v95, 0x2100, v93
	v_pk_fma_f32 v[36:37], v[104:105], v[106:107], v[36:37] op_sel_hi:[0,1,1]
	ds_read2_b32 v[106:107], v95 offset1:1
	v_add3_u32 v109, s19, v67, v69
	ds_read_b32 v109, v109
	v_mov_b32_e32 v110, 0
	v_add_u32_e32 v108, s18, v21
	s_waitcnt lgkmcnt(1)
	v_ashrrev_i32_e32 v95, s3, v106
	v_and_b32_e32 v95, 0x3030303, v95
	v_ashrrev_i32_e32 v97, s3, v107
	ds_read2_b32 v[106:107], v99 offset1:1
	v_and_b32_e32 v97, 0x3030303, v97
	v_dot4c_i32_i8_e32 v110, v95, v6
	v_dot4c_i32_i8_e32 v110, v97, v7
	ds_read_u16 v97, v108 offset:18928
	s_waitcnt lgkmcnt(1)
	v_ashrrev_i32_e32 v99, s3, v106
	v_ashrrev_i32_e32 v101, s3, v107
	ds_read2_b32 v[106:107], v103 offset1:1
	v_and_b32_e32 v99, 0x3030303, v99
	v_and_b32_e32 v101, 0x3030303, v101
	v_dot4c_i32_i8_e32 v110, v99, v8
	s_waitcnt lgkmcnt(1)
	v_bfe_u32 v99, v97, 4, 4
	v_dot4c_i32_i8_e32 v110, v101, v9
	v_mul_lo_u32 v99, v99, s23
	v_mov_b32_e32 v101, 0
	v_dot4c_i32_i8_e32 v101, v99, v6
	s_waitcnt lgkmcnt(0)
	v_ashrrev_i32_e32 v103, s3, v106
	v_add_u32_e32 v106, 0x2118, v93
	v_dot4c_i32_i8_e32 v101, v99, v7
	v_ashrrev_i32_e32 v105, s3, v107
	ds_read2_b32 v[106:107], v106 offset1:1
	v_dot4c_i32_i8_e32 v101, v99, v8
	v_dot4c_i32_i8_e32 v101, v99, v9
	v_lshrrev_b32_sdwa v99, v85, v97 dst_sel:DWORD dst_unused:UNUSED_PAD src0_sel:DWORD src1_sel:BYTE_1
	v_mul_lo_u32 v99, v99, s23
	v_dot4c_i32_i8_e32 v101, v99, v2
	v_and_b32_e32 v103, 0x3030303, v103
	v_mov_b32_e32 v95, 0
	v_dot4c_i32_i8_e32 v101, v99, v3
	v_and_b32_e32 v105, 0x3030303, v105
	s_waitcnt lgkmcnt(0)
	v_ashrrev_i32_e32 v106, s3, v106
	v_dot4c_i32_i8_e32 v95, v103, v2
	v_dot4c_i32_i8_e32 v101, v99, v4
	v_and_b32_e32 v106, 0x3030303, v106
	v_ashrrev_i32_e32 v107, s3, v107
	v_dot4c_i32_i8_e32 v95, v105, v3
	v_dot4c_i32_i8_e32 v101, v99, v5
	v_and_b32_e32 v99, 15, v97
	v_and_b32_e32 v107, 0x3030303, v107
	v_dot4c_i32_i8_e32 v95, v106, v4
	v_and_b32_sdwa v97, v97, v87 dst_sel:DWORD dst_unused:UNUSED_PAD src0_sel:BYTE_1 src1_sel:DWORD
	v_and_b32_e32 v99, 0xffff, v99
	v_dot4c_i32_i8_e32 v95, v107, v5
	v_and_b32_e32 v97, 0xffff, v97
	v_mul_lo_u32 v106, v110, v99
	v_cvt_f32_f16_e32 v108, v109
	v_mad_u64_u32 v[106:107], s[26:27], v95, v97, v[106:107]
	v_cvt_f32_f16_sdwa v109, v109 dst_sel:DWORD dst_unused:UNUSED_PAD src0_sel:WORD_1
	v_cvt_f32_i32_e32 v106, v106
	v_cvt_f32_i32_e32 v107, v101
	v_add_u32_e32 v95, 0x3180, v93
	v_add_u32_e32 v99, 0x3188, v93
	;; [unrolled: 1-line block ×3, first 2 shown]
	v_pk_mul_f32 v[106:107], v[108:109], v[106:107]
	ds_read2_b32 v[108:109], v95 offset1:1
	v_add_u32_e32 v93, 0x3198, v93
	v_mov_b32_e32 v111, 0
	v_add3_u32 v110, s19, v71, v73
	ds_read_b32 v110, v110
	s_waitcnt lgkmcnt(1)
	v_ashrrev_i32_e32 v95, s3, v108
	v_ashrrev_i32_e32 v97, s3, v109
	ds_read2_b32 v[108:109], v99 offset1:1
	v_and_b32_e32 v95, 0x3030303, v95
	v_dot4c_i32_i8_e32 v111, v95, v6
	v_mov_b32_e32 v95, 0
	v_and_b32_e32 v97, 0x3030303, v97
	s_waitcnt lgkmcnt(0)
	v_ashrrev_i32_e32 v99, s3, v108
	v_ashrrev_i32_e32 v101, s3, v109
	ds_read2_b32 v[108:109], v103 offset1:1
	v_and_b32_e32 v99, 0x3030303, v99
	v_dot4c_i32_i8_e32 v111, v97, v7
	v_dot4c_i32_i8_e32 v111, v99, v8
	v_mov_b32_e32 v99, 0
	s_waitcnt lgkmcnt(0)
	v_ashrrev_i32_e32 v103, s3, v108
	v_ashrrev_i32_e32 v105, s3, v109
	ds_read2_b32 v[108:109], v93 offset1:1
	v_and_b32_e32 v103, 0x3030303, v103
	v_and_b32_e32 v105, 0x3030303, v105
	v_dot4c_i32_i8_e32 v95, v103, v2
	v_dot4c_i32_i8_e32 v95, v105, v3
	s_waitcnt lgkmcnt(0)
	v_ashrrev_i32_e32 v93, s3, v108
	v_and_b32_e32 v93, 0x3030303, v93
	v_ashrrev_i32_e32 v108, s3, v109
	v_add_u32_e32 v109, s18, v23
	v_dot4c_i32_i8_e32 v95, v93, v4
	ds_read_u16 v93, v109 offset:19952
	v_and_b32_e32 v101, 0x3030303, v101
	v_and_b32_e32 v108, 0x3030303, v108
	v_dot4c_i32_i8_e32 v111, v101, v9
	v_dot4c_i32_i8_e32 v95, v108, v5
	s_waitcnt lgkmcnt(0)
	v_bfe_u32 v97, v93, 4, 4
	v_mul_lo_u32 v97, v97, s23
	v_dot4c_i32_i8_e32 v99, v97, v6
	v_dot4c_i32_i8_e32 v99, v97, v7
	v_dot4c_i32_i8_e32 v99, v97, v8
	v_lshrrev_b32_sdwa v6, v85, v93 dst_sel:DWORD dst_unused:UNUSED_PAD src0_sel:DWORD src1_sel:BYTE_1
	v_dot4c_i32_i8_e32 v99, v97, v9
	v_mul_lo_u32 v6, v6, s23
	v_dot4c_i32_i8_e32 v99, v6, v2
	v_and_b32_e32 v2, 15, v93
	v_dot4c_i32_i8_e32 v99, v6, v3
	v_and_b32_sdwa v3, v93, v87 dst_sel:DWORD dst_unused:UNUSED_PAD src0_sel:BYTE_1 src1_sel:DWORD
	v_and_b32_e32 v2, 0xffff, v2
	v_dot4c_i32_i8_e32 v99, v6, v4
	v_and_b32_e32 v3, 0xffff, v3
	v_mul_lo_u32 v2, v111, v2
	v_dot4c_i32_i8_e32 v99, v6, v5
	v_mad_u64_u32 v[2:3], s[18:19], v95, v3, v[2:3]
	v_cvt_f32_f16_e32 v4, v110
	v_cvt_f32_f16_sdwa v5, v110 dst_sel:DWORD dst_unused:UNUSED_PAD src0_sel:WORD_1
	v_cvt_f32_i32_e32 v2, v2
	v_cvt_f32_i32_e32 v3, v99
	s_add_i32 s3, s2, 2
	s_cmp_lt_u32 s2, 22
	s_mov_b32 s2, s3
	v_pk_mul_f32 v[2:3], v[4:5], v[2:3]
	v_mov_b32_e32 v4, v106
	v_mov_b32_e32 v5, v2
	;; [unrolled: 1-line block ×3, first 2 shown]
	v_pk_add_f32 v[2:3], v[4:5], v[2:3] neg_lo:[0,1] neg_hi:[0,1]
	s_nop 0
	v_pk_fma_f32 v[34:35], v[104:105], v[2:3], v[34:35] op_sel_hi:[0,1,1]
	s_cbranch_scc1 .LBB228_27
; %bb.28:                               ;   in Loop: Header=BB228_5 Depth=1
	s_or_b32 s2, s24, 0x180
	s_cmp_ge_i32 s2, s5
	s_barrier
	s_cbranch_scc1 .LBB228_4
; %bb.29:                               ;   in Loop: Header=BB228_5 Depth=1
	v_add_u32_e32 v2, s25, v47
	v_cmp_gt_i32_e64 s[2:3], s8, v2
	s_and_b64 s[18:19], s[0:1], s[2:3]
	s_and_saveexec_b64 s[2:3], s[18:19]
	s_cbranch_execz .LBB228_31
; %bb.30:                               ;   in Loop: Header=BB228_5 Depth=1
	v_add_u32_e32 v2, v54, v2
	v_mad_i64_i32 v[2:3], s[18:19], v2, 36, v[52:53]
	global_load_dword v2, v[2:3], off offset:4
	s_waitcnt vmcnt(0)
	ds_write_b32 v41, v2
.LBB228_31:                             ;   in Loop: Header=BB228_5 Depth=1
	s_or_b64 exec, exec, s[2:3]
	s_and_saveexec_b64 s[18:19], vcc
	s_cbranch_execz .LBB228_34
; %bb.32:                               ;   in Loop: Header=BB228_5 Depth=1
	v_or_b32_e32 v2, 12, v102
	v_cmp_gt_i32_e64 s[2:3], s8, v2
	s_and_b64 s[2:3], s[0:1], s[2:3]
	s_and_b64 exec, exec, s[2:3]
	s_cbranch_execz .LBB228_34
; %bb.33:                               ;   in Loop: Header=BB228_5 Depth=1
	v_ashrrev_i32_e32 v103, 31, v102
	v_lshl_add_u64 v[2:3], v[54:55], 0, v[102:103]
	v_mad_u64_u32 v[4:5], s[2:3], v2, 36, s[14:15]
	v_mad_i32_i24 v5, v3, 36, v5
	global_load_dword v2, v[4:5], off offset:432
	s_waitcnt vmcnt(0)
	v_cvt_f32_f16_e32 v2, v2
	ds_write_b32 v61, v2
.LBB228_34:                             ;   in Loop: Header=BB228_5 Depth=1
	s_or_b64 exec, exec, s[18:19]
	s_mov_b32 s2, 24
	v_mov_b32_e32 v89, v15
	v_mov_b32_e32 v91, v59
	s_waitcnt lgkmcnt(0)
	s_barrier
.LBB228_35:                             ;   Parent Loop BB228_5 Depth=1
                                        ; =>  This Inner Loop Header: Depth=2
	s_and_b32 s19, s2, 0x3ffffff8
	v_lshl_add_u32 v93, s19, 2, v49
	ds_read_b32 v102, v91
	ds_read_b128 v[6:9], v89
	ds_read_b128 v[2:5], v89 offset:16
	ds_read2_b32 v[104:105], v93 offset1:1
	s_lshr_b32 s19, s2, 2
	s_and_b32 s19, s19, 0x3ffffffc
	s_addk_i32 s19, 0x5280
	s_sub_i32 s3, s2, 24
	v_add3_u32 v108, s19, v83, v51
	s_and_b32 s18, s2, -16
	ds_read_b32 v108, v108
	s_waitcnt lgkmcnt(1)
	v_ashrrev_i32_e32 v95, s3, v104
	v_and_b32_e32 v95, 0x3030303, v95
	v_ashrrev_i32_e32 v97, s3, v105
	ds_read2_b32 v[104:105], v93 offset0:2 offset1:3
	s_add_i32 s18, s2, s18
	v_mov_b32_e32 v109, 0
	v_and_b32_e32 v97, 0x3030303, v97
	v_add_u32_e32 v107, s18, v17
	v_dot4c_i32_i8_e32 v109, v95, v6
	v_dot4c_i32_i8_e32 v109, v97, v7
	ds_read_u16 v97, v107 offset:16880
	s_waitcnt lgkmcnt(1)
	v_ashrrev_i32_e32 v99, s3, v104
	v_ashrrev_i32_e32 v101, s3, v105
	ds_read2_b32 v[104:105], v93 offset0:4 offset1:5
	v_and_b32_e32 v99, 0x3030303, v99
	v_and_b32_e32 v101, 0x3030303, v101
	v_dot4c_i32_i8_e32 v109, v99, v8
	s_waitcnt lgkmcnt(1)
	v_bfe_u32 v99, v97, 4, 4
	v_dot4c_i32_i8_e32 v109, v101, v9
	v_mul_lo_u32 v99, v99, s23
	v_mov_b32_e32 v101, 0
	v_dot4c_i32_i8_e32 v101, v99, v6
	v_add3_u32 v110, s19, v63, v65
	v_dot4c_i32_i8_e32 v101, v99, v7
	ds_read_b32 v110, v110
	s_waitcnt lgkmcnt(1)
	v_ashrrev_i32_e32 v103, s3, v104
	v_ashrrev_i32_e32 v104, s3, v105
	v_and_b32_e32 v106, 0x3030303, v104
	ds_read2_b32 v[104:105], v93 offset0:6 offset1:7
	v_dot4c_i32_i8_e32 v101, v99, v8
	v_dot4c_i32_i8_e32 v101, v99, v9
	v_lshrrev_b32_sdwa v99, v85, v97 dst_sel:DWORD dst_unused:UNUSED_PAD src0_sel:DWORD src1_sel:BYTE_1
	v_mul_lo_u32 v99, v99, s23
	v_dot4c_i32_i8_e32 v101, v99, v2
	v_and_b32_e32 v103, 0x3030303, v103
	v_mov_b32_e32 v95, 0
	v_dot4c_i32_i8_e32 v101, v99, v3
	s_waitcnt lgkmcnt(0)
	v_ashrrev_i32_e32 v104, s3, v104
	v_dot4c_i32_i8_e32 v95, v103, v2
	v_dot4c_i32_i8_e32 v101, v99, v4
	v_and_b32_e32 v104, 0x3030303, v104
	v_ashrrev_i32_e32 v105, s3, v105
	v_dot4c_i32_i8_e32 v95, v106, v3
	v_dot4c_i32_i8_e32 v101, v99, v5
	v_and_b32_e32 v99, 15, v97
	v_and_b32_e32 v105, 0x3030303, v105
	v_dot4c_i32_i8_e32 v95, v104, v4
	v_and_b32_sdwa v97, v97, v87 dst_sel:DWORD dst_unused:UNUSED_PAD src0_sel:BYTE_1 src1_sel:DWORD
	v_and_b32_e32 v99, 0xffff, v99
	v_dot4c_i32_i8_e32 v95, v105, v5
	v_and_b32_e32 v97, 0xffff, v97
	v_mul_lo_u32 v104, v109, v99
	v_cvt_f32_f16_e32 v106, v108
	v_mad_u64_u32 v[104:105], s[24:25], v95, v97, v[104:105]
	v_cvt_f32_f16_sdwa v107, v108 dst_sel:DWORD dst_unused:UNUSED_PAD src0_sel:WORD_1
	v_cvt_f32_i32_e32 v104, v104
	v_cvt_f32_i32_e32 v105, v101
	v_add_u32_e32 v95, 0x1080, v93
	v_add_u32_e32 v99, 0x1088, v93
	v_mov_b32_e32 v111, 0
	v_pk_mul_f32 v[104:105], v[106:107], v[104:105]
	ds_read2_b32 v[106:107], v95 offset1:1
	v_add_u32_e32 v109, s18, v19
	v_add_u32_e32 v103, 0x1090, v93
	;; [unrolled: 1-line block ×4, first 2 shown]
	s_waitcnt lgkmcnt(0)
	v_ashrrev_i32_e32 v95, s3, v106
	v_ashrrev_i32_e32 v97, s3, v107
	ds_read2_b32 v[106:107], v99 offset1:1
	v_and_b32_e32 v95, 0x3030303, v95
	v_and_b32_e32 v97, 0x3030303, v97
	v_dot4c_i32_i8_e32 v111, v95, v6
	v_dot4c_i32_i8_e32 v111, v97, v7
	ds_read_u16 v97, v109 offset:17904
	s_waitcnt lgkmcnt(1)
	v_ashrrev_i32_e32 v99, s3, v106
	v_ashrrev_i32_e32 v101, s3, v107
	ds_read2_b32 v[106:107], v103 offset1:1
	v_and_b32_e32 v99, 0x3030303, v99
	v_and_b32_e32 v101, 0x3030303, v101
	v_dot4c_i32_i8_e32 v111, v99, v8
	s_waitcnt lgkmcnt(1)
	v_bfe_u32 v99, v97, 4, 4
	v_dot4c_i32_i8_e32 v111, v101, v9
	v_mul_lo_u32 v99, v99, s23
	v_mov_b32_e32 v101, 0
	s_waitcnt lgkmcnt(0)
	v_ashrrev_i32_e32 v103, s3, v106
	v_ashrrev_i32_e32 v106, s3, v107
	v_dot4c_i32_i8_e32 v101, v99, v6
	v_and_b32_e32 v108, 0x3030303, v106
	v_add_u32_e32 v106, 0x1098, v93
	v_dot4c_i32_i8_e32 v101, v99, v7
	ds_read2_b32 v[106:107], v106 offset1:1
	v_dot4c_i32_i8_e32 v101, v99, v8
	v_dot4c_i32_i8_e32 v101, v99, v9
	v_lshrrev_b32_sdwa v99, v85, v97 dst_sel:DWORD dst_unused:UNUSED_PAD src0_sel:DWORD src1_sel:BYTE_1
	v_mul_lo_u32 v99, v99, s23
	v_dot4c_i32_i8_e32 v101, v99, v2
	v_and_b32_e32 v103, 0x3030303, v103
	v_mov_b32_e32 v95, 0
	v_dot4c_i32_i8_e32 v101, v99, v3
	s_waitcnt lgkmcnt(0)
	v_ashrrev_i32_e32 v106, s3, v106
	v_dot4c_i32_i8_e32 v95, v103, v2
	v_dot4c_i32_i8_e32 v101, v99, v4
	v_and_b32_e32 v106, 0x3030303, v106
	v_ashrrev_i32_e32 v107, s3, v107
	v_dot4c_i32_i8_e32 v95, v108, v3
	v_dot4c_i32_i8_e32 v101, v99, v5
	v_and_b32_e32 v99, 15, v97
	v_and_b32_e32 v107, 0x3030303, v107
	v_dot4c_i32_i8_e32 v95, v106, v4
	v_and_b32_sdwa v97, v97, v87 dst_sel:DWORD dst_unused:UNUSED_PAD src0_sel:BYTE_1 src1_sel:DWORD
	v_and_b32_e32 v99, 0xffff, v99
	v_dot4c_i32_i8_e32 v95, v107, v5
	v_and_b32_e32 v97, 0xffff, v97
	v_mul_lo_u32 v106, v111, v99
	v_mov_b32_e32 v108, v105
	v_mad_u64_u32 v[106:107], s[24:25], v95, v97, v[106:107]
	v_cvt_f32_f16_e32 v95, v110
	v_cvt_f32_i32_e32 v99, v106
	v_cvt_f32_f16_sdwa v97, v110 dst_sel:DWORD dst_unused:UNUSED_PAD src0_sel:WORD_1
	v_mov_b32_e32 v106, v104
	v_mov_b32_e32 v110, 0
	v_mul_f32_e32 v107, v95, v99
	v_cvt_f32_i32_e32 v95, v101
	v_add_u32_e32 v99, 0x2108, v93
	v_mul_f32_e32 v109, v97, v95
	v_pk_add_f32 v[104:105], v[106:107], v[108:109] neg_lo:[0,1] neg_hi:[0,1]
	v_add_u32_e32 v95, 0x2100, v93
	v_pk_fma_f32 v[36:37], v[102:103], v[104:105], v[36:37] op_sel_hi:[0,1,1]
	ds_read2_b32 v[104:105], v95 offset1:1
	v_add3_u32 v108, s19, v67, v69
	ds_read_b32 v108, v108
	v_mov_b32_e32 v109, 0
	v_add_u32_e32 v107, s18, v21
	s_waitcnt lgkmcnt(1)
	v_ashrrev_i32_e32 v95, s3, v104
	v_ashrrev_i32_e32 v97, s3, v105
	ds_read2_b32 v[104:105], v99 offset1:1
	v_and_b32_e32 v95, 0x3030303, v95
	v_and_b32_e32 v97, 0x3030303, v97
	v_dot4c_i32_i8_e32 v109, v95, v6
	v_dot4c_i32_i8_e32 v109, v97, v7
	ds_read_u16 v97, v107 offset:18928
	v_add_u32_e32 v103, 0x2110, v93
	s_waitcnt lgkmcnt(1)
	v_ashrrev_i32_e32 v99, s3, v104
	v_ashrrev_i32_e32 v101, s3, v105
	ds_read2_b32 v[104:105], v103 offset1:1
	v_and_b32_e32 v99, 0x3030303, v99
	v_and_b32_e32 v101, 0x3030303, v101
	v_dot4c_i32_i8_e32 v109, v99, v8
	s_waitcnt lgkmcnt(1)
	v_bfe_u32 v99, v97, 4, 4
	v_dot4c_i32_i8_e32 v109, v101, v9
	v_mul_lo_u32 v99, v99, s23
	v_mov_b32_e32 v101, 0
	s_waitcnt lgkmcnt(0)
	v_ashrrev_i32_e32 v103, s3, v104
	v_ashrrev_i32_e32 v104, s3, v105
	v_dot4c_i32_i8_e32 v101, v99, v6
	v_and_b32_e32 v106, 0x3030303, v104
	v_add_u32_e32 v104, 0x2118, v93
	v_dot4c_i32_i8_e32 v101, v99, v7
	ds_read2_b32 v[104:105], v104 offset1:1
	v_dot4c_i32_i8_e32 v101, v99, v8
	v_dot4c_i32_i8_e32 v101, v99, v9
	v_lshrrev_b32_sdwa v99, v85, v97 dst_sel:DWORD dst_unused:UNUSED_PAD src0_sel:DWORD src1_sel:BYTE_1
	v_mul_lo_u32 v99, v99, s23
	v_dot4c_i32_i8_e32 v101, v99, v2
	v_and_b32_e32 v103, 0x3030303, v103
	v_mov_b32_e32 v95, 0
	v_dot4c_i32_i8_e32 v101, v99, v3
	s_waitcnt lgkmcnt(0)
	v_ashrrev_i32_e32 v104, s3, v104
	v_dot4c_i32_i8_e32 v95, v103, v2
	v_dot4c_i32_i8_e32 v101, v99, v4
	v_and_b32_e32 v104, 0x3030303, v104
	v_ashrrev_i32_e32 v105, s3, v105
	v_dot4c_i32_i8_e32 v95, v106, v3
	v_dot4c_i32_i8_e32 v101, v99, v5
	v_and_b32_e32 v99, 15, v97
	v_and_b32_e32 v105, 0x3030303, v105
	v_dot4c_i32_i8_e32 v95, v104, v4
	v_and_b32_sdwa v97, v97, v87 dst_sel:DWORD dst_unused:UNUSED_PAD src0_sel:BYTE_1 src1_sel:DWORD
	v_and_b32_e32 v99, 0xffff, v99
	v_dot4c_i32_i8_e32 v95, v105, v5
	v_and_b32_e32 v97, 0xffff, v97
	v_mul_lo_u32 v104, v109, v99
	v_cvt_f32_f16_e32 v106, v108
	v_mad_u64_u32 v[104:105], s[24:25], v95, v97, v[104:105]
	v_cvt_f32_f16_sdwa v107, v108 dst_sel:DWORD dst_unused:UNUSED_PAD src0_sel:WORD_1
	v_cvt_f32_i32_e32 v104, v104
	v_cvt_f32_i32_e32 v105, v101
	v_add_u32_e32 v95, 0x3180, v93
	v_add_u32_e32 v99, 0x3188, v93
	;; [unrolled: 1-line block ×3, first 2 shown]
	v_pk_mul_f32 v[104:105], v[106:107], v[104:105]
	ds_read2_b32 v[106:107], v95 offset1:1
	v_add_u32_e32 v93, 0x3198, v93
	v_add3_u32 v109, s19, v71, v73
	ds_read_b32 v109, v109
	s_waitcnt lgkmcnt(1)
	v_ashrrev_i32_e32 v95, s3, v106
	v_ashrrev_i32_e32 v97, s3, v107
	ds_read2_b32 v[106:107], v99 offset1:1
	v_and_b32_e32 v95, 0x3030303, v95
	v_dot4c_i32_i8_e32 v110, v95, v6
	v_mov_b32_e32 v95, 0
	v_and_b32_e32 v97, 0x3030303, v97
	s_waitcnt lgkmcnt(0)
	v_ashrrev_i32_e32 v99, s3, v106
	v_ashrrev_i32_e32 v101, s3, v107
	ds_read2_b32 v[106:107], v103 offset1:1
	v_and_b32_e32 v99, 0x3030303, v99
	v_dot4c_i32_i8_e32 v110, v97, v7
	v_dot4c_i32_i8_e32 v110, v99, v8
	v_mov_b32_e32 v99, 0
	s_waitcnt lgkmcnt(0)
	v_ashrrev_i32_e32 v103, s3, v106
	v_ashrrev_i32_e32 v106, s3, v107
	v_and_b32_e32 v108, 0x3030303, v106
	ds_read2_b32 v[106:107], v93 offset1:1
	v_and_b32_e32 v103, 0x3030303, v103
	v_dot4c_i32_i8_e32 v95, v103, v2
	v_dot4c_i32_i8_e32 v95, v108, v3
	v_and_b32_e32 v101, 0x3030303, v101
	s_waitcnt lgkmcnt(0)
	v_ashrrev_i32_e32 v93, s3, v106
	v_and_b32_e32 v93, 0x3030303, v93
	v_ashrrev_i32_e32 v106, s3, v107
	v_add_u32_e32 v107, s18, v23
	v_dot4c_i32_i8_e32 v95, v93, v4
	ds_read_u16 v93, v107 offset:19952
	v_and_b32_e32 v106, 0x3030303, v106
	v_dot4c_i32_i8_e32 v110, v101, v9
	v_dot4c_i32_i8_e32 v95, v106, v5
	s_add_i32 s3, s2, 2
	s_waitcnt lgkmcnt(0)
	v_bfe_u32 v97, v93, 4, 4
	v_mul_lo_u32 v97, v97, s23
	v_dot4c_i32_i8_e32 v99, v97, v6
	v_dot4c_i32_i8_e32 v99, v97, v7
	;; [unrolled: 1-line block ×3, first 2 shown]
	v_lshrrev_b32_sdwa v6, v85, v93 dst_sel:DWORD dst_unused:UNUSED_PAD src0_sel:DWORD src1_sel:BYTE_1
	v_dot4c_i32_i8_e32 v99, v97, v9
	v_mul_lo_u32 v6, v6, s23
	v_dot4c_i32_i8_e32 v99, v6, v2
	v_and_b32_e32 v2, 15, v93
	v_dot4c_i32_i8_e32 v99, v6, v3
	v_and_b32_sdwa v3, v93, v87 dst_sel:DWORD dst_unused:UNUSED_PAD src0_sel:BYTE_1 src1_sel:DWORD
	v_and_b32_e32 v2, 0xffff, v2
	v_dot4c_i32_i8_e32 v99, v6, v4
	v_and_b32_e32 v3, 0xffff, v3
	v_mul_lo_u32 v2, v110, v2
	v_dot4c_i32_i8_e32 v99, v6, v5
	v_mad_u64_u32 v[2:3], s[18:19], v95, v3, v[2:3]
	v_cvt_f32_f16_e32 v4, v109
	v_cvt_f32_f16_sdwa v5, v109 dst_sel:DWORD dst_unused:UNUSED_PAD src0_sel:WORD_1
	v_cvt_f32_i32_e32 v2, v2
	v_cvt_f32_i32_e32 v3, v99
	s_cmp_lt_u32 s2, 30
	s_mov_b32 s2, s3
	v_pk_mul_f32 v[2:3], v[4:5], v[2:3]
	v_mov_b32_e32 v4, v104
	v_mov_b32_e32 v5, v2
	;; [unrolled: 1-line block ×3, first 2 shown]
	v_pk_add_f32 v[2:3], v[4:5], v[2:3] neg_lo:[0,1] neg_hi:[0,1]
	s_nop 0
	v_pk_fma_f32 v[34:35], v[102:103], v[2:3], v[34:35] op_sel_hi:[0,1,1]
	s_cbranch_scc1 .LBB228_35
; %bb.36:                               ;   in Loop: Header=BB228_5 Depth=1
	s_barrier
	s_branch .LBB228_4
.LBB228_37:
	s_mul_i32 s0, s10, s7
	s_waitcnt vmcnt(0)
	v_cmp_gt_i32_e32 vcc, s0, v1
	s_and_saveexec_b64 s[0:1], vcc
	s_cbranch_execz .LBB228_46
; %bb.38:
	v_and_b32_e32 v0, 0x3ff, v0
	v_add_u32_e32 v2, s11, v0
	v_mul_lo_u32 v0, v1, s9
	v_cmp_gt_u32_e32 vcc, s9, v2
	s_and_saveexec_b64 s[0:1], vcc
	s_cbranch_execz .LBB228_40
; %bb.39:
	v_bfe_u32 v1, v36, 16, 1
	s_movk_i32 s2, 0x7fff
	v_add3_u32 v1, v36, v1, s2
	v_cmp_o_f32_e32 vcc, v36, v36
	v_mov_b32_e32 v3, 0x7fc0
	v_add_u32_e32 v4, v0, v2
	v_mov_b32_e32 v5, 0
	v_cndmask_b32_sdwa v1, v3, v1, vcc dst_sel:DWORD dst_unused:UNUSED_PAD src0_sel:DWORD src1_sel:WORD_1
	v_lshl_add_u64 v[4:5], v[4:5], 1, s[16:17]
	global_store_short v[4:5], v1, off
.LBB228_40:
	s_or_b64 exec, exec, s[0:1]
	v_add_u32_e32 v1, 32, v2
	v_cmp_gt_u32_e32 vcc, s9, v1
	s_and_saveexec_b64 s[0:1], vcc
	s_cbranch_execz .LBB228_42
; %bb.41:
	v_bfe_u32 v3, v37, 16, 1
	s_movk_i32 s2, 0x7fff
	v_add3_u32 v3, v37, v3, s2
	v_cmp_o_f32_e32 vcc, v37, v37
	v_mov_b32_e32 v4, 0x7fc0
	v_mov_b32_e32 v5, 0
	v_cndmask_b32_sdwa v3, v4, v3, vcc dst_sel:DWORD dst_unused:UNUSED_PAD src0_sel:DWORD src1_sel:WORD_1
	v_add_u32_e32 v4, v0, v1
	v_lshl_add_u64 v[4:5], v[4:5], 1, s[16:17]
	global_store_short v[4:5], v3, off
.LBB228_42:
	s_or_b64 exec, exec, s[0:1]
	v_add_u32_e32 v1, 64, v2
	v_cmp_gt_u32_e32 vcc, s9, v1
	s_and_saveexec_b64 s[0:1], vcc
	s_cbranch_execz .LBB228_44
; %bb.43:
	v_bfe_u32 v3, v34, 16, 1
	s_movk_i32 s2, 0x7fff
	v_add3_u32 v3, v34, v3, s2
	v_cmp_o_f32_e32 vcc, v34, v34
	v_mov_b32_e32 v4, 0x7fc0
	v_mov_b32_e32 v5, 0
	v_cndmask_b32_sdwa v3, v4, v3, vcc dst_sel:DWORD dst_unused:UNUSED_PAD src0_sel:DWORD src1_sel:WORD_1
	v_add_u32_e32 v4, v0, v1
	v_lshl_add_u64 v[4:5], v[4:5], 1, s[16:17]
	global_store_short v[4:5], v3, off
.LBB228_44:
	s_or_b64 exec, exec, s[0:1]
	v_add_u32_e32 v1, 0x60, v2
	v_cmp_gt_u32_e32 vcc, s9, v1
	s_and_b64 exec, exec, vcc
	s_cbranch_execz .LBB228_46
; %bb.45:
	v_bfe_u32 v2, v35, 16, 1
	s_movk_i32 s0, 0x7fff
	v_add3_u32 v2, v35, v2, s0
	v_cmp_o_f32_e32 vcc, v35, v35
	v_mov_b32_e32 v3, 0x7fc0
	v_add_u32_e32 v0, v0, v1
	v_mov_b32_e32 v1, 0
	v_cndmask_b32_sdwa v2, v3, v2, vcc dst_sel:DWORD dst_unused:UNUSED_PAD src0_sel:DWORD src1_sel:WORD_1
	v_lshl_add_u64 v[0:1], v[0:1], 1, s[16:17]
	global_store_short v[0:1], v2, off
.LBB228_46:
	s_endpgm
	.section	.rodata,"a",@progbits
	.p2align	6, 0x0
	.amdhsa_kernel _ZL8moe_q2_KIN3c108BFloat16ELb1EEvPKvS3_PT_PKiS7_S7_iiiiiii
		.amdhsa_group_segment_fixed_size 23328
		.amdhsa_private_segment_fixed_size 0
		.amdhsa_kernarg_size 76
		.amdhsa_user_sgpr_count 2
		.amdhsa_user_sgpr_dispatch_ptr 0
		.amdhsa_user_sgpr_queue_ptr 0
		.amdhsa_user_sgpr_kernarg_segment_ptr 1
		.amdhsa_user_sgpr_dispatch_id 0
		.amdhsa_user_sgpr_kernarg_preload_length 0
		.amdhsa_user_sgpr_kernarg_preload_offset 0
		.amdhsa_user_sgpr_private_segment_size 0
		.amdhsa_uses_dynamic_stack 0
		.amdhsa_enable_private_segment 0
		.amdhsa_system_sgpr_workgroup_id_x 1
		.amdhsa_system_sgpr_workgroup_id_y 1
		.amdhsa_system_sgpr_workgroup_id_z 0
		.amdhsa_system_sgpr_workgroup_info 0
		.amdhsa_system_vgpr_workitem_id 1
		.amdhsa_next_free_vgpr 121
		.amdhsa_next_free_sgpr 75
		.amdhsa_accum_offset 124
		.amdhsa_reserve_vcc 1
		.amdhsa_float_round_mode_32 0
		.amdhsa_float_round_mode_16_64 0
		.amdhsa_float_denorm_mode_32 3
		.amdhsa_float_denorm_mode_16_64 3
		.amdhsa_dx10_clamp 1
		.amdhsa_ieee_mode 1
		.amdhsa_fp16_overflow 0
		.amdhsa_tg_split 0
		.amdhsa_exception_fp_ieee_invalid_op 0
		.amdhsa_exception_fp_denorm_src 0
		.amdhsa_exception_fp_ieee_div_zero 0
		.amdhsa_exception_fp_ieee_overflow 0
		.amdhsa_exception_fp_ieee_underflow 0
		.amdhsa_exception_fp_ieee_inexact 0
		.amdhsa_exception_int_div_zero 0
	.end_amdhsa_kernel
	.section	.text._ZL8moe_q2_KIN3c108BFloat16ELb1EEvPKvS3_PT_PKiS7_S7_iiiiiii,"axG",@progbits,_ZL8moe_q2_KIN3c108BFloat16ELb1EEvPKvS3_PT_PKiS7_S7_iiiiiii,comdat
.Lfunc_end228:
	.size	_ZL8moe_q2_KIN3c108BFloat16ELb1EEvPKvS3_PT_PKiS7_S7_iiiiiii, .Lfunc_end228-_ZL8moe_q2_KIN3c108BFloat16ELb1EEvPKvS3_PT_PKiS7_S7_iiiiiii
                                        ; -- End function
	.set _ZL8moe_q2_KIN3c108BFloat16ELb1EEvPKvS3_PT_PKiS7_S7_iiiiiii.num_vgpr, 121
	.set _ZL8moe_q2_KIN3c108BFloat16ELb1EEvPKvS3_PT_PKiS7_S7_iiiiiii.num_agpr, 0
	.set _ZL8moe_q2_KIN3c108BFloat16ELb1EEvPKvS3_PT_PKiS7_S7_iiiiiii.numbered_sgpr, 28
	.set _ZL8moe_q2_KIN3c108BFloat16ELb1EEvPKvS3_PT_PKiS7_S7_iiiiiii.num_named_barrier, 0
	.set _ZL8moe_q2_KIN3c108BFloat16ELb1EEvPKvS3_PT_PKiS7_S7_iiiiiii.private_seg_size, 0
	.set _ZL8moe_q2_KIN3c108BFloat16ELb1EEvPKvS3_PT_PKiS7_S7_iiiiiii.uses_vcc, 1
	.set _ZL8moe_q2_KIN3c108BFloat16ELb1EEvPKvS3_PT_PKiS7_S7_iiiiiii.uses_flat_scratch, 0
	.set _ZL8moe_q2_KIN3c108BFloat16ELb1EEvPKvS3_PT_PKiS7_S7_iiiiiii.has_dyn_sized_stack, 0
	.set _ZL8moe_q2_KIN3c108BFloat16ELb1EEvPKvS3_PT_PKiS7_S7_iiiiiii.has_recursion, 0
	.set _ZL8moe_q2_KIN3c108BFloat16ELb1EEvPKvS3_PT_PKiS7_S7_iiiiiii.has_indirect_call, 0
	.section	.AMDGPU.csdata,"",@progbits
; Kernel info:
; codeLenInByte = 10032
; TotalNumSgprs: 34
; NumVgprs: 121
; NumAgprs: 0
; TotalNumVgprs: 121
; ScratchSize: 0
; MemoryBound: 0
; FloatMode: 240
; IeeeMode: 1
; LDSByteSize: 23328 bytes/workgroup (compile time only)
; SGPRBlocks: 10
; VGPRBlocks: 15
; NumSGPRsForWavesPerEU: 81
; NumVGPRsForWavesPerEU: 121
; AccumOffset: 124
; Occupancy: 4
; WaveLimiterHint : 1
; COMPUTE_PGM_RSRC2:SCRATCH_EN: 0
; COMPUTE_PGM_RSRC2:USER_SGPR: 2
; COMPUTE_PGM_RSRC2:TRAP_HANDLER: 0
; COMPUTE_PGM_RSRC2:TGID_X_EN: 1
; COMPUTE_PGM_RSRC2:TGID_Y_EN: 1
; COMPUTE_PGM_RSRC2:TGID_Z_EN: 0
; COMPUTE_PGM_RSRC2:TIDIG_COMP_CNT: 1
; COMPUTE_PGM_RSRC3_GFX90A:ACCUM_OFFSET: 30
; COMPUTE_PGM_RSRC3_GFX90A:TG_SPLIT: 0
	.section	.text._ZL8moe_q3_KIN3c108BFloat16ELb0EEvPKvS3_PT_PKiS7_S7_iiiiiii,"axG",@progbits,_ZL8moe_q3_KIN3c108BFloat16ELb0EEvPKvS3_PT_PKiS7_S7_iiiiiii,comdat
	.globl	_ZL8moe_q3_KIN3c108BFloat16ELb0EEvPKvS3_PT_PKiS7_S7_iiiiiii ; -- Begin function _ZL8moe_q3_KIN3c108BFloat16ELb0EEvPKvS3_PT_PKiS7_S7_iiiiiii
	.p2align	8
	.type	_ZL8moe_q3_KIN3c108BFloat16ELb0EEvPKvS3_PT_PKiS7_S7_iiiiiii,@function
_ZL8moe_q3_KIN3c108BFloat16ELb0EEvPKvS3_PT_PKiS7_S7_iiiiiii: ; @_ZL8moe_q3_KIN3c108BFloat16ELb0EEvPKvS3_PT_PKiS7_S7_iiiiiii
; %bb.0:
	s_load_dwordx4 s[4:7], s[0:1], 0x18
	s_mov_b32 s8, s3
	s_mov_b32 s9, 0
	s_lshl_b64 s[10:11], s[8:9], 2
	s_waitcnt lgkmcnt(0)
	s_add_u32 s6, s6, s10
	s_addc_u32 s7, s7, s11
	s_load_dword s3, s[6:7], 0x0
	s_waitcnt lgkmcnt(0)
	s_cmpk_gt_u32 s3, 0xff
	s_cbranch_scc1 .LBB229_46
; %bb.1:
	s_load_dwordx2 s[6:7], s[0:1], 0x28
	s_waitcnt lgkmcnt(0)
	s_load_dword s7, s[6:7], 0x0
	s_lshl_b32 s6, s8, 3
	s_waitcnt lgkmcnt(0)
	s_cmp_gt_u32 s6, s7
	s_cbranch_scc1 .LBB229_46
; %bb.2:
	v_bfe_u32 v2, v0, 10, 10
	v_mov_b32_e32 v4, s4
	v_mov_b32_e32 v5, s5
	v_add_u32_e32 v30, s6, v2
	v_mov_b32_e32 v31, 0
	v_lshl_add_u64 v[4:5], v[30:31], 2, v[4:5]
	global_load_dword v1, v[4:5], off
	s_load_dwordx2 s[14:15], s[0:1], 0x30
	s_load_dwordx2 s[12:13], s[0:1], 0x10
	s_load_dwordx4 s[4:7], s[0:1], 0x3c
	s_lshl_b32 s18, s2, 7
	v_mov_b32_e32 v30, v31
	s_waitcnt lgkmcnt(0)
	s_cmpk_lt_i32 s15, 0x100
	v_mov_b32_e32 v33, v31
	v_mov_b32_e32 v32, v31
	s_cbranch_scc1 .LBB229_37
; %bb.3:
	s_load_dwordx4 s[8:11], s[0:1], 0x0
	s_ashr_i32 s0, s15, 31
	s_lshr_b32 s0, s0, 24
	s_add_i32 s0, s15, s0
	s_ashr_i32 s19, s0, 8
	s_ashr_i32 s0, s5, 31
	s_lshr_b32 s0, s0, 27
	s_add_i32 s0, s5, s0
	s_mul_i32 s3, s3, s14
	s_ashr_i32 s5, s0, 5
	s_ashr_i32 s0, s3, 31
	s_waitcnt lgkmcnt(0)
	s_add_u32 s1, s8, s3
	s_mul_i32 s2, s19, s18
	s_addc_u32 s0, s9, s0
	s_mul_hi_i32 s3, s2, 0x6e
	s_mulk_i32 s2, 0x6e
	s_add_u32 s20, s1, s2
	s_addc_u32 s21, s0, s3
	s_lshl_b32 s2, s19, 3
	v_mov_b32_e32 v4, s2
	v_lshlrev_b32_e32 v7, 4, v2
	v_bfe_u32 v8, v0, 1, 9
	v_and_b32_e32 v11, 0x3ff, v0
	v_mad_i32_i24 v16, s19, v2, v4
	v_and_b32_e32 v18, 1, v0
	v_add_u32_e32 v4, v8, v7
	v_lshlrev_b32_e32 v6, 2, v11
	s_movk_i32 s0, 0x84
	v_and_b32_e32 v5, 0x7f, v4
	v_lshlrev_b32_e32 v9, 2, v18
	v_lshrrev_b32_e32 v4, 2, v4
	v_mad_u32_u24 v15, v2, s0, v6
	v_mul_i32_i24_e32 v20, s19, v5
	v_lshl_or_b32 v5, v5, 3, v9
	v_and_b32_e32 v4, 28, v4
	s_movk_i32 s0, 0x7380
	v_bfe_u32 v10, v0, 4, 6
	v_add3_u32 v59, v5, v4, s0
	v_lshlrev_b32_e32 v4, 1, v2
	v_add_u32_e32 v5, v10, v4
	v_add_u16_e32 v4, v10, v4
	v_and_b32_e32 v3, 15, v0
	v_lshrrev_b16_e32 v4, 1, v4
	v_lshlrev_b32_e32 v12, 2, v3
	v_lshlrev_b32_e32 v4, 2, v4
	s_movk_i32 s0, 0x4200
	v_add3_u32 v30, v4, v12, s0
	v_add_u32_e32 v4, 16, v5
	v_lshlrev_b32_e32 v28, 1, v4
	v_and_b32_e32 v28, 0x3ffc, v28
	v_lshlrev_b32_e32 v33, 6, v4
	v_add_u32_e32 v4, 32, v5
	v_add3_u32 v32, v28, v12, s0
	v_lshlrev_b32_e32 v28, 1, v4
	v_and_b32_e32 v28, 0x3ffc, v28
	v_lshlrev_b32_e32 v35, 6, v4
	v_add_u32_e32 v4, 48, v5
	v_add3_u32 v34, v28, v12, s0
	;; [unrolled: 5-line block ×3, first 2 shown]
	v_lshlrev_b32_e32 v28, 1, v4
	s_abs_i32 s3, s7
	v_and_b32_e32 v28, 0x3ffc, v28
	v_lshlrev_b32_e32 v40, 6, v4
	v_add_u32_e32 v4, 0x50, v5
	v_cvt_f32_u32_e32 v75, s3
	v_add3_u32 v38, v28, v12, s0
	v_lshlrev_b32_e32 v28, 1, v4
	s_lshl_b32 s16, s19, 4
	v_and_b32_e32 v28, 0x3ffc, v28
	v_lshlrev_b32_e32 v44, 6, v4
	v_add_u32_e32 v4, 0x60, v5
	v_mov_b32_e32 v26, s16
	v_add3_u32 v42, v28, v12, s0
	v_lshlrev_b32_e32 v28, 1, v4
	v_lshlrev_b32_e32 v48, 6, v4
	v_add_u32_e32 v4, 0x70, v5
	v_mul_i32_i24_e32 v24, s19, v5
	v_lshlrev_b32_e32 v31, 6, v5
	v_mad_i32_i24 v26, s19, v5, v26
	v_lshlrev_b32_e32 v5, 1, v4
	v_rcp_iflag_f32_e32 v75, v75
	v_and_b32_e32 v5, 0x3ffc, v5
	v_lshlrev_b32_e32 v52, 6, v4
	v_bfe_u32 v61, v0, 3, 7
	v_and_b32_e32 v4, 3, v0
	v_and_b32_e32 v9, 7, v0
	;; [unrolled: 1-line block ×3, first 2 shown]
	v_add3_u32 v50, v5, v12, s0
	v_lshl_add_u32 v54, v2, 2, v61
	v_add_u16_e32 v5, -2, v4
	v_cmp_gt_u32_e32 vcc, 2, v4
	v_lshlrev_b32_e32 v22, 2, v9
	v_add3_u32 v46, v28, v12, s0
	v_cndmask_b32_e32 v5, v5, v4, vcc
	v_lshlrev_b32_e32 v65, 1, v4
	v_and_b32_e32 v4, 0x1ffc, v54
	s_movk_i32 s0, 0x6300
	v_mov_b32_e32 v28, 2
	v_add3_u32 v58, v4, v22, s0
	v_add_u32_e32 v4, 32, v54
	v_mul_f32_e32 v75, 0x4f7ffffe, v75
	v_lshlrev_b32_sdwa v28, v28, v5 dst_sel:DWORD dst_unused:UNUSED_PAD src0_sel:DWORD src1_sel:BYTE_0
	v_and_b32_e32 v5, 0x3ffc, v4
	v_lshlrev_b32_e32 v66, 5, v4
	v_add_u32_e32 v4, 64, v54
	v_cvt_u32_f32_e32 v75, v75
	v_add3_u32 v64, v5, v22, s0
	v_and_b32_e32 v5, 0x3ffc, v4
	v_lshlrev_b32_e32 v70, 5, v4
	v_add_u32_e32 v4, 0x60, v54
	v_add_u32_e32 v88, 0x60, v11
	v_add3_u32 v68, v5, v22, s0
	v_and_b32_e32 v5, 0x3ffc, v4
	v_add_u32_e32 v98, v42, v44
	v_lshrrev_b32_e32 v42, 4, v88
	v_add3_u32 v72, v5, v22, s0
	s_sub_i32 s0, 0, s3
	v_lshlrev_b32_e32 v122, 2, v42
	v_add_u32_e32 v42, s2, v16
	v_mul_lo_u32 v81, s0, v75
	v_add_u32_e32 v44, s2, v42
	s_waitcnt vmcnt(0)
	v_sub_u32_e32 v79, 0, v1
	v_mul_hi_u32 v81, v75, v81
	v_add_u32_e32 v99, v46, v48
	v_add_u32_e32 v46, s2, v44
	v_max_i32_e32 v79, v1, v79
	v_add_u32_e32 v75, v75, v81
	v_add_u32_e32 v48, s2, v46
	s_lshl_b32 s17, s19, 5
	v_mul_hi_u32 v75, v79, v75
	v_add_u32_e32 v103, v50, v52
	v_add_u32_e32 v50, s2, v48
	v_mov_b32_e32 v62, s17
	v_mul_lo_u32 v81, v75, s3
	v_add_u32_e32 v97, v38, v40
	v_lshrrev_b32_e32 v38, 1, v88
	v_lshlrev_b32_e32 v40, 1, v88
	v_add_u32_e32 v52, s2, v50
	v_lshlrev_b32_e32 v56, 1, v11
	v_lshlrev_b32_e32 v60, 5, v54
	v_sub_u32_e32 v79, v79, v81
	v_lshlrev_b32_e32 v120, 2, v38
	v_lshlrev_b32_e32 v123, 2, v40
	v_mad_i32_i24 v38, s19, v54, v62
	v_mul_i32_i24_e32 v40, s19, v54
	v_add_u32_e32 v54, s2, v52
	v_and_b32_e32 v63, 4, v56
	v_add_u32_e32 v81, 1, v75
	v_cmp_le_u32_e64 s[0:1], s3, v79
	v_lshlrev_b32_e32 v111, 2, v56
	v_add_u32_e32 v56, s2, v54
	v_cndmask_b32_e64 v75, v75, v81, s[0:1]
	v_subrev_u32_e32 v81, s3, v79
	v_add_u32_e32 v105, v58, v60
	v_add_u32_e32 v58, s2, v56
	v_lshlrev_b32_e32 v74, 5, v4
	v_cndmask_b32_e64 v79, v79, v81, s[0:1]
	v_add_u32_e32 v60, s2, v58
	v_xor_b32_e32 v77, s7, v1
	v_add_u32_e32 v81, 1, v75
	v_cmp_le_u32_e64 s[0:1], s3, v79
	v_add_u32_e32 v108, v72, v74
	v_add_u32_e32 v62, s2, v60
	;; [unrolled: 1-line block ×4, first 2 shown]
	v_ashrrev_i32_e32 v77, 31, v77
	v_cndmask_b32_e64 v75, v75, v81, s[0:1]
	v_add_u32_e32 v106, v64, v66
	v_add_u32_e32 v64, s2, v62
	;; [unrolled: 1-line block ×3, first 2 shown]
	v_lshlrev_b32_e32 v78, 4, v76
	v_lshrrev_b32_e32 v80, 1, v76
	v_lshlrev_b32_e32 v82, 1, v76
	v_lshrrev_b32_e32 v84, 4, v76
	v_add_u32_e32 v86, 64, v11
	v_xor_b32_e32 v75, v75, v77
	v_and_b32_e32 v79, 0x1fc, v76
	v_lshrrev_b32_e32 v100, 3, v76
	v_add_u32_e32 v66, s2, v64
	v_add_u32_e32 v76, s16, v74
	v_mov_b32_e32 v13, 0
	v_mov_b32_e32 v67, 0x77a0
	v_add_u32_e32 v71, 0x7ba0, v7
	v_lshlrev_b32_e32 v7, 5, v11
	v_sub_u32_e32 v90, v75, v77
	v_and_b32_e32 v75, 0x1fc, v88
	v_and_b32_e32 v77, 0x1fc, v86
	;; [unrolled: 1-line block ×3, first 2 shown]
	v_add_u32_e32 v107, v68, v70
	v_lshlrev_b32_e32 v113, 2, v78
	v_add_u32_e32 v68, s2, v66
	v_cmp_lt_u32_e64 s[2:3], 7, v3
	v_add_u32_e32 v78, s16, v76
	v_mul_i32_i24_e32 v14, s19, v2
	v_and_b32_e32 v69, 31, v0
	v_and_b32_e32 v4, 28, v6
	v_mov_b32_e32 v5, v13
	v_lshl_add_u32 v67, v2, 7, v67
	v_cmp_gt_u32_e32 vcc, 4, v11
	v_add_u32_e32 v73, v71, v6
	v_mul_u32_u24_e32 v2, 33, v11
	v_lshlrev_b32_e32 v6, 4, v11
	v_add_u32_e32 v75, v7, v75
	v_add_u32_e32 v77, v7, v77
	;; [unrolled: 1-line block ×4, first 2 shown]
	v_lshlrev_b32_e32 v7, 4, v86
	v_add_u32_e32 v83, v30, v31
	v_lshrrev_b32_e32 v30, 1, v86
	v_add_u32_e32 v85, v32, v33
	v_lshlrev_b32_e32 v31, 1, v86
	v_add_u32_e32 v87, v34, v35
	v_lshrrev_b32_e32 v32, 4, v86
	v_lshlrev_b32_e32 v33, 4, v88
	v_lshrrev_b32_e32 v101, 3, v86
	v_cmp_gt_i32_e64 s[0:1], s4, v90
	v_mul_lo_u32 v34, v90, s5
	v_lshlrev_b32_e32 v112, 2, v80
	v_cndmask_b32_e64 v70, 0, 1, s[2:3]
	v_add_u32_e32 v80, s16, v78
	v_cmp_lt_u32_e64 s[2:3], 3, v9
	v_add_u32_e32 v86, s17, v38
	s_movk_i32 s14, 0x6e
	s_mov_b32 s22, 0
	v_add_u32_e32 v17, 0x420, v15
	v_add_u32_e32 v19, 0x840, v15
	v_add_u32_e32 v21, 0xc60, v15
	v_add_u32_e32 v25, 0x1080, v15
	v_add_u32_e32 v27, 0x14a0, v15
	v_add_u32_e32 v39, 0x18c0, v15
	v_add_u32_e32 v41, 0x1ce0, v15
	v_add_u32_e32 v43, 0x2100, v15
	v_add_u32_e32 v45, 0x2520, v15
	v_add_u32_e32 v47, 0x2940, v15
	v_add_u32_e32 v49, 0x2d60, v15
	v_add_u32_e32 v51, 0x3180, v15
	v_add_u32_e32 v53, 0x35a0, v15
	v_add_u32_e32 v55, 0x39c0, v15
	v_add_u32_e32 v57, 0x3de0, v15
	v_mov_b32_e32 v23, v13
	s_movk_i32 s23, 0xff
	v_mov_b32_e32 v29, v13
	v_lshl_add_u32 v69, v69, 2, v67
	v_add_u32_e32 v89, v36, v37
	v_lshrrev_b32_e32 v102, 3, v88
	v_lshl_add_u64 v[36:37], s[10:11], 0, v[4:5]
	s_and_b64 s[8:9], vcc, s[0:1]
	v_lshlrev_b32_e32 v104, 2, v2
	v_ashrrev_i32_e32 v35, 31, v34
	s_mov_b32 s24, 0x30303030
	s_movk_i32 s25, 0xe000
	s_movk_i32 s26, 0x3f00
	v_lshlrev_b32_e32 v109, 2, v8
	v_lshlrev_b32_e32 v110, 2, v6
	;; [unrolled: 1-line block ×9, first 2 shown]
	v_mov_b32_e32 v32, v13
	v_mov_b32_e32 v33, v13
	;; [unrolled: 1-line block ×4, first 2 shown]
	v_add_u32_e32 v124, 0x6f00, v75
	v_add_u32_e32 v125, 0x6b00, v77
	;; [unrolled: 1-line block ×3, first 2 shown]
	v_lshlrev_b32_e32 v127, 2, v10
	v_add_u32_e32 v82, s16, v80
	v_cndmask_b32_e64 v84, 0, 1, s[2:3]
	v_add_u32_e32 v88, s17, v86
	s_branch .LBB229_5
.LBB229_4:                              ;   in Loop: Header=BB229_5 Depth=1
	s_add_i32 s22, s22, 2
	s_cmp_ge_i32 s22, s19
	s_cbranch_scc1 .LBB229_37
.LBB229_5:                              ; =>This Loop Header: Depth=1
                                        ;     Child Loop BB229_11 Depth 2
                                        ;     Child Loop BB229_19 Depth 2
	;; [unrolled: 1-line block ×4, first 2 shown]
	s_mul_i32 s2, s22, 0x6e
	s_mul_hi_u32 s3, s22, 0x6e
	s_add_u32 s2, s20, s2
	s_addc_u32 s3, s21, s3
	v_mov_b64_e32 v[2:3], s[2:3]
	v_mad_u64_u32 v[4:5], s[2:3], v10, s14, v[2:3]
	v_mad_u64_u32 v[6:7], s[2:3], v14, s14, v[4:5]
	v_lshl_add_u64 v[6:7], v[6:7], 0, v[12:13]
	v_mad_u64_u32 v[8:9], s[2:3], v16, s14, v[4:5]
	v_mad_u64_u32 v[90:91], s[2:3], v42, s14, v[4:5]
	;; [unrolled: 1-line block ×7, first 2 shown]
	v_lshl_add_u64 v[8:9], v[8:9], 0, v[12:13]
	v_lshl_add_u64 v[90:91], v[90:91], 0, v[12:13]
	;; [unrolled: 1-line block ×7, first 2 shown]
	global_load_dword v96, v[6:7], off offset:32
	global_load_dword v134, v[8:9], off offset:32
	;; [unrolled: 1-line block ×8, first 2 shown]
	v_mad_u64_u32 v[6:7], s[2:3], v54, s14, v[4:5]
	v_lshl_add_u64 v[6:7], v[6:7], 0, v[12:13]
	v_mad_u64_u32 v[8:9], s[2:3], v56, s14, v[4:5]
	v_mad_u64_u32 v[90:91], s[2:3], v58, s14, v[4:5]
	;; [unrolled: 1-line block ×7, first 2 shown]
	v_lshl_add_u64 v[8:9], v[8:9], 0, v[12:13]
	v_lshl_add_u64 v[90:91], v[90:91], 0, v[12:13]
	;; [unrolled: 1-line block ×7, first 2 shown]
	global_load_dword v141, v[6:7], off offset:32
	global_load_dword v142, v[8:9], off offset:32
	global_load_dword v143, v[90:91], off offset:32
	global_load_dword v144, v[92:93], off offset:32
	global_load_dword v145, v[94:95], off offset:32
	global_load_dword v146, v[128:129], off offset:32
	global_load_dword v147, v[130:131], off offset:32
	global_load_dword v148, v[4:5], off offset:32
	v_mad_u64_u32 v[6:7], s[2:3], v70, s14, v[2:3]
	v_mad_u64_u32 v[4:5], s[2:3], v20, s14, v[2:3]
	v_lshl_add_u64 v[6:7], v[6:7], 0, v[22:23]
	v_mad_u64_u32 v[4:5], s[2:3], v18, s14, v[4:5]
	v_mad_u64_u32 v[94:95], s[2:3], v74, s14, v[6:7]
	;; [unrolled: 1-line block ×9, first 2 shown]
	global_load_ushort v149, v[4:5], off offset:108
	global_load_dword v150, v[8:9], off
	global_load_dword v151, v[90:91], off
	;; [unrolled: 1-line block ×3, first 2 shown]
	s_nop 0
	global_load_dword v94, v[94:95], off
	s_nop 0
	global_load_dword v95, v[128:129], off
	s_nop 0
	global_load_dword v128, v[130:131], off
	global_load_dword v129, v[132:133], off
	v_mad_u64_u32 v[4:5], s[2:3], v82, s14, v[6:7]
	v_mad_u64_u32 v[6:7], s[2:3], v40, s14, v[2:3]
	v_lshl_add_u64 v[8:9], v[6:7], 0, v[28:29]
	v_mad_u64_u32 v[90:91], s[2:3], v38, s14, v[2:3]
	v_mad_u64_u32 v[92:93], s[2:3], v86, s14, v[2:3]
	;; [unrolled: 1-line block ×3, first 2 shown]
	global_load_dword v130, v[4:5], off
	s_nop 0
	global_load_dword v8, v[8:9], off offset:96
	s_nop 0
	global_load_dword v9, v[2:3], off offset:104
	global_load_dword v131, v[92:93], off offset:104
	;; [unrolled: 1-line block ×3, first 2 shown]
	s_nop 0
	global_load_dword v6, v[6:7], off offset:104
	v_lshl_add_u64 v[4:5], v[90:91], 0, v[28:29]
	global_load_dword v7, v[4:5], off offset:96
	v_lshl_add_u64 v[4:5], v[92:93], 0, v[28:29]
	global_load_dword v4, v[4:5], off offset:96
	s_waitcnt vmcnt(31)
	ds_write_b32 v15, v96
	s_waitcnt vmcnt(30)
	ds_write_b32 v17, v134
	;; [unrolled: 2-line block ×9, first 2 shown]
	v_lshl_add_u64 v[2:3], v[2:3], 0, v[28:29]
	global_load_dword v2, v[2:3], off offset:96
	s_waitcnt vmcnt(23)
	ds_write_b32 v45, v142
	s_waitcnt vmcnt(22)
	ds_write_b32 v47, v143
	;; [unrolled: 2-line block ×4, first 2 shown]
	s_lshl_b32 s27, s22, 8
	s_cmp_lt_i32 s27, s15
	s_waitcnt vmcnt(16)
	v_cvt_f32_f16_e32 v3, v149
	ds_write_b32 v53, v146
	ds_write_b32 v55, v147
	;; [unrolled: 1-line block ×4, first 2 shown]
	s_waitcnt vmcnt(15)
	v_not_b32_e32 v3, v150
	ds_write_b32 v83, v3
	s_waitcnt vmcnt(14)
	v_not_b32_e32 v3, v151
	ds_write_b32 v85, v3
	;; [unrolled: 3-line block ×8, first 2 shown]
	s_waitcnt vmcnt(7)
	v_ashrrev_i32_e32 v3, v63, v8
	s_waitcnt vmcnt(3)
	v_ashrrev_i32_e32 v5, v65, v6
	v_and_b32_e32 v3, 0xf0f0f0f, v3
	v_lshlrev_b32_e32 v5, 4, v5
	v_and_or_b32 v3, v5, s24, v3
	v_lshlrev_b16_e32 v6, 8, v3
	v_add_u16_e32 v6, 0xe000, v6
	v_lshrrev_b32_e32 v5, 16, v3
	v_lshrrev_b16_e32 v6, 8, v6
	v_bitop3_b16 v3, v3, v6, s26 bitop3:0xec
	v_lshlrev_b16_e32 v6, 8, v5
	v_add_u16_e32 v6, 0xe000, v6
	v_lshrrev_b16_e32 v6, 8, v6
	v_bitop3_b16 v5, v5, v6, s26 bitop3:0xec
	v_add_u16_e32 v3, 0xe000, v3
	v_add_u16_sdwa v5, v5, s25 dst_sel:WORD_1 dst_unused:UNUSED_PAD src0_sel:DWORD src1_sel:DWORD
	s_waitcnt vmcnt(0)
	v_ashrrev_i32_e32 v2, v63, v2
	v_or_b32_e32 v3, v3, v5
	ds_write_b32 v105, v3
	v_ashrrev_i32_e32 v3, v63, v7
	v_ashrrev_i32_e32 v5, v65, v132
	v_and_b32_e32 v3, 0xf0f0f0f, v3
	v_lshlrev_b32_e32 v5, 4, v5
	v_and_or_b32 v3, v5, s24, v3
	v_lshlrev_b16_e32 v6, 8, v3
	v_add_u16_e32 v6, 0xe000, v6
	v_lshrrev_b32_e32 v5, 16, v3
	v_lshrrev_b16_e32 v6, 8, v6
	v_bitop3_b16 v3, v3, v6, s26 bitop3:0xec
	v_lshlrev_b16_e32 v6, 8, v5
	v_add_u16_e32 v6, 0xe000, v6
	v_lshrrev_b16_e32 v6, 8, v6
	v_bitop3_b16 v5, v5, v6, s26 bitop3:0xec
	v_add_u16_e32 v3, 0xe000, v3
	v_add_u16_sdwa v5, v5, s25 dst_sel:WORD_1 dst_unused:UNUSED_PAD src0_sel:DWORD src1_sel:DWORD
	v_and_b32_e32 v2, 0xf0f0f0f, v2
	v_or_b32_e32 v3, v3, v5
	ds_write_b32 v106, v3
	v_ashrrev_i32_e32 v3, v63, v4
	v_ashrrev_i32_e32 v4, v65, v131
	v_and_b32_e32 v3, 0xf0f0f0f, v3
	v_lshlrev_b32_e32 v4, 4, v4
	v_and_or_b32 v3, v4, s24, v3
	v_lshlrev_b16_e32 v5, 8, v3
	v_add_u16_e32 v5, 0xe000, v5
	v_lshrrev_b32_e32 v4, 16, v3
	v_lshrrev_b16_e32 v5, 8, v5
	v_bitop3_b16 v3, v3, v5, s26 bitop3:0xec
	v_lshlrev_b16_e32 v5, 8, v4
	v_add_u16_e32 v5, 0xe000, v5
	v_lshrrev_b16_e32 v5, 8, v5
	v_bitop3_b16 v4, v4, v5, s26 bitop3:0xec
	v_add_u16_e32 v3, 0xe000, v3
	v_add_u16_sdwa v4, v4, s25 dst_sel:WORD_1 dst_unused:UNUSED_PAD src0_sel:DWORD src1_sel:DWORD
	s_nop 0
	v_or_b32_e32 v3, v3, v4
	ds_write_b32 v107, v3
	v_ashrrev_i32_e32 v3, v65, v9
	v_lshlrev_b32_e32 v3, 4, v3
	v_and_or_b32 v2, v3, s24, v2
	v_lshlrev_b16_e32 v4, 8, v2
	v_add_u16_e32 v4, 0xe000, v4
	v_lshrrev_b32_e32 v3, 16, v2
	v_lshrrev_b16_e32 v4, 8, v4
	v_bitop3_b16 v2, v2, v4, s26 bitop3:0xec
	v_lshlrev_b16_e32 v4, 8, v3
	v_add_u16_e32 v4, 0xe000, v4
	v_lshrrev_b16_e32 v4, 8, v4
	v_bitop3_b16 v3, v3, v4, s26 bitop3:0xec
	v_add_u16_e32 v2, 0xe000, v2
	v_add_u16_sdwa v3, v3, s25 dst_sel:WORD_1 dst_unused:UNUSED_PAD src0_sel:DWORD src1_sel:DWORD
	s_nop 0
	v_or_b32_e32 v2, v2, v3
	ds_write_b32 v108, v2
	s_cbranch_scc0 .LBB229_4
; %bb.6:                                ;   in Loop: Header=BB229_5 Depth=1
	s_lshl_b32 s28, s22, 3
	v_add_u32_e32 v2, s28, v61
	v_cmp_gt_i32_e64 s[2:3], s5, v2
	s_and_b64 s[16:17], s[0:1], s[2:3]
	s_and_saveexec_b64 s[2:3], s[16:17]
	s_cbranch_execz .LBB229_8
; %bb.7:                                ;   in Loop: Header=BB229_5 Depth=1
	v_add_u32_e32 v2, v34, v2
	v_mad_i64_i32 v[2:3], s[16:17], v2, 36, v[36:37]
	global_load_dword v2, v[2:3], off offset:4
	s_waitcnt vmcnt(0)
	ds_write_b32 v69, v2
.LBB229_8:                              ;   in Loop: Header=BB229_5 Depth=1
	s_or_b64 exec, exec, s[2:3]
	v_add_u32_e32 v90, s28, v11
	v_cmp_gt_i32_e64 s[2:3], s5, v90
	s_and_b64 s[16:17], s[8:9], s[2:3]
	s_and_saveexec_b64 s[2:3], s[16:17]
	s_cbranch_execz .LBB229_10
; %bb.9:                                ;   in Loop: Header=BB229_5 Depth=1
	v_add_u32_e32 v2, v34, v90
	v_mad_i64_i32 v[2:3], s[16:17], v2, 36, s[10:11]
	global_load_dword v2, v[2:3], off
	s_waitcnt vmcnt(0)
	v_cvt_f32_f16_e32 v2, v2
	ds_write_b32 v73, v2
.LBB229_10:                             ;   in Loop: Header=BB229_5 Depth=1
	s_or_b64 exec, exec, s[2:3]
	s_mov_b32 s17, -2
	s_mov_b32 s2, 0
	v_mov_b32_e32 v91, v71
	v_mov_b32_e32 v93, v67
	s_mov_b32 s3, 0
	s_waitcnt lgkmcnt(0)
	s_barrier
.LBB229_11:                             ;   Parent Loop BB229_5 Depth=1
                                        ; =>  This Inner Loop Header: Depth=2
	s_add_i32 s16, s17, 2
	s_lshr_b32 s29, s16, 4
	s_and_b32 s30, s16, 0x3ffffff8
	v_lshl_add_u32 v128, s30, 2, v104
	s_lshl_b32 s30, s29, 5
	s_addk_i32 s30, 0x4200
	v_add3_u32 v129, s30, v109, v110
	ds_read_b32 v92, v91
	ds_read_b128 v[6:9], v93
	ds_read_b128 v[2:5], v93 offset:16
	ds_read2_b32 v[94:95], v128 offset1:1
	ds_read2_b32 v[130:131], v129 offset1:1
	s_and_b32 s31, s3, -16
	s_add_i32 s17, s17, s31
	s_lshl_b32 s29, s29, 2
	s_waitcnt lgkmcnt(1)
	v_ashrrev_i32_e32 v94, s16, v94
	s_waitcnt lgkmcnt(0)
	v_ashrrev_i32_e32 v130, s2, v130
	v_lshlrev_b32_e32 v130, 2, v130
	v_bfe_u32 v96, v94, 24, 2
	v_and_b32_e32 v94, 0x3030303, v94
	v_and_b32_e32 v130, 0x4040404, v130
	v_sub_u16_e32 v132, v94, v130
	v_sub_u16_sdwa v133, v94, v130 dst_sel:BYTE_1 dst_unused:UNUSED_PAD src0_sel:BYTE_1 src1_sel:BYTE_1
	v_sub_u16_sdwa v94, v94, v130 dst_sel:DWORD dst_unused:UNUSED_PAD src0_sel:WORD_1 src1_sel:WORD_1
	v_sub_u16_sdwa v96, v96, v130 dst_sel:BYTE_1 dst_unused:UNUSED_PAD src0_sel:DWORD src1_sel:BYTE_3
	v_bitop3_b16 v132, v132, v133, s23 bitop3:0xec
	v_bitop3_b16 v94, v94, v96, s23 bitop3:0xec
	v_lshlrev_b32_e32 v94, 16, v94
	v_ashrrev_i32_e32 v130, s2, v131
	v_or_b32_sdwa v96, v132, v94 dst_sel:DWORD dst_unused:UNUSED_PAD src0_sel:WORD_0 src1_sel:DWORD
	v_ashrrev_i32_e32 v94, s16, v95
	v_lshlrev_b32_e32 v130, 2, v130
	v_bfe_u32 v95, v94, 24, 2
	v_and_b32_e32 v94, 0x3030303, v94
	v_and_b32_e32 v130, 0x4040404, v130
	v_sub_u16_e32 v131, v94, v130
	v_sub_u16_sdwa v132, v94, v130 dst_sel:BYTE_1 dst_unused:UNUSED_PAD src0_sel:BYTE_1 src1_sel:BYTE_1
	v_sub_u16_sdwa v94, v94, v130 dst_sel:DWORD dst_unused:UNUSED_PAD src0_sel:WORD_1 src1_sel:WORD_1
	v_sub_u16_sdwa v95, v95, v130 dst_sel:BYTE_1 dst_unused:UNUSED_PAD src0_sel:DWORD src1_sel:BYTE_3
	v_bitop3_b16 v131, v131, v132, s23 bitop3:0xec
	v_bitop3_b16 v94, v94, v95, s23 bitop3:0xec
	v_lshlrev_b32_e32 v94, 16, v94
	v_or_b32_sdwa v132, v131, v94 dst_sel:DWORD dst_unused:UNUSED_PAD src0_sel:WORD_0 src1_sel:DWORD
	ds_read2_b32 v[94:95], v128 offset0:2 offset1:3
	ds_read2_b32 v[130:131], v129 offset0:2 offset1:3
	s_addk_i32 s29, 0x7380
	s_add_i32 s3, s3, 2
	v_add_u32_e32 v91, 4, v91
	s_waitcnt lgkmcnt(1)
	v_ashrrev_i32_e32 v94, s16, v94
	s_waitcnt lgkmcnt(0)
	v_ashrrev_i32_e32 v130, s2, v130
	v_lshlrev_b32_e32 v130, 2, v130
	v_bfe_u32 v133, v94, 24, 2
	v_and_b32_e32 v94, 0x3030303, v94
	v_and_b32_e32 v130, 0x4040404, v130
	v_sub_u16_e32 v134, v94, v130
	v_sub_u16_sdwa v135, v94, v130 dst_sel:BYTE_1 dst_unused:UNUSED_PAD src0_sel:BYTE_1 src1_sel:BYTE_1
	v_sub_u16_sdwa v94, v94, v130 dst_sel:DWORD dst_unused:UNUSED_PAD src0_sel:WORD_1 src1_sel:WORD_1
	v_sub_u16_sdwa v130, v133, v130 dst_sel:BYTE_1 dst_unused:UNUSED_PAD src0_sel:DWORD src1_sel:BYTE_3
	v_bitop3_b16 v134, v134, v135, s23 bitop3:0xec
	v_bitop3_b16 v94, v94, v130, s23 bitop3:0xec
	v_lshlrev_b32_e32 v94, 16, v94
	v_ashrrev_i32_e32 v130, s2, v131
	v_or_b32_sdwa v133, v134, v94 dst_sel:DWORD dst_unused:UNUSED_PAD src0_sel:WORD_0 src1_sel:DWORD
	v_ashrrev_i32_e32 v94, s16, v95
	v_lshlrev_b32_e32 v130, 2, v130
	v_bfe_u32 v95, v94, 24, 2
	v_and_b32_e32 v94, 0x3030303, v94
	v_and_b32_e32 v130, 0x4040404, v130
	v_sub_u16_e32 v131, v94, v130
	v_sub_u16_sdwa v134, v94, v130 dst_sel:BYTE_1 dst_unused:UNUSED_PAD src0_sel:BYTE_1 src1_sel:BYTE_1
	v_sub_u16_sdwa v94, v94, v130 dst_sel:DWORD dst_unused:UNUSED_PAD src0_sel:WORD_1 src1_sel:WORD_1
	v_sub_u16_sdwa v95, v95, v130 dst_sel:BYTE_1 dst_unused:UNUSED_PAD src0_sel:DWORD src1_sel:BYTE_3
	v_bitop3_b16 v131, v131, v134, s23 bitop3:0xec
	v_bitop3_b16 v94, v94, v95, s23 bitop3:0xec
	v_lshlrev_b32_e32 v94, 16, v94
	v_or_b32_sdwa v134, v131, v94 dst_sel:DWORD dst_unused:UNUSED_PAD src0_sel:WORD_0 src1_sel:DWORD
	ds_read2_b32 v[94:95], v128 offset0:4 offset1:5
	ds_read2_b32 v[130:131], v129 offset0:4 offset1:5
	s_waitcnt lgkmcnt(1)
	v_ashrrev_i32_e32 v94, s16, v94
	s_waitcnt lgkmcnt(0)
	v_ashrrev_i32_e32 v130, s2, v130
	v_lshlrev_b32_e32 v130, 2, v130
	v_bfe_u32 v135, v94, 24, 2
	v_and_b32_e32 v94, 0x3030303, v94
	v_and_b32_e32 v130, 0x4040404, v130
	v_sub_u16_e32 v136, v94, v130
	v_sub_u16_sdwa v137, v94, v130 dst_sel:BYTE_1 dst_unused:UNUSED_PAD src0_sel:BYTE_1 src1_sel:BYTE_1
	v_sub_u16_sdwa v94, v94, v130 dst_sel:DWORD dst_unused:UNUSED_PAD src0_sel:WORD_1 src1_sel:WORD_1
	v_sub_u16_sdwa v130, v135, v130 dst_sel:BYTE_1 dst_unused:UNUSED_PAD src0_sel:DWORD src1_sel:BYTE_3
	v_bitop3_b16 v136, v136, v137, s23 bitop3:0xec
	v_bitop3_b16 v94, v94, v130, s23 bitop3:0xec
	v_lshlrev_b32_e32 v94, 16, v94
	v_ashrrev_i32_e32 v130, s2, v131
	v_or_b32_sdwa v135, v136, v94 dst_sel:DWORD dst_unused:UNUSED_PAD src0_sel:WORD_0 src1_sel:DWORD
	v_ashrrev_i32_e32 v94, s16, v95
	v_lshlrev_b32_e32 v130, 2, v130
	v_bfe_u32 v95, v94, 24, 2
	v_and_b32_e32 v94, 0x3030303, v94
	v_and_b32_e32 v130, 0x4040404, v130
	v_sub_u16_e32 v131, v94, v130
	v_sub_u16_sdwa v136, v94, v130 dst_sel:BYTE_1 dst_unused:UNUSED_PAD src0_sel:BYTE_1 src1_sel:BYTE_1
	v_sub_u16_sdwa v94, v94, v130 dst_sel:DWORD dst_unused:UNUSED_PAD src0_sel:WORD_1 src1_sel:WORD_1
	v_sub_u16_sdwa v95, v95, v130 dst_sel:BYTE_1 dst_unused:UNUSED_PAD src0_sel:DWORD src1_sel:BYTE_3
	v_bitop3_b16 v131, v131, v136, s23 bitop3:0xec
	v_bitop3_b16 v94, v94, v95, s23 bitop3:0xec
	v_lshlrev_b32_e32 v94, 16, v94
	v_or_b32_sdwa v136, v131, v94 dst_sel:DWORD dst_unused:UNUSED_PAD src0_sel:WORD_0 src1_sel:DWORD
	ds_read2_b32 v[94:95], v128 offset0:6 offset1:7
	ds_read2_b32 v[130:131], v129 offset0:6 offset1:7
	s_waitcnt lgkmcnt(1)
	v_ashrrev_i32_e32 v94, s16, v94
	s_waitcnt lgkmcnt(0)
	v_ashrrev_i32_e32 v129, s2, v130
	v_lshlrev_b32_e32 v129, 2, v129
	v_bfe_u32 v137, v94, 24, 2
	v_and_b32_e32 v94, 0x3030303, v94
	v_and_b32_e32 v129, 0x4040404, v129
	v_sub_u16_e32 v130, v94, v129
	v_sub_u16_sdwa v138, v94, v129 dst_sel:BYTE_1 dst_unused:UNUSED_PAD src0_sel:BYTE_1 src1_sel:BYTE_1
	v_sub_u16_sdwa v94, v94, v129 dst_sel:DWORD dst_unused:UNUSED_PAD src0_sel:WORD_1 src1_sel:WORD_1
	v_sub_u16_sdwa v129, v137, v129 dst_sel:BYTE_1 dst_unused:UNUSED_PAD src0_sel:DWORD src1_sel:BYTE_3
	v_bitop3_b16 v130, v130, v138, s23 bitop3:0xec
	v_bitop3_b16 v94, v94, v129, s23 bitop3:0xec
	v_lshlrev_b32_e32 v94, 16, v94
	v_or_b32_sdwa v129, v130, v94 dst_sel:DWORD dst_unused:UNUSED_PAD src0_sel:WORD_0 src1_sel:DWORD
	v_ashrrev_i32_e32 v130, s2, v131
	v_ashrrev_i32_e32 v94, s16, v95
	v_lshlrev_b32_e32 v130, 2, v130
	v_bfe_u32 v95, v94, 24, 2
	v_and_b32_e32 v94, 0x3030303, v94
	v_and_b32_e32 v130, 0x4040404, v130
	v_sub_u16_e32 v131, v94, v130
	v_sub_u16_sdwa v137, v94, v130 dst_sel:BYTE_1 dst_unused:UNUSED_PAD src0_sel:BYTE_1 src1_sel:BYTE_1
	v_sub_u16_sdwa v94, v94, v130 dst_sel:DWORD dst_unused:UNUSED_PAD src0_sel:WORD_1 src1_sel:WORD_1
	v_sub_u16_sdwa v95, v95, v130 dst_sel:BYTE_1 dst_unused:UNUSED_PAD src0_sel:DWORD src1_sel:BYTE_3
	v_bitop3_b16 v131, v131, v137, s23 bitop3:0xec
	v_bitop3_b16 v94, v94, v95, s23 bitop3:0xec
	v_lshlrev_b32_e32 v94, 16, v94
	v_or_b32_sdwa v95, v131, v94 dst_sel:DWORD dst_unused:UNUSED_PAD src0_sel:WORD_0 src1_sel:DWORD
	v_mov_b32_e32 v131, 0
	v_dot4c_i32_i8_e32 v131, v96, v6
	v_dot4c_i32_i8_e32 v131, v132, v7
	;; [unrolled: 1-line block ×4, first 2 shown]
	v_mov_b32_e32 v134, 0
	v_dot4c_i32_i8_e32 v134, v135, v2
	v_dot4c_i32_i8_e32 v134, v136, v3
	v_add_u32_e32 v130, s17, v126
	v_dot4c_i32_i8_e32 v134, v129, v4
	v_dot4c_i32_i8_e32 v134, v95, v5
	ds_read_u16 v95, v130 offset:2
	v_add3_u32 v94, s29, v127, v111
	v_add3_u32 v135, s30, v112, v113
	ds_read_b32 v94, v94
	ds_read2_b32 v[132:133], v135 offset1:1
	s_waitcnt lgkmcnt(2)
	v_lshrrev_b16_e32 v96, 8, v95
	v_bfe_i32 v95, v95, 0, 8
	v_bfe_i32 v129, v96, 0, 8
	v_mul_lo_u32 v96, v131, v95
	v_add_u32_e32 v95, 0x1080, v128
	ds_read2_b32 v[130:131], v95 offset1:1
	s_waitcnt lgkmcnt(1)
	v_ashrrev_i32_e32 v132, s2, v132
	v_lshlrev_b32_e32 v132, 2, v132
	v_and_b32_e32 v132, 0x4040404, v132
	s_waitcnt lgkmcnt(0)
	v_ashrrev_i32_e32 v95, s16, v130
	v_bfe_u32 v130, v95, 24, 2
	v_and_b32_e32 v95, 0x3030303, v95
	v_sub_u16_e32 v136, v95, v132
	v_sub_u16_sdwa v137, v95, v132 dst_sel:BYTE_1 dst_unused:UNUSED_PAD src0_sel:BYTE_1 src1_sel:BYTE_1
	v_sub_u16_sdwa v95, v95, v132 dst_sel:DWORD dst_unused:UNUSED_PAD src0_sel:WORD_1 src1_sel:WORD_1
	v_sub_u16_sdwa v130, v130, v132 dst_sel:BYTE_1 dst_unused:UNUSED_PAD src0_sel:DWORD src1_sel:BYTE_3
	v_bitop3_b16 v136, v136, v137, s23 bitop3:0xec
	v_bitop3_b16 v95, v95, v130, s23 bitop3:0xec
	v_lshlrev_b32_e32 v95, 16, v95
	v_or_b32_sdwa v136, v136, v95 dst_sel:DWORD dst_unused:UNUSED_PAD src0_sel:WORD_0 src1_sel:DWORD
	v_ashrrev_i32_e32 v95, s16, v131
	v_ashrrev_i32_e32 v131, s2, v133
	v_lshlrev_b32_e32 v131, 2, v131
	v_bfe_u32 v130, v95, 24, 2
	v_and_b32_e32 v95, 0x3030303, v95
	v_and_b32_e32 v131, 0x4040404, v131
	v_sub_u16_e32 v132, v95, v131
	v_sub_u16_sdwa v133, v95, v131 dst_sel:BYTE_1 dst_unused:UNUSED_PAD src0_sel:BYTE_1 src1_sel:BYTE_1
	v_sub_u16_sdwa v95, v95, v131 dst_sel:DWORD dst_unused:UNUSED_PAD src0_sel:WORD_1 src1_sel:WORD_1
	v_sub_u16_sdwa v130, v130, v131 dst_sel:BYTE_1 dst_unused:UNUSED_PAD src0_sel:DWORD src1_sel:BYTE_3
	v_bitop3_b16 v132, v132, v133, s23 bitop3:0xec
	v_bitop3_b16 v95, v95, v130, s23 bitop3:0xec
	v_lshlrev_b32_e32 v95, 16, v95
	v_or_b32_sdwa v137, v132, v95 dst_sel:DWORD dst_unused:UNUSED_PAD src0_sel:WORD_0 src1_sel:DWORD
	v_add_u32_e32 v95, 0x1088, v128
	ds_read2_b32 v[130:131], v95 offset1:1
	ds_read2_b32 v[132:133], v135 offset0:2 offset1:3
	s_waitcnt lgkmcnt(1)
	v_ashrrev_i32_e32 v95, s16, v130
	s_waitcnt lgkmcnt(0)
	v_ashrrev_i32_e32 v132, s2, v132
	v_lshlrev_b32_e32 v132, 2, v132
	v_bfe_u32 v130, v95, 24, 2
	v_and_b32_e32 v95, 0x3030303, v95
	v_and_b32_e32 v132, 0x4040404, v132
	v_sub_u16_e32 v138, v95, v132
	v_sub_u16_sdwa v139, v95, v132 dst_sel:BYTE_1 dst_unused:UNUSED_PAD src0_sel:BYTE_1 src1_sel:BYTE_1
	v_sub_u16_sdwa v95, v95, v132 dst_sel:DWORD dst_unused:UNUSED_PAD src0_sel:WORD_1 src1_sel:WORD_1
	v_sub_u16_sdwa v130, v130, v132 dst_sel:BYTE_1 dst_unused:UNUSED_PAD src0_sel:DWORD src1_sel:BYTE_3
	v_bitop3_b16 v138, v138, v139, s23 bitop3:0xec
	v_bitop3_b16 v95, v95, v130, s23 bitop3:0xec
	v_lshlrev_b32_e32 v95, 16, v95
	v_or_b32_sdwa v138, v138, v95 dst_sel:DWORD dst_unused:UNUSED_PAD src0_sel:WORD_0 src1_sel:DWORD
	v_ashrrev_i32_e32 v95, s16, v131
	v_ashrrev_i32_e32 v131, s2, v133
	v_lshlrev_b32_e32 v131, 2, v131
	v_bfe_u32 v130, v95, 24, 2
	v_and_b32_e32 v95, 0x3030303, v95
	v_and_b32_e32 v131, 0x4040404, v131
	v_sub_u16_e32 v132, v95, v131
	v_sub_u16_sdwa v133, v95, v131 dst_sel:BYTE_1 dst_unused:UNUSED_PAD src0_sel:BYTE_1 src1_sel:BYTE_1
	v_sub_u16_sdwa v95, v95, v131 dst_sel:DWORD dst_unused:UNUSED_PAD src0_sel:WORD_1 src1_sel:WORD_1
	v_sub_u16_sdwa v130, v130, v131 dst_sel:BYTE_1 dst_unused:UNUSED_PAD src0_sel:DWORD src1_sel:BYTE_3
	v_bitop3_b16 v132, v132, v133, s23 bitop3:0xec
	v_bitop3_b16 v95, v95, v130, s23 bitop3:0xec
	v_lshlrev_b32_e32 v95, 16, v95
	v_or_b32_sdwa v139, v132, v95 dst_sel:DWORD dst_unused:UNUSED_PAD src0_sel:WORD_0 src1_sel:DWORD
	v_add_u32_e32 v95, 0x1090, v128
	ds_read2_b32 v[130:131], v95 offset1:1
	ds_read2_b32 v[132:133], v135 offset0:4 offset1:5
	s_waitcnt lgkmcnt(1)
	v_ashrrev_i32_e32 v95, s16, v130
	s_waitcnt lgkmcnt(0)
	v_ashrrev_i32_e32 v132, s2, v132
	v_lshlrev_b32_e32 v132, 2, v132
	v_bfe_u32 v130, v95, 24, 2
	v_and_b32_e32 v95, 0x3030303, v95
	;; [unrolled: 33-line block ×3, first 2 shown]
	v_and_b32_e32 v132, 0x4040404, v132
	v_sub_u16_e32 v135, v95, v132
	v_sub_u16_sdwa v142, v95, v132 dst_sel:BYTE_1 dst_unused:UNUSED_PAD src0_sel:BYTE_1 src1_sel:BYTE_1
	v_sub_u16_sdwa v95, v95, v132 dst_sel:DWORD dst_unused:UNUSED_PAD src0_sel:WORD_1 src1_sel:WORD_1
	v_sub_u16_sdwa v130, v130, v132 dst_sel:BYTE_1 dst_unused:UNUSED_PAD src0_sel:DWORD src1_sel:BYTE_3
	v_bitop3_b16 v135, v135, v142, s23 bitop3:0xec
	v_bitop3_b16 v95, v95, v130, s23 bitop3:0xec
	v_lshlrev_b32_e32 v95, 16, v95
	v_or_b32_sdwa v132, v135, v95 dst_sel:DWORD dst_unused:UNUSED_PAD src0_sel:WORD_0 src1_sel:DWORD
	v_ashrrev_i32_e32 v95, s16, v131
	v_ashrrev_i32_e32 v131, s2, v133
	v_lshlrev_b32_e32 v131, 2, v131
	v_bfe_u32 v130, v95, 24, 2
	v_and_b32_e32 v95, 0x3030303, v95
	v_and_b32_e32 v131, 0x4040404, v131
	v_sub_u16_e32 v133, v95, v131
	v_sub_u16_sdwa v135, v95, v131 dst_sel:BYTE_1 dst_unused:UNUSED_PAD src0_sel:BYTE_1 src1_sel:BYTE_1
	v_sub_u16_sdwa v95, v95, v131 dst_sel:DWORD dst_unused:UNUSED_PAD src0_sel:WORD_1 src1_sel:WORD_1
	v_sub_u16_sdwa v130, v130, v131 dst_sel:BYTE_1 dst_unused:UNUSED_PAD src0_sel:DWORD src1_sel:BYTE_3
	v_bitop3_b16 v133, v133, v135, s23 bitop3:0xec
	v_bitop3_b16 v95, v95, v130, s23 bitop3:0xec
	v_lshlrev_b32_e32 v95, 16, v95
	v_or_b32_sdwa v131, v133, v95 dst_sel:DWORD dst_unused:UNUSED_PAD src0_sel:WORD_0 src1_sel:DWORD
	v_add_u32_e32 v130, s17, v79
	v_add3_u32 v95, s29, v114, v115
	ds_read_b32 v95, v95
	ds_read_u16 v130, v130 offset:26370
	v_mov_b32_e32 v133, 0
	v_dot4c_i32_i8_e32 v133, v136, v6
	v_mov_b32_e32 v136, 0
	v_dot4c_i32_i8_e32 v133, v137, v7
	v_dot4c_i32_i8_e32 v136, v140, v2
	;; [unrolled: 1-line block ×5, first 2 shown]
	s_waitcnt lgkmcnt(0)
	v_lshrrev_b16_e32 v135, 8, v130
	v_bfe_i32 v130, v130, 0, 8
	v_dot4c_i32_i8_e32 v136, v132, v4
	v_mul_lo_u32 v130, v133, v130
	v_dot4c_i32_i8_e32 v136, v131, v5
	v_bfe_i32 v131, v135, 0, 8
	v_mad_u64_u32 v[132:133], s[34:35], v134, v129, v[96:97]
	s_nop 0
	v_mad_u64_u32 v[130:131], s[34:35], v136, v131, v[130:131]
	v_cvt_f32_i32_e32 v131, v130
	v_cvt_f32_i32_e32 v130, v132
	v_pk_mul_f32 v[94:95], v[92:93], v[94:95] op_sel_hi:[0,1]
	v_add3_u32 v134, s30, v116, v117
	ds_read2_b32 v[132:133], v134 offset1:1
	v_pk_fma_f32 v[32:33], v[94:95], v[130:131], v[32:33]
	v_add_u32_e32 v94, 0x2100, v128
	ds_read2_b32 v[130:131], v94 offset1:1
	v_add3_u32 v140, s30, v120, v121
	s_waitcnt lgkmcnt(1)
	v_ashrrev_i32_e32 v96, s2, v132
	v_lshlrev_b32_e32 v96, 2, v96
	v_and_b32_e32 v96, 0x4040404, v96
	s_waitcnt lgkmcnt(0)
	v_ashrrev_i32_e32 v94, s16, v130
	v_bfe_u32 v95, v94, 24, 2
	v_and_b32_e32 v94, 0x3030303, v94
	v_sub_u16_e32 v129, v94, v96
	v_sub_u16_sdwa v130, v94, v96 dst_sel:BYTE_1 dst_unused:UNUSED_PAD src0_sel:BYTE_1 src1_sel:BYTE_1
	v_sub_u16_sdwa v94, v94, v96 dst_sel:DWORD dst_unused:UNUSED_PAD src0_sel:WORD_1 src1_sel:WORD_1
	v_sub_u16_sdwa v95, v95, v96 dst_sel:BYTE_1 dst_unused:UNUSED_PAD src0_sel:DWORD src1_sel:BYTE_3
	v_bitop3_b16 v129, v129, v130, s23 bitop3:0xec
	v_bitop3_b16 v94, v94, v95, s23 bitop3:0xec
	v_lshlrev_b32_e32 v94, 16, v94
	v_or_b32_sdwa v95, v129, v94 dst_sel:DWORD dst_unused:UNUSED_PAD src0_sel:WORD_0 src1_sel:DWORD
	v_ashrrev_i32_e32 v129, s2, v133
	v_ashrrev_i32_e32 v94, s16, v131
	v_lshlrev_b32_e32 v129, 2, v129
	v_bfe_u32 v96, v94, 24, 2
	v_and_b32_e32 v94, 0x3030303, v94
	v_and_b32_e32 v129, 0x4040404, v129
	v_sub_u16_e32 v130, v94, v129
	v_sub_u16_sdwa v131, v94, v129 dst_sel:BYTE_1 dst_unused:UNUSED_PAD src0_sel:BYTE_1 src1_sel:BYTE_1
	v_sub_u16_sdwa v94, v94, v129 dst_sel:DWORD dst_unused:UNUSED_PAD src0_sel:WORD_1 src1_sel:WORD_1
	v_sub_u16_sdwa v96, v96, v129 dst_sel:BYTE_1 dst_unused:UNUSED_PAD src0_sel:DWORD src1_sel:BYTE_3
	v_bitop3_b16 v130, v130, v131, s23 bitop3:0xec
	v_bitop3_b16 v94, v94, v96, s23 bitop3:0xec
	v_lshlrev_b32_e32 v94, 16, v94
	v_or_b32_sdwa v96, v130, v94 dst_sel:DWORD dst_unused:UNUSED_PAD src0_sel:WORD_0 src1_sel:DWORD
	v_add_u32_e32 v94, 0x2108, v128
	ds_read2_b32 v[130:131], v94 offset1:1
	ds_read2_b32 v[132:133], v134 offset0:2 offset1:3
	s_waitcnt lgkmcnt(1)
	v_ashrrev_i32_e32 v94, s16, v130
	s_waitcnt lgkmcnt(0)
	v_ashrrev_i32_e32 v130, s2, v132
	v_lshlrev_b32_e32 v130, 2, v130
	v_bfe_u32 v129, v94, 24, 2
	v_and_b32_e32 v94, 0x3030303, v94
	v_and_b32_e32 v130, 0x4040404, v130
	v_sub_u16_e32 v132, v94, v130
	v_sub_u16_sdwa v135, v94, v130 dst_sel:BYTE_1 dst_unused:UNUSED_PAD src0_sel:BYTE_1 src1_sel:BYTE_1
	v_sub_u16_sdwa v94, v94, v130 dst_sel:DWORD dst_unused:UNUSED_PAD src0_sel:WORD_1 src1_sel:WORD_1
	v_sub_u16_sdwa v129, v129, v130 dst_sel:BYTE_1 dst_unused:UNUSED_PAD src0_sel:DWORD src1_sel:BYTE_3
	v_bitop3_b16 v132, v132, v135, s23 bitop3:0xec
	v_bitop3_b16 v94, v94, v129, s23 bitop3:0xec
	v_lshlrev_b32_e32 v94, 16, v94
	v_or_b32_sdwa v129, v132, v94 dst_sel:DWORD dst_unused:UNUSED_PAD src0_sel:WORD_0 src1_sel:DWORD
	v_ashrrev_i32_e32 v94, s16, v131
	v_ashrrev_i32_e32 v131, s2, v133
	v_lshlrev_b32_e32 v131, 2, v131
	v_bfe_u32 v130, v94, 24, 2
	v_and_b32_e32 v94, 0x3030303, v94
	v_and_b32_e32 v131, 0x4040404, v131
	v_sub_u16_e32 v132, v94, v131
	v_sub_u16_sdwa v133, v94, v131 dst_sel:BYTE_1 dst_unused:UNUSED_PAD src0_sel:BYTE_1 src1_sel:BYTE_1
	v_sub_u16_sdwa v94, v94, v131 dst_sel:DWORD dst_unused:UNUSED_PAD src0_sel:WORD_1 src1_sel:WORD_1
	v_sub_u16_sdwa v130, v130, v131 dst_sel:BYTE_1 dst_unused:UNUSED_PAD src0_sel:DWORD src1_sel:BYTE_3
	v_bitop3_b16 v132, v132, v133, s23 bitop3:0xec
	v_bitop3_b16 v94, v94, v130, s23 bitop3:0xec
	v_lshlrev_b32_e32 v94, 16, v94
	v_or_b32_sdwa v135, v132, v94 dst_sel:DWORD dst_unused:UNUSED_PAD src0_sel:WORD_0 src1_sel:DWORD
	v_add_u32_e32 v94, 0x2110, v128
	ds_read2_b32 v[130:131], v94 offset1:1
	ds_read2_b32 v[132:133], v134 offset0:4 offset1:5
	s_waitcnt lgkmcnt(1)
	v_ashrrev_i32_e32 v94, s16, v130
	s_waitcnt lgkmcnt(0)
	v_ashrrev_i32_e32 v132, s2, v132
	v_lshlrev_b32_e32 v132, 2, v132
	v_bfe_u32 v130, v94, 24, 2
	v_and_b32_e32 v94, 0x3030303, v94
	;; [unrolled: 33-line block ×3, first 2 shown]
	v_and_b32_e32 v132, 0x4040404, v132
	v_sub_u16_e32 v134, v94, v132
	v_sub_u16_sdwa v138, v94, v132 dst_sel:BYTE_1 dst_unused:UNUSED_PAD src0_sel:BYTE_1 src1_sel:BYTE_1
	v_sub_u16_sdwa v94, v94, v132 dst_sel:DWORD dst_unused:UNUSED_PAD src0_sel:WORD_1 src1_sel:WORD_1
	v_sub_u16_sdwa v130, v130, v132 dst_sel:BYTE_1 dst_unused:UNUSED_PAD src0_sel:DWORD src1_sel:BYTE_3
	v_bitop3_b16 v134, v134, v138, s23 bitop3:0xec
	v_bitop3_b16 v94, v94, v130, s23 bitop3:0xec
	v_lshlrev_b32_e32 v94, 16, v94
	v_ashrrev_i32_e32 v132, s2, v133
	v_or_b32_sdwa v130, v134, v94 dst_sel:DWORD dst_unused:UNUSED_PAD src0_sel:WORD_0 src1_sel:DWORD
	v_ashrrev_i32_e32 v94, s16, v131
	v_lshlrev_b32_e32 v132, 2, v132
	v_bfe_u32 v131, v94, 24, 2
	v_and_b32_e32 v94, 0x3030303, v94
	v_and_b32_e32 v132, 0x4040404, v132
	v_sub_u16_e32 v133, v94, v132
	v_sub_u16_sdwa v134, v94, v132 dst_sel:BYTE_1 dst_unused:UNUSED_PAD src0_sel:BYTE_1 src1_sel:BYTE_1
	v_sub_u16_sdwa v94, v94, v132 dst_sel:DWORD dst_unused:UNUSED_PAD src0_sel:WORD_1 src1_sel:WORD_1
	v_sub_u16_sdwa v131, v131, v132 dst_sel:BYTE_1 dst_unused:UNUSED_PAD src0_sel:DWORD src1_sel:BYTE_3
	v_bitop3_b16 v133, v133, v134, s23 bitop3:0xec
	v_bitop3_b16 v94, v94, v131, s23 bitop3:0xec
	v_lshlrev_b32_e32 v94, 16, v94
	v_or_b32_sdwa v131, v133, v94 dst_sel:DWORD dst_unused:UNUSED_PAD src0_sel:WORD_0 src1_sel:DWORD
	v_add_u32_e32 v132, s17, v125
	v_mov_b32_e32 v133, 0
	v_dot4c_i32_i8_e32 v133, v95, v6
	ds_read_u16 v95, v132 offset:2
	v_dot4c_i32_i8_e32 v133, v96, v7
	v_dot4c_i32_i8_e32 v133, v129, v8
	v_mov_b32_e32 v129, 0
	v_dot4c_i32_i8_e32 v129, v136, v2
	v_dot4c_i32_i8_e32 v133, v135, v9
	;; [unrolled: 1-line block ×3, first 2 shown]
	s_waitcnt lgkmcnt(0)
	v_lshrrev_b16_e32 v96, 8, v95
	v_bfe_i32 v95, v95, 0, 8
	v_add3_u32 v94, s29, v118, v119
	v_dot4c_i32_i8_e32 v129, v130, v4
	v_bfe_i32 v130, v96, 0, 8
	v_mul_lo_u32 v96, v133, v95
	v_add_u32_e32 v95, 0x3180, v128
	ds_read_b32 v94, v94
	ds_read2_b32 v[132:133], v95 offset1:1
	ds_read2_b32 v[134:135], v140 offset1:1
	v_dot4c_i32_i8_e32 v129, v131, v5
	s_waitcnt lgkmcnt(1)
	v_ashrrev_i32_e32 v95, s16, v132
	s_waitcnt lgkmcnt(0)
	v_ashrrev_i32_e32 v132, s2, v134
	v_lshlrev_b32_e32 v132, 2, v132
	v_bfe_u32 v131, v95, 24, 2
	v_and_b32_e32 v95, 0x3030303, v95
	v_and_b32_e32 v132, 0x4040404, v132
	v_sub_u16_e32 v134, v95, v132
	v_sub_u16_sdwa v136, v95, v132 dst_sel:BYTE_1 dst_unused:UNUSED_PAD src0_sel:BYTE_1 src1_sel:BYTE_1
	v_sub_u16_sdwa v95, v95, v132 dst_sel:DWORD dst_unused:UNUSED_PAD src0_sel:WORD_1 src1_sel:WORD_1
	v_sub_u16_sdwa v131, v131, v132 dst_sel:BYTE_1 dst_unused:UNUSED_PAD src0_sel:DWORD src1_sel:BYTE_3
	v_bitop3_b16 v134, v134, v136, s23 bitop3:0xec
	v_bitop3_b16 v95, v95, v131, s23 bitop3:0xec
	v_lshlrev_b32_e32 v95, 16, v95
	v_or_b32_sdwa v131, v134, v95 dst_sel:DWORD dst_unused:UNUSED_PAD src0_sel:WORD_0 src1_sel:DWORD
	v_ashrrev_i32_e32 v95, s16, v133
	v_ashrrev_i32_e32 v133, s2, v135
	v_lshlrev_b32_e32 v133, 2, v133
	v_bfe_u32 v132, v95, 24, 2
	v_and_b32_e32 v95, 0x3030303, v95
	v_and_b32_e32 v133, 0x4040404, v133
	v_sub_u16_e32 v134, v95, v133
	v_sub_u16_sdwa v135, v95, v133 dst_sel:BYTE_1 dst_unused:UNUSED_PAD src0_sel:BYTE_1 src1_sel:BYTE_1
	v_sub_u16_sdwa v95, v95, v133 dst_sel:DWORD dst_unused:UNUSED_PAD src0_sel:WORD_1 src1_sel:WORD_1
	v_sub_u16_sdwa v132, v132, v133 dst_sel:BYTE_1 dst_unused:UNUSED_PAD src0_sel:DWORD src1_sel:BYTE_3
	v_bitop3_b16 v134, v134, v135, s23 bitop3:0xec
	v_bitop3_b16 v95, v95, v132, s23 bitop3:0xec
	v_lshlrev_b32_e32 v95, 16, v95
	v_or_b32_sdwa v132, v134, v95 dst_sel:DWORD dst_unused:UNUSED_PAD src0_sel:WORD_0 src1_sel:DWORD
	v_add_u32_e32 v95, 0x3188, v128
	ds_read2_b32 v[134:135], v95 offset1:1
	ds_read2_b32 v[136:137], v140 offset0:2 offset1:3
	s_waitcnt lgkmcnt(1)
	v_ashrrev_i32_e32 v95, s16, v134
	s_waitcnt lgkmcnt(0)
	v_ashrrev_i32_e32 v134, s2, v136
	v_lshlrev_b32_e32 v134, 2, v134
	v_bfe_u32 v133, v95, 24, 2
	v_and_b32_e32 v95, 0x3030303, v95
	v_and_b32_e32 v134, 0x4040404, v134
	v_sub_u16_e32 v136, v95, v134
	v_sub_u16_sdwa v138, v95, v134 dst_sel:BYTE_1 dst_unused:UNUSED_PAD src0_sel:BYTE_1 src1_sel:BYTE_1
	v_sub_u16_sdwa v95, v95, v134 dst_sel:DWORD dst_unused:UNUSED_PAD src0_sel:WORD_1 src1_sel:WORD_1
	v_sub_u16_sdwa v133, v133, v134 dst_sel:BYTE_1 dst_unused:UNUSED_PAD src0_sel:DWORD src1_sel:BYTE_3
	v_bitop3_b16 v136, v136, v138, s23 bitop3:0xec
	v_bitop3_b16 v95, v95, v133, s23 bitop3:0xec
	v_lshlrev_b32_e32 v95, 16, v95
	v_or_b32_sdwa v133, v136, v95 dst_sel:DWORD dst_unused:UNUSED_PAD src0_sel:WORD_0 src1_sel:DWORD
	v_ashrrev_i32_e32 v95, s16, v135
	v_ashrrev_i32_e32 v135, s2, v137
	v_lshlrev_b32_e32 v135, 2, v135
	v_bfe_u32 v134, v95, 24, 2
	v_and_b32_e32 v95, 0x3030303, v95
	v_and_b32_e32 v135, 0x4040404, v135
	v_sub_u16_e32 v136, v95, v135
	v_sub_u16_sdwa v137, v95, v135 dst_sel:BYTE_1 dst_unused:UNUSED_PAD src0_sel:BYTE_1 src1_sel:BYTE_1
	v_sub_u16_sdwa v95, v95, v135 dst_sel:DWORD dst_unused:UNUSED_PAD src0_sel:WORD_1 src1_sel:WORD_1
	v_sub_u16_sdwa v134, v134, v135 dst_sel:BYTE_1 dst_unused:UNUSED_PAD src0_sel:DWORD src1_sel:BYTE_3
	v_bitop3_b16 v136, v136, v137, s23 bitop3:0xec
	v_bitop3_b16 v95, v95, v134, s23 bitop3:0xec
	v_lshlrev_b32_e32 v95, 16, v95
	v_or_b32_sdwa v134, v136, v95 dst_sel:DWORD dst_unused:UNUSED_PAD src0_sel:WORD_0 src1_sel:DWORD
	v_add_u32_e32 v95, 0x3190, v128
	ds_read2_b32 v[136:137], v95 offset1:1
	ds_read2_b32 v[138:139], v140 offset0:4 offset1:5
	;; [unrolled: 33-line block ×3, first 2 shown]
	s_waitcnt lgkmcnt(1)
	v_ashrrev_i32_e32 v95, s16, v138
	s_waitcnt lgkmcnt(0)
	v_ashrrev_i32_e32 v137, s2, v140
	v_lshlrev_b32_e32 v137, 2, v137
	v_bfe_u32 v128, v95, 24, 2
	v_and_b32_e32 v95, 0x3030303, v95
	v_and_b32_e32 v137, 0x4040404, v137
	v_sub_u16_e32 v138, v95, v137
	v_sub_u16_sdwa v140, v95, v137 dst_sel:BYTE_1 dst_unused:UNUSED_PAD src0_sel:BYTE_1 src1_sel:BYTE_1
	v_sub_u16_sdwa v95, v95, v137 dst_sel:DWORD dst_unused:UNUSED_PAD src0_sel:WORD_1 src1_sel:WORD_1
	v_sub_u16_sdwa v128, v128, v137 dst_sel:BYTE_1 dst_unused:UNUSED_PAD src0_sel:DWORD src1_sel:BYTE_3
	v_bitop3_b16 v138, v138, v140, s23 bitop3:0xec
	v_bitop3_b16 v95, v95, v128, s23 bitop3:0xec
	v_lshlrev_b32_e32 v95, 16, v95
	v_or_b32_sdwa v128, v138, v95 dst_sel:DWORD dst_unused:UNUSED_PAD src0_sel:WORD_0 src1_sel:DWORD
	v_ashrrev_i32_e32 v138, s2, v141
	v_ashrrev_i32_e32 v95, s16, v139
	v_lshlrev_b32_e32 v138, 2, v138
	v_bfe_u32 v137, v95, 24, 2
	v_and_b32_e32 v95, 0x3030303, v95
	v_and_b32_e32 v138, 0x4040404, v138
	v_sub_u16_e32 v139, v95, v138
	v_sub_u16_sdwa v140, v95, v138 dst_sel:BYTE_1 dst_unused:UNUSED_PAD src0_sel:BYTE_1 src1_sel:BYTE_1
	v_sub_u16_sdwa v95, v95, v138 dst_sel:DWORD dst_unused:UNUSED_PAD src0_sel:WORD_1 src1_sel:WORD_1
	v_sub_u16_sdwa v137, v137, v138 dst_sel:BYTE_1 dst_unused:UNUSED_PAD src0_sel:DWORD src1_sel:BYTE_3
	v_bitop3_b16 v139, v139, v140, s23 bitop3:0xec
	v_bitop3_b16 v95, v95, v137, s23 bitop3:0xec
	v_lshlrev_b32_e32 v95, 16, v95
	v_or_b32_sdwa v137, v139, v95 dst_sel:DWORD dst_unused:UNUSED_PAD src0_sel:WORD_0 src1_sel:DWORD
	v_mov_b32_e32 v139, 0
	v_add_u32_e32 v138, s17, v124
	v_add3_u32 v95, s29, v122, v123
	v_dot4c_i32_i8_e32 v139, v131, v6
	v_mov_b32_e32 v6, 0
	ds_read_b32 v95, v95
	v_dot4c_i32_i8_e32 v6, v135, v2
	ds_read_u16 v2, v138 offset:2
	v_dot4c_i32_i8_e32 v139, v132, v7
	v_dot4c_i32_i8_e32 v139, v133, v8
	v_dot4c_i32_i8_e32 v6, v136, v3
	v_dot4c_i32_i8_e32 v139, v134, v9
	v_dot4c_i32_i8_e32 v6, v128, v4
	s_waitcnt lgkmcnt(0)
	v_lshrrev_b16_e32 v3, 8, v2
	v_bfe_i32 v2, v2, 0, 8
	v_dot4c_i32_i8_e32 v6, v137, v5
	v_bfe_i32 v5, v3, 0, 8
	v_mul_lo_u32 v4, v139, v2
	v_mad_u64_u32 v[2:3], s[30:31], v129, v130, v[96:97]
	v_mad_u64_u32 v[4:5], s[30:31], v6, v5, v[4:5]
	v_cvt_f32_i32_e32 v3, v4
	v_cvt_f32_i32_e32 v2, v2
	v_pk_mul_f32 v[6:7], v[92:93], v[94:95] op_sel_hi:[0,1]
	s_add_i32 s2, s2, 1
	v_add_u32_e32 v93, 32, v93
	v_pk_fma_f32 v[30:31], v[6:7], v[2:3], v[30:31]
	s_cmp_lt_u32 s16, 6
	s_mov_b32 s17, s16
	s_cbranch_scc1 .LBB229_11
; %bb.12:                               ;   in Loop: Header=BB229_5 Depth=1
	s_or_b32 s2, s27, 0x80
	s_cmp_ge_i32 s2, s15
	s_barrier
	s_cbranch_scc1 .LBB229_4
; %bb.13:                               ;   in Loop: Header=BB229_5 Depth=1
	v_add_u32_e32 v2, s28, v100
	v_cmp_gt_i32_e64 s[2:3], s5, v2
	s_and_b64 s[16:17], s[0:1], s[2:3]
	s_and_saveexec_b64 s[2:3], s[16:17]
	s_cbranch_execz .LBB229_15
; %bb.14:                               ;   in Loop: Header=BB229_5 Depth=1
	v_add_u32_e32 v2, v34, v2
	v_mad_i64_i32 v[2:3], s[16:17], v2, 36, v[36:37]
	global_load_dword v2, v[2:3], off offset:4
	s_waitcnt vmcnt(0)
	ds_write_b32 v69, v2
.LBB229_15:                             ;   in Loop: Header=BB229_5 Depth=1
	s_or_b64 exec, exec, s[2:3]
	s_and_saveexec_b64 s[16:17], vcc
	s_cbranch_execz .LBB229_18
; %bb.16:                               ;   in Loop: Header=BB229_5 Depth=1
	v_or_b32_e32 v2, 4, v90
	v_cmp_gt_i32_e64 s[2:3], s5, v2
	s_and_b64 s[2:3], s[0:1], s[2:3]
	s_and_b64 exec, exec, s[2:3]
	s_cbranch_execz .LBB229_18
; %bb.17:                               ;   in Loop: Header=BB229_5 Depth=1
	v_ashrrev_i32_e32 v91, 31, v90
	v_lshl_add_u64 v[2:3], v[34:35], 0, v[90:91]
	v_mad_u64_u32 v[4:5], s[2:3], v2, 36, s[10:11]
	v_mad_i32_i24 v5, v3, 36, v5
	global_load_dword v2, v[4:5], off offset:144
	s_waitcnt vmcnt(0)
	v_cvt_f32_f16_e32 v2, v2
	ds_write_b32 v73, v2
.LBB229_18:                             ;   in Loop: Header=BB229_5 Depth=1
	s_or_b64 exec, exec, s[16:17]
	s_mov_b32 s2, 8
	s_mov_b32 s29, 6
	;; [unrolled: 1-line block ×3, first 2 shown]
	v_mov_b32_e32 v91, v67
	v_mov_b32_e32 v93, v71
	s_waitcnt lgkmcnt(0)
	s_barrier
.LBB229_19:                             ;   Parent Loop BB229_5 Depth=1
                                        ; =>  This Inner Loop Header: Depth=2
	s_add_i32 s16, s29, 2
	s_lshr_b32 s33, s16, 4
	s_and_b32 s31, s16, 0x3ffffff8
	v_lshl_add_u32 v128, s31, 2, v104
	s_lshl_b32 s31, s33, 5
	s_addk_i32 s31, 0x4200
	v_add3_u32 v129, s31, v109, v110
	ds_read_b32 v92, v93
	ds_read_b128 v[6:9], v91
	ds_read_b128 v[2:5], v91 offset:16
	ds_read2_b32 v[94:95], v128 offset1:1
	ds_read2_b32 v[130:131], v129 offset1:1
	s_add_i32 s17, s29, -6
	s_and_b32 s30, s2, -16
	s_add_i32 s30, s29, s30
	s_waitcnt lgkmcnt(1)
	v_ashrrev_i32_e32 v94, s17, v94
	s_waitcnt lgkmcnt(0)
	v_ashrrev_i32_e32 v130, s3, v130
	v_lshlrev_b32_e32 v130, 2, v130
	v_bfe_u32 v96, v94, 24, 2
	v_and_b32_e32 v94, 0x3030303, v94
	v_and_b32_e32 v130, 0x4040404, v130
	v_sub_u16_e32 v132, v94, v130
	v_sub_u16_sdwa v133, v94, v130 dst_sel:BYTE_1 dst_unused:UNUSED_PAD src0_sel:BYTE_1 src1_sel:BYTE_1
	v_sub_u16_sdwa v94, v94, v130 dst_sel:DWORD dst_unused:UNUSED_PAD src0_sel:WORD_1 src1_sel:WORD_1
	v_sub_u16_sdwa v96, v96, v130 dst_sel:BYTE_1 dst_unused:UNUSED_PAD src0_sel:DWORD src1_sel:BYTE_3
	v_bitop3_b16 v132, v132, v133, s23 bitop3:0xec
	v_bitop3_b16 v94, v94, v96, s23 bitop3:0xec
	v_lshlrev_b32_e32 v94, 16, v94
	v_ashrrev_i32_e32 v130, s3, v131
	v_or_b32_sdwa v96, v132, v94 dst_sel:DWORD dst_unused:UNUSED_PAD src0_sel:WORD_0 src1_sel:DWORD
	v_ashrrev_i32_e32 v94, s17, v95
	v_lshlrev_b32_e32 v130, 2, v130
	v_bfe_u32 v95, v94, 24, 2
	v_and_b32_e32 v94, 0x3030303, v94
	v_and_b32_e32 v130, 0x4040404, v130
	v_sub_u16_e32 v131, v94, v130
	v_sub_u16_sdwa v132, v94, v130 dst_sel:BYTE_1 dst_unused:UNUSED_PAD src0_sel:BYTE_1 src1_sel:BYTE_1
	v_sub_u16_sdwa v94, v94, v130 dst_sel:DWORD dst_unused:UNUSED_PAD src0_sel:WORD_1 src1_sel:WORD_1
	v_sub_u16_sdwa v95, v95, v130 dst_sel:BYTE_1 dst_unused:UNUSED_PAD src0_sel:DWORD src1_sel:BYTE_3
	v_bitop3_b16 v131, v131, v132, s23 bitop3:0xec
	v_bitop3_b16 v94, v94, v95, s23 bitop3:0xec
	v_lshlrev_b32_e32 v94, 16, v94
	v_or_b32_sdwa v132, v131, v94 dst_sel:DWORD dst_unused:UNUSED_PAD src0_sel:WORD_0 src1_sel:DWORD
	ds_read2_b32 v[94:95], v128 offset0:2 offset1:3
	ds_read2_b32 v[130:131], v129 offset0:2 offset1:3
	s_lshl_b32 s29, s33, 2
	s_addk_i32 s29, 0x7380
	s_add_i32 s2, s2, 2
	s_waitcnt lgkmcnt(1)
	v_ashrrev_i32_e32 v94, s17, v94
	s_waitcnt lgkmcnt(0)
	v_ashrrev_i32_e32 v130, s3, v130
	v_lshlrev_b32_e32 v130, 2, v130
	v_bfe_u32 v133, v94, 24, 2
	v_and_b32_e32 v94, 0x3030303, v94
	v_and_b32_e32 v130, 0x4040404, v130
	v_sub_u16_e32 v134, v94, v130
	v_sub_u16_sdwa v135, v94, v130 dst_sel:BYTE_1 dst_unused:UNUSED_PAD src0_sel:BYTE_1 src1_sel:BYTE_1
	v_sub_u16_sdwa v94, v94, v130 dst_sel:DWORD dst_unused:UNUSED_PAD src0_sel:WORD_1 src1_sel:WORD_1
	v_sub_u16_sdwa v130, v133, v130 dst_sel:BYTE_1 dst_unused:UNUSED_PAD src0_sel:DWORD src1_sel:BYTE_3
	v_bitop3_b16 v134, v134, v135, s23 bitop3:0xec
	v_bitop3_b16 v94, v94, v130, s23 bitop3:0xec
	v_lshlrev_b32_e32 v94, 16, v94
	v_ashrrev_i32_e32 v130, s3, v131
	v_or_b32_sdwa v133, v134, v94 dst_sel:DWORD dst_unused:UNUSED_PAD src0_sel:WORD_0 src1_sel:DWORD
	v_ashrrev_i32_e32 v94, s17, v95
	v_lshlrev_b32_e32 v130, 2, v130
	v_bfe_u32 v95, v94, 24, 2
	v_and_b32_e32 v94, 0x3030303, v94
	v_and_b32_e32 v130, 0x4040404, v130
	v_sub_u16_e32 v131, v94, v130
	v_sub_u16_sdwa v134, v94, v130 dst_sel:BYTE_1 dst_unused:UNUSED_PAD src0_sel:BYTE_1 src1_sel:BYTE_1
	v_sub_u16_sdwa v94, v94, v130 dst_sel:DWORD dst_unused:UNUSED_PAD src0_sel:WORD_1 src1_sel:WORD_1
	v_sub_u16_sdwa v95, v95, v130 dst_sel:BYTE_1 dst_unused:UNUSED_PAD src0_sel:DWORD src1_sel:BYTE_3
	v_bitop3_b16 v131, v131, v134, s23 bitop3:0xec
	v_bitop3_b16 v94, v94, v95, s23 bitop3:0xec
	v_lshlrev_b32_e32 v94, 16, v94
	v_or_b32_sdwa v134, v131, v94 dst_sel:DWORD dst_unused:UNUSED_PAD src0_sel:WORD_0 src1_sel:DWORD
	ds_read2_b32 v[94:95], v128 offset0:4 offset1:5
	ds_read2_b32 v[130:131], v129 offset0:4 offset1:5
	v_add_u32_e32 v91, 32, v91
	s_waitcnt lgkmcnt(1)
	v_ashrrev_i32_e32 v94, s17, v94
	s_waitcnt lgkmcnt(0)
	v_ashrrev_i32_e32 v130, s3, v130
	v_lshlrev_b32_e32 v130, 2, v130
	v_bfe_u32 v135, v94, 24, 2
	v_and_b32_e32 v94, 0x3030303, v94
	v_and_b32_e32 v130, 0x4040404, v130
	v_sub_u16_e32 v136, v94, v130
	v_sub_u16_sdwa v137, v94, v130 dst_sel:BYTE_1 dst_unused:UNUSED_PAD src0_sel:BYTE_1 src1_sel:BYTE_1
	v_sub_u16_sdwa v94, v94, v130 dst_sel:DWORD dst_unused:UNUSED_PAD src0_sel:WORD_1 src1_sel:WORD_1
	v_sub_u16_sdwa v130, v135, v130 dst_sel:BYTE_1 dst_unused:UNUSED_PAD src0_sel:DWORD src1_sel:BYTE_3
	v_bitop3_b16 v136, v136, v137, s23 bitop3:0xec
	v_bitop3_b16 v94, v94, v130, s23 bitop3:0xec
	v_lshlrev_b32_e32 v94, 16, v94
	v_ashrrev_i32_e32 v130, s3, v131
	v_or_b32_sdwa v135, v136, v94 dst_sel:DWORD dst_unused:UNUSED_PAD src0_sel:WORD_0 src1_sel:DWORD
	v_ashrrev_i32_e32 v94, s17, v95
	v_lshlrev_b32_e32 v130, 2, v130
	v_bfe_u32 v95, v94, 24, 2
	v_and_b32_e32 v94, 0x3030303, v94
	v_and_b32_e32 v130, 0x4040404, v130
	v_sub_u16_e32 v131, v94, v130
	v_sub_u16_sdwa v136, v94, v130 dst_sel:BYTE_1 dst_unused:UNUSED_PAD src0_sel:BYTE_1 src1_sel:BYTE_1
	v_sub_u16_sdwa v94, v94, v130 dst_sel:DWORD dst_unused:UNUSED_PAD src0_sel:WORD_1 src1_sel:WORD_1
	v_sub_u16_sdwa v95, v95, v130 dst_sel:BYTE_1 dst_unused:UNUSED_PAD src0_sel:DWORD src1_sel:BYTE_3
	v_bitop3_b16 v131, v131, v136, s23 bitop3:0xec
	v_bitop3_b16 v94, v94, v95, s23 bitop3:0xec
	v_lshlrev_b32_e32 v94, 16, v94
	v_or_b32_sdwa v136, v131, v94 dst_sel:DWORD dst_unused:UNUSED_PAD src0_sel:WORD_0 src1_sel:DWORD
	ds_read2_b32 v[94:95], v128 offset0:6 offset1:7
	ds_read2_b32 v[130:131], v129 offset0:6 offset1:7
	s_waitcnt lgkmcnt(1)
	v_ashrrev_i32_e32 v94, s17, v94
	s_waitcnt lgkmcnt(0)
	v_ashrrev_i32_e32 v129, s3, v130
	v_lshlrev_b32_e32 v129, 2, v129
	v_bfe_u32 v137, v94, 24, 2
	v_and_b32_e32 v94, 0x3030303, v94
	v_and_b32_e32 v129, 0x4040404, v129
	v_sub_u16_e32 v130, v94, v129
	v_sub_u16_sdwa v138, v94, v129 dst_sel:BYTE_1 dst_unused:UNUSED_PAD src0_sel:BYTE_1 src1_sel:BYTE_1
	v_sub_u16_sdwa v94, v94, v129 dst_sel:DWORD dst_unused:UNUSED_PAD src0_sel:WORD_1 src1_sel:WORD_1
	v_sub_u16_sdwa v129, v137, v129 dst_sel:BYTE_1 dst_unused:UNUSED_PAD src0_sel:DWORD src1_sel:BYTE_3
	v_bitop3_b16 v130, v130, v138, s23 bitop3:0xec
	v_bitop3_b16 v94, v94, v129, s23 bitop3:0xec
	v_lshlrev_b32_e32 v94, 16, v94
	v_or_b32_sdwa v129, v130, v94 dst_sel:DWORD dst_unused:UNUSED_PAD src0_sel:WORD_0 src1_sel:DWORD
	v_ashrrev_i32_e32 v130, s3, v131
	v_ashrrev_i32_e32 v94, s17, v95
	v_lshlrev_b32_e32 v130, 2, v130
	v_bfe_u32 v95, v94, 24, 2
	v_and_b32_e32 v94, 0x3030303, v94
	v_and_b32_e32 v130, 0x4040404, v130
	v_sub_u16_e32 v131, v94, v130
	v_sub_u16_sdwa v137, v94, v130 dst_sel:BYTE_1 dst_unused:UNUSED_PAD src0_sel:BYTE_1 src1_sel:BYTE_1
	v_sub_u16_sdwa v94, v94, v130 dst_sel:DWORD dst_unused:UNUSED_PAD src0_sel:WORD_1 src1_sel:WORD_1
	v_sub_u16_sdwa v95, v95, v130 dst_sel:BYTE_1 dst_unused:UNUSED_PAD src0_sel:DWORD src1_sel:BYTE_3
	v_bitop3_b16 v131, v131, v137, s23 bitop3:0xec
	v_bitop3_b16 v94, v94, v95, s23 bitop3:0xec
	v_lshlrev_b32_e32 v94, 16, v94
	v_or_b32_sdwa v95, v131, v94 dst_sel:DWORD dst_unused:UNUSED_PAD src0_sel:WORD_0 src1_sel:DWORD
	v_mov_b32_e32 v131, 0
	v_dot4c_i32_i8_e32 v131, v96, v6
	v_dot4c_i32_i8_e32 v131, v132, v7
	;; [unrolled: 1-line block ×4, first 2 shown]
	v_mov_b32_e32 v134, 0
	v_dot4c_i32_i8_e32 v134, v135, v2
	v_dot4c_i32_i8_e32 v134, v136, v3
	v_add_u32_e32 v130, s30, v81
	v_dot4c_i32_i8_e32 v134, v129, v4
	v_dot4c_i32_i8_e32 v134, v95, v5
	ds_read_u16 v95, v130 offset:25346
	v_add3_u32 v94, s29, v127, v111
	v_add3_u32 v135, s31, v112, v113
	ds_read_b32 v94, v94
	ds_read2_b32 v[132:133], v135 offset1:1
	s_waitcnt lgkmcnt(2)
	v_lshrrev_b16_e32 v96, 8, v95
	v_bfe_i32 v95, v95, 0, 8
	v_bfe_i32 v129, v96, 0, 8
	v_mul_lo_u32 v96, v131, v95
	v_add_u32_e32 v95, 0x1080, v128
	ds_read2_b32 v[130:131], v95 offset1:1
	s_waitcnt lgkmcnt(1)
	v_ashrrev_i32_e32 v132, s3, v132
	v_lshlrev_b32_e32 v132, 2, v132
	v_and_b32_e32 v132, 0x4040404, v132
	s_waitcnt lgkmcnt(0)
	v_ashrrev_i32_e32 v95, s17, v130
	v_bfe_u32 v130, v95, 24, 2
	v_and_b32_e32 v95, 0x3030303, v95
	v_sub_u16_e32 v136, v95, v132
	v_sub_u16_sdwa v137, v95, v132 dst_sel:BYTE_1 dst_unused:UNUSED_PAD src0_sel:BYTE_1 src1_sel:BYTE_1
	v_sub_u16_sdwa v95, v95, v132 dst_sel:DWORD dst_unused:UNUSED_PAD src0_sel:WORD_1 src1_sel:WORD_1
	v_sub_u16_sdwa v130, v130, v132 dst_sel:BYTE_1 dst_unused:UNUSED_PAD src0_sel:DWORD src1_sel:BYTE_3
	v_bitop3_b16 v136, v136, v137, s23 bitop3:0xec
	v_bitop3_b16 v95, v95, v130, s23 bitop3:0xec
	v_lshlrev_b32_e32 v95, 16, v95
	v_or_b32_sdwa v136, v136, v95 dst_sel:DWORD dst_unused:UNUSED_PAD src0_sel:WORD_0 src1_sel:DWORD
	v_ashrrev_i32_e32 v95, s17, v131
	v_ashrrev_i32_e32 v131, s3, v133
	v_lshlrev_b32_e32 v131, 2, v131
	v_bfe_u32 v130, v95, 24, 2
	v_and_b32_e32 v95, 0x3030303, v95
	v_and_b32_e32 v131, 0x4040404, v131
	v_sub_u16_e32 v132, v95, v131
	v_sub_u16_sdwa v133, v95, v131 dst_sel:BYTE_1 dst_unused:UNUSED_PAD src0_sel:BYTE_1 src1_sel:BYTE_1
	v_sub_u16_sdwa v95, v95, v131 dst_sel:DWORD dst_unused:UNUSED_PAD src0_sel:WORD_1 src1_sel:WORD_1
	v_sub_u16_sdwa v130, v130, v131 dst_sel:BYTE_1 dst_unused:UNUSED_PAD src0_sel:DWORD src1_sel:BYTE_3
	v_bitop3_b16 v132, v132, v133, s23 bitop3:0xec
	v_bitop3_b16 v95, v95, v130, s23 bitop3:0xec
	v_lshlrev_b32_e32 v95, 16, v95
	v_or_b32_sdwa v137, v132, v95 dst_sel:DWORD dst_unused:UNUSED_PAD src0_sel:WORD_0 src1_sel:DWORD
	v_add_u32_e32 v95, 0x1088, v128
	ds_read2_b32 v[130:131], v95 offset1:1
	ds_read2_b32 v[132:133], v135 offset0:2 offset1:3
	s_waitcnt lgkmcnt(1)
	v_ashrrev_i32_e32 v95, s17, v130
	s_waitcnt lgkmcnt(0)
	v_ashrrev_i32_e32 v132, s3, v132
	v_lshlrev_b32_e32 v132, 2, v132
	v_bfe_u32 v130, v95, 24, 2
	v_and_b32_e32 v95, 0x3030303, v95
	v_and_b32_e32 v132, 0x4040404, v132
	v_sub_u16_e32 v138, v95, v132
	v_sub_u16_sdwa v139, v95, v132 dst_sel:BYTE_1 dst_unused:UNUSED_PAD src0_sel:BYTE_1 src1_sel:BYTE_1
	v_sub_u16_sdwa v95, v95, v132 dst_sel:DWORD dst_unused:UNUSED_PAD src0_sel:WORD_1 src1_sel:WORD_1
	v_sub_u16_sdwa v130, v130, v132 dst_sel:BYTE_1 dst_unused:UNUSED_PAD src0_sel:DWORD src1_sel:BYTE_3
	v_bitop3_b16 v138, v138, v139, s23 bitop3:0xec
	v_bitop3_b16 v95, v95, v130, s23 bitop3:0xec
	v_lshlrev_b32_e32 v95, 16, v95
	v_or_b32_sdwa v138, v138, v95 dst_sel:DWORD dst_unused:UNUSED_PAD src0_sel:WORD_0 src1_sel:DWORD
	v_ashrrev_i32_e32 v95, s17, v131
	v_ashrrev_i32_e32 v131, s3, v133
	v_lshlrev_b32_e32 v131, 2, v131
	v_bfe_u32 v130, v95, 24, 2
	v_and_b32_e32 v95, 0x3030303, v95
	v_and_b32_e32 v131, 0x4040404, v131
	v_sub_u16_e32 v132, v95, v131
	v_sub_u16_sdwa v133, v95, v131 dst_sel:BYTE_1 dst_unused:UNUSED_PAD src0_sel:BYTE_1 src1_sel:BYTE_1
	v_sub_u16_sdwa v95, v95, v131 dst_sel:DWORD dst_unused:UNUSED_PAD src0_sel:WORD_1 src1_sel:WORD_1
	v_sub_u16_sdwa v130, v130, v131 dst_sel:BYTE_1 dst_unused:UNUSED_PAD src0_sel:DWORD src1_sel:BYTE_3
	v_bitop3_b16 v132, v132, v133, s23 bitop3:0xec
	v_bitop3_b16 v95, v95, v130, s23 bitop3:0xec
	v_lshlrev_b32_e32 v95, 16, v95
	v_or_b32_sdwa v139, v132, v95 dst_sel:DWORD dst_unused:UNUSED_PAD src0_sel:WORD_0 src1_sel:DWORD
	v_add_u32_e32 v95, 0x1090, v128
	ds_read2_b32 v[130:131], v95 offset1:1
	ds_read2_b32 v[132:133], v135 offset0:4 offset1:5
	s_waitcnt lgkmcnt(1)
	v_ashrrev_i32_e32 v95, s17, v130
	s_waitcnt lgkmcnt(0)
	v_ashrrev_i32_e32 v132, s3, v132
	v_lshlrev_b32_e32 v132, 2, v132
	v_bfe_u32 v130, v95, 24, 2
	v_and_b32_e32 v95, 0x3030303, v95
	;; [unrolled: 33-line block ×3, first 2 shown]
	v_and_b32_e32 v132, 0x4040404, v132
	v_sub_u16_e32 v135, v95, v132
	v_sub_u16_sdwa v142, v95, v132 dst_sel:BYTE_1 dst_unused:UNUSED_PAD src0_sel:BYTE_1 src1_sel:BYTE_1
	v_sub_u16_sdwa v95, v95, v132 dst_sel:DWORD dst_unused:UNUSED_PAD src0_sel:WORD_1 src1_sel:WORD_1
	v_sub_u16_sdwa v130, v130, v132 dst_sel:BYTE_1 dst_unused:UNUSED_PAD src0_sel:DWORD src1_sel:BYTE_3
	v_bitop3_b16 v135, v135, v142, s23 bitop3:0xec
	v_bitop3_b16 v95, v95, v130, s23 bitop3:0xec
	v_lshlrev_b32_e32 v95, 16, v95
	v_or_b32_sdwa v132, v135, v95 dst_sel:DWORD dst_unused:UNUSED_PAD src0_sel:WORD_0 src1_sel:DWORD
	v_ashrrev_i32_e32 v95, s17, v131
	v_ashrrev_i32_e32 v131, s3, v133
	v_lshlrev_b32_e32 v131, 2, v131
	v_bfe_u32 v130, v95, 24, 2
	v_and_b32_e32 v95, 0x3030303, v95
	v_and_b32_e32 v131, 0x4040404, v131
	v_sub_u16_e32 v133, v95, v131
	v_sub_u16_sdwa v135, v95, v131 dst_sel:BYTE_1 dst_unused:UNUSED_PAD src0_sel:BYTE_1 src1_sel:BYTE_1
	v_sub_u16_sdwa v95, v95, v131 dst_sel:DWORD dst_unused:UNUSED_PAD src0_sel:WORD_1 src1_sel:WORD_1
	v_sub_u16_sdwa v130, v130, v131 dst_sel:BYTE_1 dst_unused:UNUSED_PAD src0_sel:DWORD src1_sel:BYTE_3
	v_bitop3_b16 v133, v133, v135, s23 bitop3:0xec
	v_bitop3_b16 v95, v95, v130, s23 bitop3:0xec
	v_lshlrev_b32_e32 v95, 16, v95
	v_or_b32_sdwa v131, v133, v95 dst_sel:DWORD dst_unused:UNUSED_PAD src0_sel:WORD_0 src1_sel:DWORD
	v_add_u32_e32 v130, s30, v79
	v_add3_u32 v95, s29, v114, v115
	ds_read_b32 v95, v95
	ds_read_u16 v130, v130 offset:26370
	v_mov_b32_e32 v133, 0
	v_dot4c_i32_i8_e32 v133, v136, v6
	v_mov_b32_e32 v136, 0
	v_dot4c_i32_i8_e32 v133, v137, v7
	v_dot4c_i32_i8_e32 v136, v140, v2
	;; [unrolled: 1-line block ×5, first 2 shown]
	s_waitcnt lgkmcnt(0)
	v_lshrrev_b16_e32 v135, 8, v130
	v_bfe_i32 v130, v130, 0, 8
	v_dot4c_i32_i8_e32 v136, v132, v4
	v_mul_lo_u32 v130, v133, v130
	v_dot4c_i32_i8_e32 v136, v131, v5
	v_bfe_i32 v131, v135, 0, 8
	v_mad_u64_u32 v[132:133], s[34:35], v134, v129, v[96:97]
	s_nop 0
	v_mad_u64_u32 v[130:131], s[34:35], v136, v131, v[130:131]
	v_cvt_f32_i32_e32 v131, v130
	v_cvt_f32_i32_e32 v130, v132
	v_pk_mul_f32 v[94:95], v[92:93], v[94:95] op_sel_hi:[0,1]
	v_add3_u32 v129, s31, v116, v117
	v_pk_fma_f32 v[32:33], v[94:95], v[130:131], v[32:33]
	v_add_u32_e32 v94, 0x2100, v128
	ds_read2_b32 v[94:95], v94 offset1:1
	ds_read2_b32 v[130:131], v129 offset1:1
	s_waitcnt lgkmcnt(1)
	v_ashrrev_i32_e32 v94, s17, v94
	s_waitcnt lgkmcnt(0)
	v_ashrrev_i32_e32 v130, s3, v130
	v_lshlrev_b32_e32 v130, 2, v130
	v_bfe_u32 v96, v94, 24, 2
	v_and_b32_e32 v94, 0x3030303, v94
	v_and_b32_e32 v130, 0x4040404, v130
	v_sub_u16_e32 v132, v94, v130
	v_sub_u16_sdwa v133, v94, v130 dst_sel:BYTE_1 dst_unused:UNUSED_PAD src0_sel:BYTE_1 src1_sel:BYTE_1
	v_sub_u16_sdwa v94, v94, v130 dst_sel:DWORD dst_unused:UNUSED_PAD src0_sel:WORD_1 src1_sel:WORD_1
	v_sub_u16_sdwa v96, v96, v130 dst_sel:BYTE_1 dst_unused:UNUSED_PAD src0_sel:DWORD src1_sel:BYTE_3
	v_bitop3_b16 v132, v132, v133, s23 bitop3:0xec
	v_bitop3_b16 v94, v94, v96, s23 bitop3:0xec
	v_lshlrev_b32_e32 v94, 16, v94
	v_ashrrev_i32_e32 v130, s3, v131
	v_or_b32_sdwa v96, v132, v94 dst_sel:DWORD dst_unused:UNUSED_PAD src0_sel:WORD_0 src1_sel:DWORD
	v_ashrrev_i32_e32 v94, s17, v95
	v_lshlrev_b32_e32 v130, 2, v130
	v_bfe_u32 v95, v94, 24, 2
	v_and_b32_e32 v94, 0x3030303, v94
	v_and_b32_e32 v130, 0x4040404, v130
	v_sub_u16_e32 v131, v94, v130
	v_sub_u16_sdwa v132, v94, v130 dst_sel:BYTE_1 dst_unused:UNUSED_PAD src0_sel:BYTE_1 src1_sel:BYTE_1
	v_sub_u16_sdwa v94, v94, v130 dst_sel:DWORD dst_unused:UNUSED_PAD src0_sel:WORD_1 src1_sel:WORD_1
	v_sub_u16_sdwa v95, v95, v130 dst_sel:BYTE_1 dst_unused:UNUSED_PAD src0_sel:DWORD src1_sel:BYTE_3
	v_bitop3_b16 v131, v131, v132, s23 bitop3:0xec
	v_bitop3_b16 v94, v94, v95, s23 bitop3:0xec
	v_lshlrev_b32_e32 v94, 16, v94
	v_or_b32_sdwa v132, v131, v94 dst_sel:DWORD dst_unused:UNUSED_PAD src0_sel:WORD_0 src1_sel:DWORD
	v_add_u32_e32 v94, 0x2108, v128
	ds_read2_b32 v[94:95], v94 offset1:1
	ds_read2_b32 v[130:131], v129 offset0:2 offset1:3
	s_waitcnt lgkmcnt(1)
	v_ashrrev_i32_e32 v94, s17, v94
	s_waitcnt lgkmcnt(0)
	v_ashrrev_i32_e32 v130, s3, v130
	v_lshlrev_b32_e32 v130, 2, v130
	v_bfe_u32 v133, v94, 24, 2
	v_and_b32_e32 v94, 0x3030303, v94
	v_and_b32_e32 v130, 0x4040404, v130
	v_sub_u16_e32 v134, v94, v130
	v_sub_u16_sdwa v135, v94, v130 dst_sel:BYTE_1 dst_unused:UNUSED_PAD src0_sel:BYTE_1 src1_sel:BYTE_1
	v_sub_u16_sdwa v94, v94, v130 dst_sel:DWORD dst_unused:UNUSED_PAD src0_sel:WORD_1 src1_sel:WORD_1
	v_sub_u16_sdwa v130, v133, v130 dst_sel:BYTE_1 dst_unused:UNUSED_PAD src0_sel:DWORD src1_sel:BYTE_3
	v_bitop3_b16 v134, v134, v135, s23 bitop3:0xec
	v_bitop3_b16 v94, v94, v130, s23 bitop3:0xec
	v_lshlrev_b32_e32 v94, 16, v94
	v_ashrrev_i32_e32 v130, s3, v131
	v_or_b32_sdwa v133, v134, v94 dst_sel:DWORD dst_unused:UNUSED_PAD src0_sel:WORD_0 src1_sel:DWORD
	v_ashrrev_i32_e32 v94, s17, v95
	v_lshlrev_b32_e32 v130, 2, v130
	v_bfe_u32 v95, v94, 24, 2
	v_and_b32_e32 v94, 0x3030303, v94
	v_and_b32_e32 v130, 0x4040404, v130
	v_sub_u16_e32 v131, v94, v130
	v_sub_u16_sdwa v134, v94, v130 dst_sel:BYTE_1 dst_unused:UNUSED_PAD src0_sel:BYTE_1 src1_sel:BYTE_1
	v_sub_u16_sdwa v94, v94, v130 dst_sel:DWORD dst_unused:UNUSED_PAD src0_sel:WORD_1 src1_sel:WORD_1
	v_sub_u16_sdwa v95, v95, v130 dst_sel:BYTE_1 dst_unused:UNUSED_PAD src0_sel:DWORD src1_sel:BYTE_3
	v_bitop3_b16 v131, v131, v134, s23 bitop3:0xec
	v_bitop3_b16 v94, v94, v95, s23 bitop3:0xec
	v_lshlrev_b32_e32 v94, 16, v94
	v_or_b32_sdwa v134, v131, v94 dst_sel:DWORD dst_unused:UNUSED_PAD src0_sel:WORD_0 src1_sel:DWORD
	v_add_u32_e32 v94, 0x2110, v128
	ds_read2_b32 v[94:95], v94 offset1:1
	ds_read2_b32 v[130:131], v129 offset0:4 offset1:5
	;; [unrolled: 33-line block ×3, first 2 shown]
	s_waitcnt lgkmcnt(1)
	v_ashrrev_i32_e32 v94, s17, v94
	s_waitcnt lgkmcnt(0)
	v_ashrrev_i32_e32 v129, s3, v130
	v_lshlrev_b32_e32 v129, 2, v129
	v_bfe_u32 v137, v94, 24, 2
	v_and_b32_e32 v94, 0x3030303, v94
	v_and_b32_e32 v129, 0x4040404, v129
	v_sub_u16_e32 v130, v94, v129
	v_sub_u16_sdwa v138, v94, v129 dst_sel:BYTE_1 dst_unused:UNUSED_PAD src0_sel:BYTE_1 src1_sel:BYTE_1
	v_sub_u16_sdwa v94, v94, v129 dst_sel:DWORD dst_unused:UNUSED_PAD src0_sel:WORD_1 src1_sel:WORD_1
	v_sub_u16_sdwa v129, v137, v129 dst_sel:BYTE_1 dst_unused:UNUSED_PAD src0_sel:DWORD src1_sel:BYTE_3
	v_bitop3_b16 v130, v130, v138, s23 bitop3:0xec
	v_bitop3_b16 v94, v94, v129, s23 bitop3:0xec
	v_lshlrev_b32_e32 v94, 16, v94
	v_ashrrev_i32_e32 v129, s3, v131
	v_or_b32_sdwa v130, v130, v94 dst_sel:DWORD dst_unused:UNUSED_PAD src0_sel:WORD_0 src1_sel:DWORD
	v_ashrrev_i32_e32 v94, s17, v95
	v_lshlrev_b32_e32 v129, 2, v129
	v_bfe_u32 v95, v94, 24, 2
	v_and_b32_e32 v94, 0x3030303, v94
	v_and_b32_e32 v129, 0x4040404, v129
	v_sub_u16_e32 v131, v94, v129
	v_sub_u16_sdwa v137, v94, v129 dst_sel:BYTE_1 dst_unused:UNUSED_PAD src0_sel:BYTE_1 src1_sel:BYTE_1
	v_sub_u16_sdwa v94, v94, v129 dst_sel:DWORD dst_unused:UNUSED_PAD src0_sel:WORD_1 src1_sel:WORD_1
	v_sub_u16_sdwa v95, v95, v129 dst_sel:BYTE_1 dst_unused:UNUSED_PAD src0_sel:DWORD src1_sel:BYTE_3
	v_mov_b32_e32 v129, 0
	v_bitop3_b16 v94, v94, v95, s23 bitop3:0xec
	v_dot4c_i32_i8_e32 v129, v135, v2
	v_bitop3_b16 v131, v131, v137, s23 bitop3:0xec
	v_lshlrev_b32_e32 v94, 16, v94
	v_dot4c_i32_i8_e32 v129, v136, v3
	v_or_b32_sdwa v95, v131, v94 dst_sel:DWORD dst_unused:UNUSED_PAD src0_sel:WORD_0 src1_sel:DWORD
	v_add_u32_e32 v131, s30, v77
	v_dot4c_i32_i8_e32 v129, v130, v4
	v_dot4c_i32_i8_e32 v129, v95, v5
	ds_read_u16 v95, v131 offset:27394
	v_mov_b32_e32 v137, 0
	v_dot4c_i32_i8_e32 v137, v96, v6
	v_dot4c_i32_i8_e32 v137, v132, v7
	;; [unrolled: 1-line block ×4, first 2 shown]
	s_waitcnt lgkmcnt(0)
	v_lshrrev_b16_e32 v96, 8, v95
	v_bfe_i32 v95, v95, 0, 8
	v_add3_u32 v94, s29, v118, v119
	v_bfe_i32 v130, v96, 0, 8
	v_mul_lo_u32 v96, v137, v95
	v_add_u32_e32 v95, 0x3180, v128
	v_add3_u32 v136, s31, v120, v121
	ds_read_b32 v94, v94
	ds_read2_b32 v[132:133], v95 offset1:1
	ds_read2_b32 v[134:135], v136 offset1:1
	s_waitcnt lgkmcnt(1)
	v_ashrrev_i32_e32 v95, s17, v132
	s_waitcnt lgkmcnt(0)
	v_ashrrev_i32_e32 v132, s3, v134
	v_lshlrev_b32_e32 v132, 2, v132
	v_bfe_u32 v131, v95, 24, 2
	v_and_b32_e32 v95, 0x3030303, v95
	v_and_b32_e32 v132, 0x4040404, v132
	v_sub_u16_e32 v134, v95, v132
	v_sub_u16_sdwa v137, v95, v132 dst_sel:BYTE_1 dst_unused:UNUSED_PAD src0_sel:BYTE_1 src1_sel:BYTE_1
	v_sub_u16_sdwa v95, v95, v132 dst_sel:DWORD dst_unused:UNUSED_PAD src0_sel:WORD_1 src1_sel:WORD_1
	v_sub_u16_sdwa v131, v131, v132 dst_sel:BYTE_1 dst_unused:UNUSED_PAD src0_sel:DWORD src1_sel:BYTE_3
	v_bitop3_b16 v134, v134, v137, s23 bitop3:0xec
	v_bitop3_b16 v95, v95, v131, s23 bitop3:0xec
	v_lshlrev_b32_e32 v95, 16, v95
	v_or_b32_sdwa v131, v134, v95 dst_sel:DWORD dst_unused:UNUSED_PAD src0_sel:WORD_0 src1_sel:DWORD
	v_ashrrev_i32_e32 v95, s17, v133
	v_ashrrev_i32_e32 v133, s3, v135
	v_lshlrev_b32_e32 v133, 2, v133
	v_bfe_u32 v132, v95, 24, 2
	v_and_b32_e32 v95, 0x3030303, v95
	v_and_b32_e32 v133, 0x4040404, v133
	v_sub_u16_e32 v134, v95, v133
	v_sub_u16_sdwa v135, v95, v133 dst_sel:BYTE_1 dst_unused:UNUSED_PAD src0_sel:BYTE_1 src1_sel:BYTE_1
	v_sub_u16_sdwa v95, v95, v133 dst_sel:DWORD dst_unused:UNUSED_PAD src0_sel:WORD_1 src1_sel:WORD_1
	v_sub_u16_sdwa v132, v132, v133 dst_sel:BYTE_1 dst_unused:UNUSED_PAD src0_sel:DWORD src1_sel:BYTE_3
	v_bitop3_b16 v134, v134, v135, s23 bitop3:0xec
	v_bitop3_b16 v95, v95, v132, s23 bitop3:0xec
	v_lshlrev_b32_e32 v95, 16, v95
	v_or_b32_sdwa v137, v134, v95 dst_sel:DWORD dst_unused:UNUSED_PAD src0_sel:WORD_0 src1_sel:DWORD
	v_add_u32_e32 v95, 0x3188, v128
	ds_read2_b32 v[132:133], v95 offset1:1
	ds_read2_b32 v[134:135], v136 offset0:2 offset1:3
	s_waitcnt lgkmcnt(1)
	v_ashrrev_i32_e32 v95, s17, v132
	s_waitcnt lgkmcnt(0)
	v_ashrrev_i32_e32 v134, s3, v134
	v_lshlrev_b32_e32 v134, 2, v134
	v_bfe_u32 v132, v95, 24, 2
	v_and_b32_e32 v95, 0x3030303, v95
	v_and_b32_e32 v134, 0x4040404, v134
	v_sub_u16_e32 v138, v95, v134
	v_sub_u16_sdwa v139, v95, v134 dst_sel:BYTE_1 dst_unused:UNUSED_PAD src0_sel:BYTE_1 src1_sel:BYTE_1
	v_sub_u16_sdwa v95, v95, v134 dst_sel:DWORD dst_unused:UNUSED_PAD src0_sel:WORD_1 src1_sel:WORD_1
	v_sub_u16_sdwa v132, v132, v134 dst_sel:BYTE_1 dst_unused:UNUSED_PAD src0_sel:DWORD src1_sel:BYTE_3
	v_bitop3_b16 v138, v138, v139, s23 bitop3:0xec
	v_bitop3_b16 v95, v95, v132, s23 bitop3:0xec
	v_lshlrev_b32_e32 v95, 16, v95
	v_or_b32_sdwa v138, v138, v95 dst_sel:DWORD dst_unused:UNUSED_PAD src0_sel:WORD_0 src1_sel:DWORD
	v_ashrrev_i32_e32 v95, s17, v133
	v_ashrrev_i32_e32 v133, s3, v135
	v_lshlrev_b32_e32 v133, 2, v133
	v_bfe_u32 v132, v95, 24, 2
	v_and_b32_e32 v95, 0x3030303, v95
	v_and_b32_e32 v133, 0x4040404, v133
	v_sub_u16_e32 v134, v95, v133
	v_sub_u16_sdwa v135, v95, v133 dst_sel:BYTE_1 dst_unused:UNUSED_PAD src0_sel:BYTE_1 src1_sel:BYTE_1
	v_sub_u16_sdwa v95, v95, v133 dst_sel:DWORD dst_unused:UNUSED_PAD src0_sel:WORD_1 src1_sel:WORD_1
	v_sub_u16_sdwa v132, v132, v133 dst_sel:BYTE_1 dst_unused:UNUSED_PAD src0_sel:DWORD src1_sel:BYTE_3
	v_bitop3_b16 v134, v134, v135, s23 bitop3:0xec
	v_bitop3_b16 v95, v95, v132, s23 bitop3:0xec
	v_lshlrev_b32_e32 v95, 16, v95
	v_or_b32_sdwa v139, v134, v95 dst_sel:DWORD dst_unused:UNUSED_PAD src0_sel:WORD_0 src1_sel:DWORD
	v_add_u32_e32 v95, 0x3190, v128
	ds_read2_b32 v[132:133], v95 offset1:1
	ds_read2_b32 v[134:135], v136 offset0:4 offset1:5
	;; [unrolled: 33-line block ×3, first 2 shown]
	s_waitcnt lgkmcnt(1)
	v_ashrrev_i32_e32 v95, s17, v132
	s_waitcnt lgkmcnt(0)
	v_ashrrev_i32_e32 v132, s3, v134
	v_lshlrev_b32_e32 v132, 2, v132
	v_bfe_u32 v128, v95, 24, 2
	v_and_b32_e32 v95, 0x3030303, v95
	v_and_b32_e32 v132, 0x4040404, v132
	v_sub_u16_e32 v134, v95, v132
	v_sub_u16_sdwa v136, v95, v132 dst_sel:BYTE_1 dst_unused:UNUSED_PAD src0_sel:BYTE_1 src1_sel:BYTE_1
	v_sub_u16_sdwa v95, v95, v132 dst_sel:DWORD dst_unused:UNUSED_PAD src0_sel:WORD_1 src1_sel:WORD_1
	v_sub_u16_sdwa v128, v128, v132 dst_sel:BYTE_1 dst_unused:UNUSED_PAD src0_sel:DWORD src1_sel:BYTE_3
	v_bitop3_b16 v134, v134, v136, s23 bitop3:0xec
	v_bitop3_b16 v95, v95, v128, s23 bitop3:0xec
	v_lshlrev_b32_e32 v95, 16, v95
	v_or_b32_sdwa v128, v134, v95 dst_sel:DWORD dst_unused:UNUSED_PAD src0_sel:WORD_0 src1_sel:DWORD
	v_ashrrev_i32_e32 v95, s17, v133
	v_ashrrev_i32_e32 v133, s3, v135
	v_lshlrev_b32_e32 v133, 2, v133
	v_bfe_u32 v132, v95, 24, 2
	v_and_b32_e32 v95, 0x3030303, v95
	v_and_b32_e32 v133, 0x4040404, v133
	v_sub_u16_e32 v134, v95, v133
	v_sub_u16_sdwa v135, v95, v133 dst_sel:BYTE_1 dst_unused:UNUSED_PAD src0_sel:BYTE_1 src1_sel:BYTE_1
	v_sub_u16_sdwa v95, v95, v133 dst_sel:DWORD dst_unused:UNUSED_PAD src0_sel:WORD_1 src1_sel:WORD_1
	v_sub_u16_sdwa v132, v132, v133 dst_sel:BYTE_1 dst_unused:UNUSED_PAD src0_sel:DWORD src1_sel:BYTE_3
	v_bitop3_b16 v134, v134, v135, s23 bitop3:0xec
	v_bitop3_b16 v95, v95, v132, s23 bitop3:0xec
	v_lshlrev_b32_e32 v95, 16, v95
	v_or_b32_sdwa v132, v134, v95 dst_sel:DWORD dst_unused:UNUSED_PAD src0_sel:WORD_0 src1_sel:DWORD
	v_mov_b32_e32 v134, 0
	v_add_u32_e32 v133, s30, v75
	v_add3_u32 v95, s29, v122, v123
	v_dot4c_i32_i8_e32 v134, v131, v6
	v_mov_b32_e32 v6, 0
	ds_read_b32 v95, v95
	v_dot4c_i32_i8_e32 v6, v140, v2
	ds_read_u16 v2, v133 offset:28418
	v_dot4c_i32_i8_e32 v134, v137, v7
	v_dot4c_i32_i8_e32 v134, v138, v8
	;; [unrolled: 1-line block ×5, first 2 shown]
	s_waitcnt lgkmcnt(0)
	v_lshrrev_b16_e32 v3, 8, v2
	v_bfe_i32 v2, v2, 0, 8
	v_dot4c_i32_i8_e32 v6, v132, v5
	v_bfe_i32 v5, v3, 0, 8
	v_mul_lo_u32 v4, v134, v2
	v_mad_u64_u32 v[2:3], s[30:31], v129, v130, v[96:97]
	v_mad_u64_u32 v[4:5], s[30:31], v6, v5, v[4:5]
	v_cvt_f32_i32_e32 v3, v4
	v_cvt_f32_i32_e32 v2, v2
	v_pk_mul_f32 v[6:7], v[92:93], v[94:95] op_sel_hi:[0,1]
	s_add_i32 s3, s3, 1
	v_add_u32_e32 v93, 4, v93
	v_pk_fma_f32 v[30:31], v[6:7], v[2:3], v[30:31]
	s_cmp_lt_u32 s16, 14
	s_mov_b32 s29, s16
	s_cbranch_scc1 .LBB229_19
; %bb.20:                               ;   in Loop: Header=BB229_5 Depth=1
	s_or_b32 s2, s27, 0x100
	s_cmp_ge_i32 s2, s15
	s_barrier
	s_cbranch_scc1 .LBB229_4
; %bb.21:                               ;   in Loop: Header=BB229_5 Depth=1
	v_add_u32_e32 v2, s28, v101
	v_cmp_gt_i32_e64 s[2:3], s5, v2
	s_and_b64 s[16:17], s[0:1], s[2:3]
	s_and_saveexec_b64 s[2:3], s[16:17]
	s_cbranch_execz .LBB229_23
; %bb.22:                               ;   in Loop: Header=BB229_5 Depth=1
	v_add_u32_e32 v2, v34, v2
	v_mad_i64_i32 v[2:3], s[16:17], v2, 36, v[36:37]
	global_load_dword v2, v[2:3], off offset:4
	s_waitcnt vmcnt(0)
	ds_write_b32 v69, v2
.LBB229_23:                             ;   in Loop: Header=BB229_5 Depth=1
	s_or_b64 exec, exec, s[2:3]
	s_and_saveexec_b64 s[16:17], vcc
	s_cbranch_execz .LBB229_26
; %bb.24:                               ;   in Loop: Header=BB229_5 Depth=1
	v_or_b32_e32 v2, 8, v90
	v_cmp_gt_i32_e64 s[2:3], s5, v2
	s_and_b64 s[2:3], s[0:1], s[2:3]
	s_and_b64 exec, exec, s[2:3]
	s_cbranch_execz .LBB229_26
; %bb.25:                               ;   in Loop: Header=BB229_5 Depth=1
	v_ashrrev_i32_e32 v91, 31, v90
	v_lshl_add_u64 v[2:3], v[34:35], 0, v[90:91]
	v_mad_u64_u32 v[4:5], s[2:3], v2, 36, s[10:11]
	v_mad_i32_i24 v5, v3, 36, v5
	global_load_dword v2, v[4:5], off offset:288
	s_waitcnt vmcnt(0)
	v_cvt_f32_f16_e32 v2, v2
	ds_write_b32 v73, v2
.LBB229_26:                             ;   in Loop: Header=BB229_5 Depth=1
	s_or_b64 exec, exec, s[16:17]
	s_mov_b32 s2, 16
	s_mov_b32 s29, 14
	;; [unrolled: 1-line block ×3, first 2 shown]
	v_mov_b32_e32 v91, v67
	v_mov_b32_e32 v93, v71
	s_waitcnt lgkmcnt(0)
	s_barrier
.LBB229_27:                             ;   Parent Loop BB229_5 Depth=1
                                        ; =>  This Inner Loop Header: Depth=2
	s_add_i32 s16, s29, 2
	s_lshr_b32 s33, s16, 4
	s_and_b32 s31, s16, 0x3ffffff8
	v_lshl_add_u32 v128, s31, 2, v104
	s_lshl_b32 s31, s33, 5
	s_addk_i32 s31, 0x4200
	v_add3_u32 v129, s31, v109, v110
	ds_read_b32 v92, v93
	ds_read_b128 v[6:9], v91
	ds_read_b128 v[2:5], v91 offset:16
	ds_read2_b32 v[94:95], v128 offset1:1
	ds_read2_b32 v[130:131], v129 offset1:1
	s_add_i32 s17, s29, -14
	s_and_b32 s30, s2, -16
	s_add_i32 s30, s29, s30
	s_waitcnt lgkmcnt(1)
	v_ashrrev_i32_e32 v94, s17, v94
	s_waitcnt lgkmcnt(0)
	v_ashrrev_i32_e32 v130, s3, v130
	v_lshlrev_b32_e32 v130, 2, v130
	v_bfe_u32 v96, v94, 24, 2
	v_and_b32_e32 v94, 0x3030303, v94
	v_and_b32_e32 v130, 0x4040404, v130
	v_sub_u16_e32 v132, v94, v130
	v_sub_u16_sdwa v133, v94, v130 dst_sel:BYTE_1 dst_unused:UNUSED_PAD src0_sel:BYTE_1 src1_sel:BYTE_1
	v_sub_u16_sdwa v94, v94, v130 dst_sel:DWORD dst_unused:UNUSED_PAD src0_sel:WORD_1 src1_sel:WORD_1
	v_sub_u16_sdwa v96, v96, v130 dst_sel:BYTE_1 dst_unused:UNUSED_PAD src0_sel:DWORD src1_sel:BYTE_3
	v_bitop3_b16 v132, v132, v133, s23 bitop3:0xec
	v_bitop3_b16 v94, v94, v96, s23 bitop3:0xec
	v_lshlrev_b32_e32 v94, 16, v94
	v_ashrrev_i32_e32 v130, s3, v131
	v_or_b32_sdwa v96, v132, v94 dst_sel:DWORD dst_unused:UNUSED_PAD src0_sel:WORD_0 src1_sel:DWORD
	v_ashrrev_i32_e32 v94, s17, v95
	v_lshlrev_b32_e32 v130, 2, v130
	v_bfe_u32 v95, v94, 24, 2
	v_and_b32_e32 v94, 0x3030303, v94
	v_and_b32_e32 v130, 0x4040404, v130
	v_sub_u16_e32 v131, v94, v130
	v_sub_u16_sdwa v132, v94, v130 dst_sel:BYTE_1 dst_unused:UNUSED_PAD src0_sel:BYTE_1 src1_sel:BYTE_1
	v_sub_u16_sdwa v94, v94, v130 dst_sel:DWORD dst_unused:UNUSED_PAD src0_sel:WORD_1 src1_sel:WORD_1
	v_sub_u16_sdwa v95, v95, v130 dst_sel:BYTE_1 dst_unused:UNUSED_PAD src0_sel:DWORD src1_sel:BYTE_3
	v_bitop3_b16 v131, v131, v132, s23 bitop3:0xec
	v_bitop3_b16 v94, v94, v95, s23 bitop3:0xec
	v_lshlrev_b32_e32 v94, 16, v94
	v_or_b32_sdwa v132, v131, v94 dst_sel:DWORD dst_unused:UNUSED_PAD src0_sel:WORD_0 src1_sel:DWORD
	ds_read2_b32 v[94:95], v128 offset0:2 offset1:3
	ds_read2_b32 v[130:131], v129 offset0:2 offset1:3
	s_lshl_b32 s29, s33, 2
	s_addk_i32 s29, 0x7380
	s_add_i32 s2, s2, 2
	s_waitcnt lgkmcnt(1)
	v_ashrrev_i32_e32 v94, s17, v94
	s_waitcnt lgkmcnt(0)
	v_ashrrev_i32_e32 v130, s3, v130
	v_lshlrev_b32_e32 v130, 2, v130
	v_bfe_u32 v133, v94, 24, 2
	v_and_b32_e32 v94, 0x3030303, v94
	v_and_b32_e32 v130, 0x4040404, v130
	v_sub_u16_e32 v134, v94, v130
	v_sub_u16_sdwa v135, v94, v130 dst_sel:BYTE_1 dst_unused:UNUSED_PAD src0_sel:BYTE_1 src1_sel:BYTE_1
	v_sub_u16_sdwa v94, v94, v130 dst_sel:DWORD dst_unused:UNUSED_PAD src0_sel:WORD_1 src1_sel:WORD_1
	v_sub_u16_sdwa v130, v133, v130 dst_sel:BYTE_1 dst_unused:UNUSED_PAD src0_sel:DWORD src1_sel:BYTE_3
	v_bitop3_b16 v134, v134, v135, s23 bitop3:0xec
	v_bitop3_b16 v94, v94, v130, s23 bitop3:0xec
	v_lshlrev_b32_e32 v94, 16, v94
	v_ashrrev_i32_e32 v130, s3, v131
	v_or_b32_sdwa v133, v134, v94 dst_sel:DWORD dst_unused:UNUSED_PAD src0_sel:WORD_0 src1_sel:DWORD
	v_ashrrev_i32_e32 v94, s17, v95
	v_lshlrev_b32_e32 v130, 2, v130
	v_bfe_u32 v95, v94, 24, 2
	v_and_b32_e32 v94, 0x3030303, v94
	v_and_b32_e32 v130, 0x4040404, v130
	v_sub_u16_e32 v131, v94, v130
	v_sub_u16_sdwa v134, v94, v130 dst_sel:BYTE_1 dst_unused:UNUSED_PAD src0_sel:BYTE_1 src1_sel:BYTE_1
	v_sub_u16_sdwa v94, v94, v130 dst_sel:DWORD dst_unused:UNUSED_PAD src0_sel:WORD_1 src1_sel:WORD_1
	v_sub_u16_sdwa v95, v95, v130 dst_sel:BYTE_1 dst_unused:UNUSED_PAD src0_sel:DWORD src1_sel:BYTE_3
	v_bitop3_b16 v131, v131, v134, s23 bitop3:0xec
	v_bitop3_b16 v94, v94, v95, s23 bitop3:0xec
	v_lshlrev_b32_e32 v94, 16, v94
	v_or_b32_sdwa v134, v131, v94 dst_sel:DWORD dst_unused:UNUSED_PAD src0_sel:WORD_0 src1_sel:DWORD
	ds_read2_b32 v[94:95], v128 offset0:4 offset1:5
	ds_read2_b32 v[130:131], v129 offset0:4 offset1:5
	v_add_u32_e32 v91, 32, v91
	s_waitcnt lgkmcnt(1)
	v_ashrrev_i32_e32 v94, s17, v94
	s_waitcnt lgkmcnt(0)
	v_ashrrev_i32_e32 v130, s3, v130
	v_lshlrev_b32_e32 v130, 2, v130
	v_bfe_u32 v135, v94, 24, 2
	v_and_b32_e32 v94, 0x3030303, v94
	v_and_b32_e32 v130, 0x4040404, v130
	v_sub_u16_e32 v136, v94, v130
	v_sub_u16_sdwa v137, v94, v130 dst_sel:BYTE_1 dst_unused:UNUSED_PAD src0_sel:BYTE_1 src1_sel:BYTE_1
	v_sub_u16_sdwa v94, v94, v130 dst_sel:DWORD dst_unused:UNUSED_PAD src0_sel:WORD_1 src1_sel:WORD_1
	v_sub_u16_sdwa v130, v135, v130 dst_sel:BYTE_1 dst_unused:UNUSED_PAD src0_sel:DWORD src1_sel:BYTE_3
	v_bitop3_b16 v136, v136, v137, s23 bitop3:0xec
	v_bitop3_b16 v94, v94, v130, s23 bitop3:0xec
	v_lshlrev_b32_e32 v94, 16, v94
	v_ashrrev_i32_e32 v130, s3, v131
	v_or_b32_sdwa v135, v136, v94 dst_sel:DWORD dst_unused:UNUSED_PAD src0_sel:WORD_0 src1_sel:DWORD
	v_ashrrev_i32_e32 v94, s17, v95
	v_lshlrev_b32_e32 v130, 2, v130
	v_bfe_u32 v95, v94, 24, 2
	v_and_b32_e32 v94, 0x3030303, v94
	v_and_b32_e32 v130, 0x4040404, v130
	v_sub_u16_e32 v131, v94, v130
	v_sub_u16_sdwa v136, v94, v130 dst_sel:BYTE_1 dst_unused:UNUSED_PAD src0_sel:BYTE_1 src1_sel:BYTE_1
	v_sub_u16_sdwa v94, v94, v130 dst_sel:DWORD dst_unused:UNUSED_PAD src0_sel:WORD_1 src1_sel:WORD_1
	v_sub_u16_sdwa v95, v95, v130 dst_sel:BYTE_1 dst_unused:UNUSED_PAD src0_sel:DWORD src1_sel:BYTE_3
	v_bitop3_b16 v131, v131, v136, s23 bitop3:0xec
	v_bitop3_b16 v94, v94, v95, s23 bitop3:0xec
	v_lshlrev_b32_e32 v94, 16, v94
	v_or_b32_sdwa v136, v131, v94 dst_sel:DWORD dst_unused:UNUSED_PAD src0_sel:WORD_0 src1_sel:DWORD
	ds_read2_b32 v[94:95], v128 offset0:6 offset1:7
	ds_read2_b32 v[130:131], v129 offset0:6 offset1:7
	s_waitcnt lgkmcnt(1)
	v_ashrrev_i32_e32 v94, s17, v94
	s_waitcnt lgkmcnt(0)
	v_ashrrev_i32_e32 v129, s3, v130
	v_lshlrev_b32_e32 v129, 2, v129
	v_bfe_u32 v137, v94, 24, 2
	v_and_b32_e32 v94, 0x3030303, v94
	v_and_b32_e32 v129, 0x4040404, v129
	v_sub_u16_e32 v130, v94, v129
	v_sub_u16_sdwa v138, v94, v129 dst_sel:BYTE_1 dst_unused:UNUSED_PAD src0_sel:BYTE_1 src1_sel:BYTE_1
	v_sub_u16_sdwa v94, v94, v129 dst_sel:DWORD dst_unused:UNUSED_PAD src0_sel:WORD_1 src1_sel:WORD_1
	v_sub_u16_sdwa v129, v137, v129 dst_sel:BYTE_1 dst_unused:UNUSED_PAD src0_sel:DWORD src1_sel:BYTE_3
	v_bitop3_b16 v130, v130, v138, s23 bitop3:0xec
	v_bitop3_b16 v94, v94, v129, s23 bitop3:0xec
	v_lshlrev_b32_e32 v94, 16, v94
	v_or_b32_sdwa v129, v130, v94 dst_sel:DWORD dst_unused:UNUSED_PAD src0_sel:WORD_0 src1_sel:DWORD
	v_ashrrev_i32_e32 v130, s3, v131
	v_ashrrev_i32_e32 v94, s17, v95
	v_lshlrev_b32_e32 v130, 2, v130
	v_bfe_u32 v95, v94, 24, 2
	v_and_b32_e32 v94, 0x3030303, v94
	v_and_b32_e32 v130, 0x4040404, v130
	v_sub_u16_e32 v131, v94, v130
	v_sub_u16_sdwa v137, v94, v130 dst_sel:BYTE_1 dst_unused:UNUSED_PAD src0_sel:BYTE_1 src1_sel:BYTE_1
	v_sub_u16_sdwa v94, v94, v130 dst_sel:DWORD dst_unused:UNUSED_PAD src0_sel:WORD_1 src1_sel:WORD_1
	v_sub_u16_sdwa v95, v95, v130 dst_sel:BYTE_1 dst_unused:UNUSED_PAD src0_sel:DWORD src1_sel:BYTE_3
	v_bitop3_b16 v131, v131, v137, s23 bitop3:0xec
	v_bitop3_b16 v94, v94, v95, s23 bitop3:0xec
	v_lshlrev_b32_e32 v94, 16, v94
	v_or_b32_sdwa v95, v131, v94 dst_sel:DWORD dst_unused:UNUSED_PAD src0_sel:WORD_0 src1_sel:DWORD
	v_mov_b32_e32 v131, 0
	v_dot4c_i32_i8_e32 v131, v96, v6
	v_dot4c_i32_i8_e32 v131, v132, v7
	v_dot4c_i32_i8_e32 v131, v133, v8
	v_dot4c_i32_i8_e32 v131, v134, v9
	v_mov_b32_e32 v134, 0
	v_dot4c_i32_i8_e32 v134, v135, v2
	v_dot4c_i32_i8_e32 v134, v136, v3
	v_add_u32_e32 v130, s30, v81
	v_dot4c_i32_i8_e32 v134, v129, v4
	v_dot4c_i32_i8_e32 v134, v95, v5
	ds_read_u16 v95, v130 offset:25330
	v_add3_u32 v94, s29, v127, v111
	v_add3_u32 v135, s31, v112, v113
	ds_read_b32 v94, v94
	ds_read2_b32 v[132:133], v135 offset1:1
	s_waitcnt lgkmcnt(2)
	v_lshrrev_b16_e32 v96, 8, v95
	v_bfe_i32 v95, v95, 0, 8
	v_bfe_i32 v129, v96, 0, 8
	v_mul_lo_u32 v96, v131, v95
	v_add_u32_e32 v95, 0x1080, v128
	ds_read2_b32 v[130:131], v95 offset1:1
	s_waitcnt lgkmcnt(1)
	v_ashrrev_i32_e32 v132, s3, v132
	v_lshlrev_b32_e32 v132, 2, v132
	v_and_b32_e32 v132, 0x4040404, v132
	s_waitcnt lgkmcnt(0)
	v_ashrrev_i32_e32 v95, s17, v130
	v_bfe_u32 v130, v95, 24, 2
	v_and_b32_e32 v95, 0x3030303, v95
	v_sub_u16_e32 v136, v95, v132
	v_sub_u16_sdwa v137, v95, v132 dst_sel:BYTE_1 dst_unused:UNUSED_PAD src0_sel:BYTE_1 src1_sel:BYTE_1
	v_sub_u16_sdwa v95, v95, v132 dst_sel:DWORD dst_unused:UNUSED_PAD src0_sel:WORD_1 src1_sel:WORD_1
	v_sub_u16_sdwa v130, v130, v132 dst_sel:BYTE_1 dst_unused:UNUSED_PAD src0_sel:DWORD src1_sel:BYTE_3
	v_bitop3_b16 v136, v136, v137, s23 bitop3:0xec
	v_bitop3_b16 v95, v95, v130, s23 bitop3:0xec
	v_lshlrev_b32_e32 v95, 16, v95
	v_or_b32_sdwa v136, v136, v95 dst_sel:DWORD dst_unused:UNUSED_PAD src0_sel:WORD_0 src1_sel:DWORD
	v_ashrrev_i32_e32 v95, s17, v131
	v_ashrrev_i32_e32 v131, s3, v133
	v_lshlrev_b32_e32 v131, 2, v131
	v_bfe_u32 v130, v95, 24, 2
	v_and_b32_e32 v95, 0x3030303, v95
	v_and_b32_e32 v131, 0x4040404, v131
	v_sub_u16_e32 v132, v95, v131
	v_sub_u16_sdwa v133, v95, v131 dst_sel:BYTE_1 dst_unused:UNUSED_PAD src0_sel:BYTE_1 src1_sel:BYTE_1
	v_sub_u16_sdwa v95, v95, v131 dst_sel:DWORD dst_unused:UNUSED_PAD src0_sel:WORD_1 src1_sel:WORD_1
	v_sub_u16_sdwa v130, v130, v131 dst_sel:BYTE_1 dst_unused:UNUSED_PAD src0_sel:DWORD src1_sel:BYTE_3
	v_bitop3_b16 v132, v132, v133, s23 bitop3:0xec
	v_bitop3_b16 v95, v95, v130, s23 bitop3:0xec
	v_lshlrev_b32_e32 v95, 16, v95
	v_or_b32_sdwa v137, v132, v95 dst_sel:DWORD dst_unused:UNUSED_PAD src0_sel:WORD_0 src1_sel:DWORD
	v_add_u32_e32 v95, 0x1088, v128
	ds_read2_b32 v[130:131], v95 offset1:1
	ds_read2_b32 v[132:133], v135 offset0:2 offset1:3
	s_waitcnt lgkmcnt(1)
	v_ashrrev_i32_e32 v95, s17, v130
	s_waitcnt lgkmcnt(0)
	v_ashrrev_i32_e32 v132, s3, v132
	v_lshlrev_b32_e32 v132, 2, v132
	v_bfe_u32 v130, v95, 24, 2
	v_and_b32_e32 v95, 0x3030303, v95
	v_and_b32_e32 v132, 0x4040404, v132
	v_sub_u16_e32 v138, v95, v132
	v_sub_u16_sdwa v139, v95, v132 dst_sel:BYTE_1 dst_unused:UNUSED_PAD src0_sel:BYTE_1 src1_sel:BYTE_1
	v_sub_u16_sdwa v95, v95, v132 dst_sel:DWORD dst_unused:UNUSED_PAD src0_sel:WORD_1 src1_sel:WORD_1
	v_sub_u16_sdwa v130, v130, v132 dst_sel:BYTE_1 dst_unused:UNUSED_PAD src0_sel:DWORD src1_sel:BYTE_3
	v_bitop3_b16 v138, v138, v139, s23 bitop3:0xec
	v_bitop3_b16 v95, v95, v130, s23 bitop3:0xec
	v_lshlrev_b32_e32 v95, 16, v95
	v_or_b32_sdwa v138, v138, v95 dst_sel:DWORD dst_unused:UNUSED_PAD src0_sel:WORD_0 src1_sel:DWORD
	v_ashrrev_i32_e32 v95, s17, v131
	v_ashrrev_i32_e32 v131, s3, v133
	v_lshlrev_b32_e32 v131, 2, v131
	v_bfe_u32 v130, v95, 24, 2
	v_and_b32_e32 v95, 0x3030303, v95
	v_and_b32_e32 v131, 0x4040404, v131
	v_sub_u16_e32 v132, v95, v131
	v_sub_u16_sdwa v133, v95, v131 dst_sel:BYTE_1 dst_unused:UNUSED_PAD src0_sel:BYTE_1 src1_sel:BYTE_1
	v_sub_u16_sdwa v95, v95, v131 dst_sel:DWORD dst_unused:UNUSED_PAD src0_sel:WORD_1 src1_sel:WORD_1
	v_sub_u16_sdwa v130, v130, v131 dst_sel:BYTE_1 dst_unused:UNUSED_PAD src0_sel:DWORD src1_sel:BYTE_3
	v_bitop3_b16 v132, v132, v133, s23 bitop3:0xec
	v_bitop3_b16 v95, v95, v130, s23 bitop3:0xec
	v_lshlrev_b32_e32 v95, 16, v95
	v_or_b32_sdwa v139, v132, v95 dst_sel:DWORD dst_unused:UNUSED_PAD src0_sel:WORD_0 src1_sel:DWORD
	v_add_u32_e32 v95, 0x1090, v128
	ds_read2_b32 v[130:131], v95 offset1:1
	ds_read2_b32 v[132:133], v135 offset0:4 offset1:5
	s_waitcnt lgkmcnt(1)
	v_ashrrev_i32_e32 v95, s17, v130
	s_waitcnt lgkmcnt(0)
	v_ashrrev_i32_e32 v132, s3, v132
	v_lshlrev_b32_e32 v132, 2, v132
	v_bfe_u32 v130, v95, 24, 2
	v_and_b32_e32 v95, 0x3030303, v95
	;; [unrolled: 33-line block ×3, first 2 shown]
	v_and_b32_e32 v132, 0x4040404, v132
	v_sub_u16_e32 v135, v95, v132
	v_sub_u16_sdwa v142, v95, v132 dst_sel:BYTE_1 dst_unused:UNUSED_PAD src0_sel:BYTE_1 src1_sel:BYTE_1
	v_sub_u16_sdwa v95, v95, v132 dst_sel:DWORD dst_unused:UNUSED_PAD src0_sel:WORD_1 src1_sel:WORD_1
	v_sub_u16_sdwa v130, v130, v132 dst_sel:BYTE_1 dst_unused:UNUSED_PAD src0_sel:DWORD src1_sel:BYTE_3
	v_bitop3_b16 v135, v135, v142, s23 bitop3:0xec
	v_bitop3_b16 v95, v95, v130, s23 bitop3:0xec
	v_lshlrev_b32_e32 v95, 16, v95
	v_or_b32_sdwa v132, v135, v95 dst_sel:DWORD dst_unused:UNUSED_PAD src0_sel:WORD_0 src1_sel:DWORD
	v_ashrrev_i32_e32 v95, s17, v131
	v_ashrrev_i32_e32 v131, s3, v133
	v_lshlrev_b32_e32 v131, 2, v131
	v_bfe_u32 v130, v95, 24, 2
	v_and_b32_e32 v95, 0x3030303, v95
	v_and_b32_e32 v131, 0x4040404, v131
	v_sub_u16_e32 v133, v95, v131
	v_sub_u16_sdwa v135, v95, v131 dst_sel:BYTE_1 dst_unused:UNUSED_PAD src0_sel:BYTE_1 src1_sel:BYTE_1
	v_sub_u16_sdwa v95, v95, v131 dst_sel:DWORD dst_unused:UNUSED_PAD src0_sel:WORD_1 src1_sel:WORD_1
	v_sub_u16_sdwa v130, v130, v131 dst_sel:BYTE_1 dst_unused:UNUSED_PAD src0_sel:DWORD src1_sel:BYTE_3
	v_bitop3_b16 v133, v133, v135, s23 bitop3:0xec
	v_bitop3_b16 v95, v95, v130, s23 bitop3:0xec
	v_lshlrev_b32_e32 v95, 16, v95
	v_or_b32_sdwa v131, v133, v95 dst_sel:DWORD dst_unused:UNUSED_PAD src0_sel:WORD_0 src1_sel:DWORD
	v_add_u32_e32 v130, s30, v79
	v_add3_u32 v95, s29, v114, v115
	ds_read_b32 v95, v95
	ds_read_u16 v130, v130 offset:26354
	v_mov_b32_e32 v133, 0
	v_dot4c_i32_i8_e32 v133, v136, v6
	v_mov_b32_e32 v136, 0
	v_dot4c_i32_i8_e32 v133, v137, v7
	v_dot4c_i32_i8_e32 v136, v140, v2
	;; [unrolled: 1-line block ×5, first 2 shown]
	s_waitcnt lgkmcnt(0)
	v_lshrrev_b16_e32 v135, 8, v130
	v_bfe_i32 v130, v130, 0, 8
	v_dot4c_i32_i8_e32 v136, v132, v4
	v_mul_lo_u32 v130, v133, v130
	v_dot4c_i32_i8_e32 v136, v131, v5
	v_bfe_i32 v131, v135, 0, 8
	v_mad_u64_u32 v[132:133], s[34:35], v134, v129, v[96:97]
	s_nop 0
	v_mad_u64_u32 v[130:131], s[34:35], v136, v131, v[130:131]
	v_cvt_f32_i32_e32 v131, v130
	v_cvt_f32_i32_e32 v130, v132
	v_pk_mul_f32 v[94:95], v[92:93], v[94:95] op_sel_hi:[0,1]
	v_add3_u32 v129, s31, v116, v117
	v_pk_fma_f32 v[32:33], v[94:95], v[130:131], v[32:33]
	v_add_u32_e32 v94, 0x2100, v128
	ds_read2_b32 v[94:95], v94 offset1:1
	ds_read2_b32 v[130:131], v129 offset1:1
	s_waitcnt lgkmcnt(1)
	v_ashrrev_i32_e32 v94, s17, v94
	s_waitcnt lgkmcnt(0)
	v_ashrrev_i32_e32 v130, s3, v130
	v_lshlrev_b32_e32 v130, 2, v130
	v_bfe_u32 v96, v94, 24, 2
	v_and_b32_e32 v94, 0x3030303, v94
	v_and_b32_e32 v130, 0x4040404, v130
	v_sub_u16_e32 v132, v94, v130
	v_sub_u16_sdwa v133, v94, v130 dst_sel:BYTE_1 dst_unused:UNUSED_PAD src0_sel:BYTE_1 src1_sel:BYTE_1
	v_sub_u16_sdwa v94, v94, v130 dst_sel:DWORD dst_unused:UNUSED_PAD src0_sel:WORD_1 src1_sel:WORD_1
	v_sub_u16_sdwa v96, v96, v130 dst_sel:BYTE_1 dst_unused:UNUSED_PAD src0_sel:DWORD src1_sel:BYTE_3
	v_bitop3_b16 v132, v132, v133, s23 bitop3:0xec
	v_bitop3_b16 v94, v94, v96, s23 bitop3:0xec
	v_lshlrev_b32_e32 v94, 16, v94
	v_ashrrev_i32_e32 v130, s3, v131
	v_or_b32_sdwa v96, v132, v94 dst_sel:DWORD dst_unused:UNUSED_PAD src0_sel:WORD_0 src1_sel:DWORD
	v_ashrrev_i32_e32 v94, s17, v95
	v_lshlrev_b32_e32 v130, 2, v130
	v_bfe_u32 v95, v94, 24, 2
	v_and_b32_e32 v94, 0x3030303, v94
	v_and_b32_e32 v130, 0x4040404, v130
	v_sub_u16_e32 v131, v94, v130
	v_sub_u16_sdwa v132, v94, v130 dst_sel:BYTE_1 dst_unused:UNUSED_PAD src0_sel:BYTE_1 src1_sel:BYTE_1
	v_sub_u16_sdwa v94, v94, v130 dst_sel:DWORD dst_unused:UNUSED_PAD src0_sel:WORD_1 src1_sel:WORD_1
	v_sub_u16_sdwa v95, v95, v130 dst_sel:BYTE_1 dst_unused:UNUSED_PAD src0_sel:DWORD src1_sel:BYTE_3
	v_bitop3_b16 v131, v131, v132, s23 bitop3:0xec
	v_bitop3_b16 v94, v94, v95, s23 bitop3:0xec
	v_lshlrev_b32_e32 v94, 16, v94
	v_or_b32_sdwa v132, v131, v94 dst_sel:DWORD dst_unused:UNUSED_PAD src0_sel:WORD_0 src1_sel:DWORD
	v_add_u32_e32 v94, 0x2108, v128
	ds_read2_b32 v[94:95], v94 offset1:1
	ds_read2_b32 v[130:131], v129 offset0:2 offset1:3
	s_waitcnt lgkmcnt(1)
	v_ashrrev_i32_e32 v94, s17, v94
	s_waitcnt lgkmcnt(0)
	v_ashrrev_i32_e32 v130, s3, v130
	v_lshlrev_b32_e32 v130, 2, v130
	v_bfe_u32 v133, v94, 24, 2
	v_and_b32_e32 v94, 0x3030303, v94
	v_and_b32_e32 v130, 0x4040404, v130
	v_sub_u16_e32 v134, v94, v130
	v_sub_u16_sdwa v135, v94, v130 dst_sel:BYTE_1 dst_unused:UNUSED_PAD src0_sel:BYTE_1 src1_sel:BYTE_1
	v_sub_u16_sdwa v94, v94, v130 dst_sel:DWORD dst_unused:UNUSED_PAD src0_sel:WORD_1 src1_sel:WORD_1
	v_sub_u16_sdwa v130, v133, v130 dst_sel:BYTE_1 dst_unused:UNUSED_PAD src0_sel:DWORD src1_sel:BYTE_3
	v_bitop3_b16 v134, v134, v135, s23 bitop3:0xec
	v_bitop3_b16 v94, v94, v130, s23 bitop3:0xec
	v_lshlrev_b32_e32 v94, 16, v94
	v_ashrrev_i32_e32 v130, s3, v131
	v_or_b32_sdwa v133, v134, v94 dst_sel:DWORD dst_unused:UNUSED_PAD src0_sel:WORD_0 src1_sel:DWORD
	v_ashrrev_i32_e32 v94, s17, v95
	v_lshlrev_b32_e32 v130, 2, v130
	v_bfe_u32 v95, v94, 24, 2
	v_and_b32_e32 v94, 0x3030303, v94
	v_and_b32_e32 v130, 0x4040404, v130
	v_sub_u16_e32 v131, v94, v130
	v_sub_u16_sdwa v134, v94, v130 dst_sel:BYTE_1 dst_unused:UNUSED_PAD src0_sel:BYTE_1 src1_sel:BYTE_1
	v_sub_u16_sdwa v94, v94, v130 dst_sel:DWORD dst_unused:UNUSED_PAD src0_sel:WORD_1 src1_sel:WORD_1
	v_sub_u16_sdwa v95, v95, v130 dst_sel:BYTE_1 dst_unused:UNUSED_PAD src0_sel:DWORD src1_sel:BYTE_3
	v_bitop3_b16 v131, v131, v134, s23 bitop3:0xec
	v_bitop3_b16 v94, v94, v95, s23 bitop3:0xec
	v_lshlrev_b32_e32 v94, 16, v94
	v_or_b32_sdwa v134, v131, v94 dst_sel:DWORD dst_unused:UNUSED_PAD src0_sel:WORD_0 src1_sel:DWORD
	v_add_u32_e32 v94, 0x2110, v128
	ds_read2_b32 v[94:95], v94 offset1:1
	ds_read2_b32 v[130:131], v129 offset0:4 offset1:5
	;; [unrolled: 33-line block ×3, first 2 shown]
	s_waitcnt lgkmcnt(1)
	v_ashrrev_i32_e32 v94, s17, v94
	s_waitcnt lgkmcnt(0)
	v_ashrrev_i32_e32 v129, s3, v130
	v_lshlrev_b32_e32 v129, 2, v129
	v_bfe_u32 v137, v94, 24, 2
	v_and_b32_e32 v94, 0x3030303, v94
	v_and_b32_e32 v129, 0x4040404, v129
	v_sub_u16_e32 v130, v94, v129
	v_sub_u16_sdwa v138, v94, v129 dst_sel:BYTE_1 dst_unused:UNUSED_PAD src0_sel:BYTE_1 src1_sel:BYTE_1
	v_sub_u16_sdwa v94, v94, v129 dst_sel:DWORD dst_unused:UNUSED_PAD src0_sel:WORD_1 src1_sel:WORD_1
	v_sub_u16_sdwa v129, v137, v129 dst_sel:BYTE_1 dst_unused:UNUSED_PAD src0_sel:DWORD src1_sel:BYTE_3
	v_bitop3_b16 v130, v130, v138, s23 bitop3:0xec
	v_bitop3_b16 v94, v94, v129, s23 bitop3:0xec
	v_lshlrev_b32_e32 v94, 16, v94
	v_ashrrev_i32_e32 v129, s3, v131
	v_or_b32_sdwa v130, v130, v94 dst_sel:DWORD dst_unused:UNUSED_PAD src0_sel:WORD_0 src1_sel:DWORD
	v_ashrrev_i32_e32 v94, s17, v95
	v_lshlrev_b32_e32 v129, 2, v129
	v_bfe_u32 v95, v94, 24, 2
	v_and_b32_e32 v94, 0x3030303, v94
	v_and_b32_e32 v129, 0x4040404, v129
	v_sub_u16_e32 v131, v94, v129
	v_sub_u16_sdwa v137, v94, v129 dst_sel:BYTE_1 dst_unused:UNUSED_PAD src0_sel:BYTE_1 src1_sel:BYTE_1
	v_sub_u16_sdwa v94, v94, v129 dst_sel:DWORD dst_unused:UNUSED_PAD src0_sel:WORD_1 src1_sel:WORD_1
	v_sub_u16_sdwa v95, v95, v129 dst_sel:BYTE_1 dst_unused:UNUSED_PAD src0_sel:DWORD src1_sel:BYTE_3
	v_mov_b32_e32 v129, 0
	v_bitop3_b16 v94, v94, v95, s23 bitop3:0xec
	v_dot4c_i32_i8_e32 v129, v135, v2
	v_bitop3_b16 v131, v131, v137, s23 bitop3:0xec
	v_lshlrev_b32_e32 v94, 16, v94
	v_dot4c_i32_i8_e32 v129, v136, v3
	v_or_b32_sdwa v95, v131, v94 dst_sel:DWORD dst_unused:UNUSED_PAD src0_sel:WORD_0 src1_sel:DWORD
	v_add_u32_e32 v131, s30, v77
	v_dot4c_i32_i8_e32 v129, v130, v4
	v_dot4c_i32_i8_e32 v129, v95, v5
	ds_read_u16 v95, v131 offset:27378
	v_mov_b32_e32 v137, 0
	v_dot4c_i32_i8_e32 v137, v96, v6
	v_dot4c_i32_i8_e32 v137, v132, v7
	;; [unrolled: 1-line block ×4, first 2 shown]
	s_waitcnt lgkmcnt(0)
	v_lshrrev_b16_e32 v96, 8, v95
	v_bfe_i32 v95, v95, 0, 8
	v_add3_u32 v94, s29, v118, v119
	v_bfe_i32 v130, v96, 0, 8
	v_mul_lo_u32 v96, v137, v95
	v_add_u32_e32 v95, 0x3180, v128
	v_add3_u32 v136, s31, v120, v121
	ds_read_b32 v94, v94
	ds_read2_b32 v[132:133], v95 offset1:1
	ds_read2_b32 v[134:135], v136 offset1:1
	s_waitcnt lgkmcnt(1)
	v_ashrrev_i32_e32 v95, s17, v132
	s_waitcnt lgkmcnt(0)
	v_ashrrev_i32_e32 v132, s3, v134
	v_lshlrev_b32_e32 v132, 2, v132
	v_bfe_u32 v131, v95, 24, 2
	v_and_b32_e32 v95, 0x3030303, v95
	v_and_b32_e32 v132, 0x4040404, v132
	v_sub_u16_e32 v134, v95, v132
	v_sub_u16_sdwa v137, v95, v132 dst_sel:BYTE_1 dst_unused:UNUSED_PAD src0_sel:BYTE_1 src1_sel:BYTE_1
	v_sub_u16_sdwa v95, v95, v132 dst_sel:DWORD dst_unused:UNUSED_PAD src0_sel:WORD_1 src1_sel:WORD_1
	v_sub_u16_sdwa v131, v131, v132 dst_sel:BYTE_1 dst_unused:UNUSED_PAD src0_sel:DWORD src1_sel:BYTE_3
	v_bitop3_b16 v134, v134, v137, s23 bitop3:0xec
	v_bitop3_b16 v95, v95, v131, s23 bitop3:0xec
	v_lshlrev_b32_e32 v95, 16, v95
	v_or_b32_sdwa v131, v134, v95 dst_sel:DWORD dst_unused:UNUSED_PAD src0_sel:WORD_0 src1_sel:DWORD
	v_ashrrev_i32_e32 v95, s17, v133
	v_ashrrev_i32_e32 v133, s3, v135
	v_lshlrev_b32_e32 v133, 2, v133
	v_bfe_u32 v132, v95, 24, 2
	v_and_b32_e32 v95, 0x3030303, v95
	v_and_b32_e32 v133, 0x4040404, v133
	v_sub_u16_e32 v134, v95, v133
	v_sub_u16_sdwa v135, v95, v133 dst_sel:BYTE_1 dst_unused:UNUSED_PAD src0_sel:BYTE_1 src1_sel:BYTE_1
	v_sub_u16_sdwa v95, v95, v133 dst_sel:DWORD dst_unused:UNUSED_PAD src0_sel:WORD_1 src1_sel:WORD_1
	v_sub_u16_sdwa v132, v132, v133 dst_sel:BYTE_1 dst_unused:UNUSED_PAD src0_sel:DWORD src1_sel:BYTE_3
	v_bitop3_b16 v134, v134, v135, s23 bitop3:0xec
	v_bitop3_b16 v95, v95, v132, s23 bitop3:0xec
	v_lshlrev_b32_e32 v95, 16, v95
	v_or_b32_sdwa v137, v134, v95 dst_sel:DWORD dst_unused:UNUSED_PAD src0_sel:WORD_0 src1_sel:DWORD
	v_add_u32_e32 v95, 0x3188, v128
	ds_read2_b32 v[132:133], v95 offset1:1
	ds_read2_b32 v[134:135], v136 offset0:2 offset1:3
	s_waitcnt lgkmcnt(1)
	v_ashrrev_i32_e32 v95, s17, v132
	s_waitcnt lgkmcnt(0)
	v_ashrrev_i32_e32 v134, s3, v134
	v_lshlrev_b32_e32 v134, 2, v134
	v_bfe_u32 v132, v95, 24, 2
	v_and_b32_e32 v95, 0x3030303, v95
	v_and_b32_e32 v134, 0x4040404, v134
	v_sub_u16_e32 v138, v95, v134
	v_sub_u16_sdwa v139, v95, v134 dst_sel:BYTE_1 dst_unused:UNUSED_PAD src0_sel:BYTE_1 src1_sel:BYTE_1
	v_sub_u16_sdwa v95, v95, v134 dst_sel:DWORD dst_unused:UNUSED_PAD src0_sel:WORD_1 src1_sel:WORD_1
	v_sub_u16_sdwa v132, v132, v134 dst_sel:BYTE_1 dst_unused:UNUSED_PAD src0_sel:DWORD src1_sel:BYTE_3
	v_bitop3_b16 v138, v138, v139, s23 bitop3:0xec
	v_bitop3_b16 v95, v95, v132, s23 bitop3:0xec
	v_lshlrev_b32_e32 v95, 16, v95
	v_or_b32_sdwa v138, v138, v95 dst_sel:DWORD dst_unused:UNUSED_PAD src0_sel:WORD_0 src1_sel:DWORD
	v_ashrrev_i32_e32 v95, s17, v133
	v_ashrrev_i32_e32 v133, s3, v135
	v_lshlrev_b32_e32 v133, 2, v133
	v_bfe_u32 v132, v95, 24, 2
	v_and_b32_e32 v95, 0x3030303, v95
	v_and_b32_e32 v133, 0x4040404, v133
	v_sub_u16_e32 v134, v95, v133
	v_sub_u16_sdwa v135, v95, v133 dst_sel:BYTE_1 dst_unused:UNUSED_PAD src0_sel:BYTE_1 src1_sel:BYTE_1
	v_sub_u16_sdwa v95, v95, v133 dst_sel:DWORD dst_unused:UNUSED_PAD src0_sel:WORD_1 src1_sel:WORD_1
	v_sub_u16_sdwa v132, v132, v133 dst_sel:BYTE_1 dst_unused:UNUSED_PAD src0_sel:DWORD src1_sel:BYTE_3
	v_bitop3_b16 v134, v134, v135, s23 bitop3:0xec
	v_bitop3_b16 v95, v95, v132, s23 bitop3:0xec
	v_lshlrev_b32_e32 v95, 16, v95
	v_or_b32_sdwa v139, v134, v95 dst_sel:DWORD dst_unused:UNUSED_PAD src0_sel:WORD_0 src1_sel:DWORD
	v_add_u32_e32 v95, 0x3190, v128
	ds_read2_b32 v[132:133], v95 offset1:1
	ds_read2_b32 v[134:135], v136 offset0:4 offset1:5
	;; [unrolled: 33-line block ×3, first 2 shown]
	s_waitcnt lgkmcnt(1)
	v_ashrrev_i32_e32 v95, s17, v132
	s_waitcnt lgkmcnt(0)
	v_ashrrev_i32_e32 v132, s3, v134
	v_lshlrev_b32_e32 v132, 2, v132
	v_bfe_u32 v128, v95, 24, 2
	v_and_b32_e32 v95, 0x3030303, v95
	v_and_b32_e32 v132, 0x4040404, v132
	v_sub_u16_e32 v134, v95, v132
	v_sub_u16_sdwa v136, v95, v132 dst_sel:BYTE_1 dst_unused:UNUSED_PAD src0_sel:BYTE_1 src1_sel:BYTE_1
	v_sub_u16_sdwa v95, v95, v132 dst_sel:DWORD dst_unused:UNUSED_PAD src0_sel:WORD_1 src1_sel:WORD_1
	v_sub_u16_sdwa v128, v128, v132 dst_sel:BYTE_1 dst_unused:UNUSED_PAD src0_sel:DWORD src1_sel:BYTE_3
	v_bitop3_b16 v134, v134, v136, s23 bitop3:0xec
	v_bitop3_b16 v95, v95, v128, s23 bitop3:0xec
	v_lshlrev_b32_e32 v95, 16, v95
	v_or_b32_sdwa v128, v134, v95 dst_sel:DWORD dst_unused:UNUSED_PAD src0_sel:WORD_0 src1_sel:DWORD
	v_ashrrev_i32_e32 v95, s17, v133
	v_ashrrev_i32_e32 v133, s3, v135
	v_lshlrev_b32_e32 v133, 2, v133
	v_bfe_u32 v132, v95, 24, 2
	v_and_b32_e32 v95, 0x3030303, v95
	v_and_b32_e32 v133, 0x4040404, v133
	v_sub_u16_e32 v134, v95, v133
	v_sub_u16_sdwa v135, v95, v133 dst_sel:BYTE_1 dst_unused:UNUSED_PAD src0_sel:BYTE_1 src1_sel:BYTE_1
	v_sub_u16_sdwa v95, v95, v133 dst_sel:DWORD dst_unused:UNUSED_PAD src0_sel:WORD_1 src1_sel:WORD_1
	v_sub_u16_sdwa v132, v132, v133 dst_sel:BYTE_1 dst_unused:UNUSED_PAD src0_sel:DWORD src1_sel:BYTE_3
	v_bitop3_b16 v134, v134, v135, s23 bitop3:0xec
	v_bitop3_b16 v95, v95, v132, s23 bitop3:0xec
	v_lshlrev_b32_e32 v95, 16, v95
	v_or_b32_sdwa v132, v134, v95 dst_sel:DWORD dst_unused:UNUSED_PAD src0_sel:WORD_0 src1_sel:DWORD
	v_mov_b32_e32 v134, 0
	v_add_u32_e32 v133, s30, v75
	v_add3_u32 v95, s29, v122, v123
	v_dot4c_i32_i8_e32 v134, v131, v6
	v_mov_b32_e32 v6, 0
	ds_read_b32 v95, v95
	v_dot4c_i32_i8_e32 v6, v140, v2
	ds_read_u16 v2, v133 offset:28402
	v_dot4c_i32_i8_e32 v134, v137, v7
	v_dot4c_i32_i8_e32 v134, v138, v8
	;; [unrolled: 1-line block ×5, first 2 shown]
	s_waitcnt lgkmcnt(0)
	v_lshrrev_b16_e32 v3, 8, v2
	v_bfe_i32 v2, v2, 0, 8
	v_dot4c_i32_i8_e32 v6, v132, v5
	v_bfe_i32 v5, v3, 0, 8
	v_mul_lo_u32 v4, v134, v2
	v_mad_u64_u32 v[2:3], s[30:31], v129, v130, v[96:97]
	v_mad_u64_u32 v[4:5], s[30:31], v6, v5, v[4:5]
	v_cvt_f32_i32_e32 v3, v4
	v_cvt_f32_i32_e32 v2, v2
	v_pk_mul_f32 v[6:7], v[92:93], v[94:95] op_sel_hi:[0,1]
	s_add_i32 s3, s3, 1
	v_add_u32_e32 v93, 4, v93
	v_pk_fma_f32 v[30:31], v[6:7], v[2:3], v[30:31]
	s_cmp_lt_u32 s16, 22
	s_mov_b32 s29, s16
	s_cbranch_scc1 .LBB229_27
; %bb.28:                               ;   in Loop: Header=BB229_5 Depth=1
	s_or_b32 s2, s27, 0x180
	s_cmp_ge_i32 s2, s15
	s_barrier
	s_cbranch_scc1 .LBB229_4
; %bb.29:                               ;   in Loop: Header=BB229_5 Depth=1
	v_add_u32_e32 v2, s28, v102
	v_cmp_gt_i32_e64 s[2:3], s5, v2
	s_and_b64 s[16:17], s[0:1], s[2:3]
	s_and_saveexec_b64 s[2:3], s[16:17]
	s_cbranch_execz .LBB229_31
; %bb.30:                               ;   in Loop: Header=BB229_5 Depth=1
	v_add_u32_e32 v2, v34, v2
	v_mad_i64_i32 v[2:3], s[16:17], v2, 36, v[36:37]
	global_load_dword v2, v[2:3], off offset:4
	s_waitcnt vmcnt(0)
	ds_write_b32 v69, v2
.LBB229_31:                             ;   in Loop: Header=BB229_5 Depth=1
	s_or_b64 exec, exec, s[2:3]
	s_and_saveexec_b64 s[16:17], vcc
	s_cbranch_execz .LBB229_34
; %bb.32:                               ;   in Loop: Header=BB229_5 Depth=1
	v_or_b32_e32 v2, 12, v90
	v_cmp_gt_i32_e64 s[2:3], s5, v2
	s_and_b64 s[2:3], s[0:1], s[2:3]
	s_and_b64 exec, exec, s[2:3]
	s_cbranch_execz .LBB229_34
; %bb.33:                               ;   in Loop: Header=BB229_5 Depth=1
	v_ashrrev_i32_e32 v91, 31, v90
	v_lshl_add_u64 v[2:3], v[34:35], 0, v[90:91]
	v_mad_u64_u32 v[4:5], s[2:3], v2, 36, s[10:11]
	v_mad_i32_i24 v5, v3, 36, v5
	global_load_dword v2, v[4:5], off offset:432
	s_waitcnt vmcnt(0)
	v_cvt_f32_f16_e32 v2, v2
	ds_write_b32 v73, v2
.LBB229_34:                             ;   in Loop: Header=BB229_5 Depth=1
	s_or_b64 exec, exec, s[16:17]
	s_mov_b32 s2, 24
	s_mov_b32 s27, 22
	;; [unrolled: 1-line block ×3, first 2 shown]
	v_mov_b32_e32 v91, v67
	v_mov_b32_e32 v95, v71
	s_waitcnt lgkmcnt(0)
	s_barrier
.LBB229_35:                             ;   Parent Loop BB229_5 Depth=1
                                        ; =>  This Inner Loop Header: Depth=2
	s_add_i32 s16, s27, 2
	s_lshr_b32 s30, s16, 4
	s_and_b32 s29, s16, 0x3ffffff8
	v_lshl_add_u32 v96, s29, 2, v104
	s_lshl_b32 s29, s30, 5
	s_addk_i32 s29, 0x4200
	v_add3_u32 v130, s29, v109, v110
	ds_read_b32 v90, v95
	ds_read_b128 v[6:9], v91
	ds_read_b128 v[2:5], v91 offset:16
	ds_read2_b32 v[92:93], v96 offset1:1
	ds_read2_b32 v[128:129], v130 offset1:1
	s_sub_i32 s17, s27, 22
	s_and_b32 s28, s2, -16
	s_add_i32 s28, s27, s28
	s_waitcnt lgkmcnt(1)
	v_ashrrev_i32_e32 v92, s17, v92
	s_waitcnt lgkmcnt(0)
	v_ashrrev_i32_e32 v128, s3, v128
	v_lshlrev_b32_e32 v128, 2, v128
	v_bfe_u32 v94, v92, 24, 2
	v_and_b32_e32 v92, 0x3030303, v92
	v_and_b32_e32 v128, 0x4040404, v128
	v_sub_u16_e32 v131, v92, v128
	v_sub_u16_sdwa v132, v92, v128 dst_sel:BYTE_1 dst_unused:UNUSED_PAD src0_sel:BYTE_1 src1_sel:BYTE_1
	v_sub_u16_sdwa v92, v92, v128 dst_sel:DWORD dst_unused:UNUSED_PAD src0_sel:WORD_1 src1_sel:WORD_1
	v_sub_u16_sdwa v94, v94, v128 dst_sel:BYTE_1 dst_unused:UNUSED_PAD src0_sel:DWORD src1_sel:BYTE_3
	v_bitop3_b16 v131, v131, v132, s23 bitop3:0xec
	v_bitop3_b16 v92, v92, v94, s23 bitop3:0xec
	v_lshlrev_b32_e32 v92, 16, v92
	v_ashrrev_i32_e32 v128, s3, v129
	v_or_b32_sdwa v94, v131, v92 dst_sel:DWORD dst_unused:UNUSED_PAD src0_sel:WORD_0 src1_sel:DWORD
	v_ashrrev_i32_e32 v92, s17, v93
	v_lshlrev_b32_e32 v128, 2, v128
	v_bfe_u32 v93, v92, 24, 2
	v_and_b32_e32 v92, 0x3030303, v92
	v_and_b32_e32 v128, 0x4040404, v128
	v_sub_u16_e32 v129, v92, v128
	v_sub_u16_sdwa v131, v92, v128 dst_sel:BYTE_1 dst_unused:UNUSED_PAD src0_sel:BYTE_1 src1_sel:BYTE_1
	v_sub_u16_sdwa v92, v92, v128 dst_sel:DWORD dst_unused:UNUSED_PAD src0_sel:WORD_1 src1_sel:WORD_1
	v_sub_u16_sdwa v93, v93, v128 dst_sel:BYTE_1 dst_unused:UNUSED_PAD src0_sel:DWORD src1_sel:BYTE_3
	v_bitop3_b16 v129, v129, v131, s23 bitop3:0xec
	v_bitop3_b16 v92, v92, v93, s23 bitop3:0xec
	v_lshlrev_b32_e32 v92, 16, v92
	v_or_b32_sdwa v131, v129, v92 dst_sel:DWORD dst_unused:UNUSED_PAD src0_sel:WORD_0 src1_sel:DWORD
	ds_read2_b32 v[92:93], v96 offset0:2 offset1:3
	ds_read2_b32 v[128:129], v130 offset0:2 offset1:3
	s_lshl_b32 s27, s30, 2
	s_addk_i32 s27, 0x7380
	s_add_i32 s2, s2, 2
	s_waitcnt lgkmcnt(1)
	v_ashrrev_i32_e32 v92, s17, v92
	s_waitcnt lgkmcnt(0)
	v_ashrrev_i32_e32 v128, s3, v128
	v_lshlrev_b32_e32 v128, 2, v128
	v_bfe_u32 v132, v92, 24, 2
	v_and_b32_e32 v92, 0x3030303, v92
	v_and_b32_e32 v128, 0x4040404, v128
	v_sub_u16_e32 v133, v92, v128
	v_sub_u16_sdwa v134, v92, v128 dst_sel:BYTE_1 dst_unused:UNUSED_PAD src0_sel:BYTE_1 src1_sel:BYTE_1
	v_sub_u16_sdwa v92, v92, v128 dst_sel:DWORD dst_unused:UNUSED_PAD src0_sel:WORD_1 src1_sel:WORD_1
	v_sub_u16_sdwa v128, v132, v128 dst_sel:BYTE_1 dst_unused:UNUSED_PAD src0_sel:DWORD src1_sel:BYTE_3
	v_bitop3_b16 v133, v133, v134, s23 bitop3:0xec
	v_bitop3_b16 v92, v92, v128, s23 bitop3:0xec
	v_lshlrev_b32_e32 v92, 16, v92
	v_ashrrev_i32_e32 v128, s3, v129
	v_or_b32_sdwa v132, v133, v92 dst_sel:DWORD dst_unused:UNUSED_PAD src0_sel:WORD_0 src1_sel:DWORD
	v_ashrrev_i32_e32 v92, s17, v93
	v_lshlrev_b32_e32 v128, 2, v128
	v_bfe_u32 v93, v92, 24, 2
	v_and_b32_e32 v92, 0x3030303, v92
	v_and_b32_e32 v128, 0x4040404, v128
	v_sub_u16_e32 v129, v92, v128
	v_sub_u16_sdwa v133, v92, v128 dst_sel:BYTE_1 dst_unused:UNUSED_PAD src0_sel:BYTE_1 src1_sel:BYTE_1
	v_sub_u16_sdwa v92, v92, v128 dst_sel:DWORD dst_unused:UNUSED_PAD src0_sel:WORD_1 src1_sel:WORD_1
	v_sub_u16_sdwa v93, v93, v128 dst_sel:BYTE_1 dst_unused:UNUSED_PAD src0_sel:DWORD src1_sel:BYTE_3
	v_bitop3_b16 v129, v129, v133, s23 bitop3:0xec
	v_bitop3_b16 v92, v92, v93, s23 bitop3:0xec
	v_lshlrev_b32_e32 v92, 16, v92
	v_or_b32_sdwa v133, v129, v92 dst_sel:DWORD dst_unused:UNUSED_PAD src0_sel:WORD_0 src1_sel:DWORD
	ds_read2_b32 v[92:93], v96 offset0:4 offset1:5
	ds_read2_b32 v[128:129], v130 offset0:4 offset1:5
	s_waitcnt lgkmcnt(1)
	v_ashrrev_i32_e32 v92, s17, v92
	s_waitcnt lgkmcnt(0)
	v_ashrrev_i32_e32 v128, s3, v128
	v_lshlrev_b32_e32 v128, 2, v128
	v_bfe_u32 v134, v92, 24, 2
	v_and_b32_e32 v92, 0x3030303, v92
	v_and_b32_e32 v128, 0x4040404, v128
	v_sub_u16_e32 v135, v92, v128
	v_sub_u16_sdwa v136, v92, v128 dst_sel:BYTE_1 dst_unused:UNUSED_PAD src0_sel:BYTE_1 src1_sel:BYTE_1
	v_sub_u16_sdwa v92, v92, v128 dst_sel:DWORD dst_unused:UNUSED_PAD src0_sel:WORD_1 src1_sel:WORD_1
	v_sub_u16_sdwa v128, v134, v128 dst_sel:BYTE_1 dst_unused:UNUSED_PAD src0_sel:DWORD src1_sel:BYTE_3
	v_bitop3_b16 v135, v135, v136, s23 bitop3:0xec
	v_bitop3_b16 v92, v92, v128, s23 bitop3:0xec
	v_lshlrev_b32_e32 v92, 16, v92
	v_ashrrev_i32_e32 v128, s3, v129
	v_or_b32_sdwa v134, v135, v92 dst_sel:DWORD dst_unused:UNUSED_PAD src0_sel:WORD_0 src1_sel:DWORD
	v_ashrrev_i32_e32 v92, s17, v93
	v_lshlrev_b32_e32 v128, 2, v128
	v_bfe_u32 v93, v92, 24, 2
	v_and_b32_e32 v92, 0x3030303, v92
	v_and_b32_e32 v128, 0x4040404, v128
	v_sub_u16_e32 v129, v92, v128
	v_sub_u16_sdwa v135, v92, v128 dst_sel:BYTE_1 dst_unused:UNUSED_PAD src0_sel:BYTE_1 src1_sel:BYTE_1
	v_sub_u16_sdwa v92, v92, v128 dst_sel:DWORD dst_unused:UNUSED_PAD src0_sel:WORD_1 src1_sel:WORD_1
	v_sub_u16_sdwa v93, v93, v128 dst_sel:BYTE_1 dst_unused:UNUSED_PAD src0_sel:DWORD src1_sel:BYTE_3
	v_bitop3_b16 v129, v129, v135, s23 bitop3:0xec
	v_bitop3_b16 v92, v92, v93, s23 bitop3:0xec
	v_lshlrev_b32_e32 v92, 16, v92
	v_or_b32_sdwa v135, v129, v92 dst_sel:DWORD dst_unused:UNUSED_PAD src0_sel:WORD_0 src1_sel:DWORD
	ds_read2_b32 v[92:93], v96 offset0:6 offset1:7
	ds_read2_b32 v[128:129], v130 offset0:6 offset1:7
	s_waitcnt lgkmcnt(1)
	v_ashrrev_i32_e32 v92, s17, v92
	s_waitcnt lgkmcnt(0)
	v_ashrrev_i32_e32 v128, s3, v128
	v_lshlrev_b32_e32 v128, 2, v128
	v_bfe_u32 v136, v92, 24, 2
	v_and_b32_e32 v92, 0x3030303, v92
	v_and_b32_e32 v128, 0x4040404, v128
	v_sub_u16_e32 v130, v92, v128
	v_sub_u16_sdwa v137, v92, v128 dst_sel:BYTE_1 dst_unused:UNUSED_PAD src0_sel:BYTE_1 src1_sel:BYTE_1
	v_sub_u16_sdwa v92, v92, v128 dst_sel:DWORD dst_unused:UNUSED_PAD src0_sel:WORD_1 src1_sel:WORD_1
	v_sub_u16_sdwa v128, v136, v128 dst_sel:BYTE_1 dst_unused:UNUSED_PAD src0_sel:DWORD src1_sel:BYTE_3
	v_bitop3_b16 v130, v130, v137, s23 bitop3:0xec
	v_bitop3_b16 v92, v92, v128, s23 bitop3:0xec
	v_lshlrev_b32_e32 v92, 16, v92
	v_ashrrev_i32_e32 v129, s3, v129
	v_or_b32_sdwa v128, v130, v92 dst_sel:DWORD dst_unused:UNUSED_PAD src0_sel:WORD_0 src1_sel:DWORD
	v_ashrrev_i32_e32 v92, s17, v93
	v_lshlrev_b32_e32 v129, 2, v129
	v_bfe_u32 v93, v92, 24, 2
	v_and_b32_e32 v92, 0x3030303, v92
	v_and_b32_e32 v129, 0x4040404, v129
	v_sub_u16_e32 v130, v92, v129
	v_sub_u16_sdwa v136, v92, v129 dst_sel:BYTE_1 dst_unused:UNUSED_PAD src0_sel:BYTE_1 src1_sel:BYTE_1
	v_sub_u16_sdwa v92, v92, v129 dst_sel:DWORD dst_unused:UNUSED_PAD src0_sel:WORD_1 src1_sel:WORD_1
	v_sub_u16_sdwa v93, v93, v129 dst_sel:BYTE_1 dst_unused:UNUSED_PAD src0_sel:DWORD src1_sel:BYTE_3
	v_bitop3_b16 v130, v130, v136, s23 bitop3:0xec
	v_bitop3_b16 v92, v92, v93, s23 bitop3:0xec
	v_lshlrev_b32_e32 v92, 16, v92
	v_or_b32_sdwa v93, v130, v92 dst_sel:DWORD dst_unused:UNUSED_PAD src0_sel:WORD_0 src1_sel:DWORD
	v_mov_b32_e32 v130, 0
	v_dot4c_i32_i8_e32 v130, v94, v6
	v_dot4c_i32_i8_e32 v130, v131, v7
	v_dot4c_i32_i8_e32 v130, v132, v8
	v_mov_b32_e32 v132, 0
	v_dot4c_i32_i8_e32 v132, v134, v2
	v_dot4c_i32_i8_e32 v132, v135, v3
	v_add_u32_e32 v129, s28, v81
	v_dot4c_i32_i8_e32 v132, v128, v4
	v_dot4c_i32_i8_e32 v132, v93, v5
	ds_read_u16 v93, v129 offset:25330
	v_dot4c_i32_i8_e32 v130, v133, v9
	v_add3_u32 v92, s27, v127, v111
	v_add3_u32 v134, s29, v112, v113
	ds_read_b32 v92, v92
	s_waitcnt lgkmcnt(1)
	v_lshrrev_b16_e32 v94, 8, v93
	v_bfe_i32 v93, v93, 0, 8
	v_bfe_i32 v133, v94, 0, 8
	v_mul_lo_u32 v94, v130, v93
	v_add_u32_e32 v93, 0x1080, v96
	ds_read2_b32 v[128:129], v93 offset1:1
	ds_read2_b32 v[130:131], v134 offset1:1
	s_waitcnt lgkmcnt(1)
	v_ashrrev_i32_e32 v93, s17, v128
	s_waitcnt lgkmcnt(0)
	v_ashrrev_i32_e32 v130, s3, v130
	v_lshlrev_b32_e32 v130, 2, v130
	v_bfe_u32 v128, v93, 24, 2
	v_and_b32_e32 v93, 0x3030303, v93
	v_and_b32_e32 v130, 0x4040404, v130
	v_sub_u16_e32 v135, v93, v130
	v_sub_u16_sdwa v136, v93, v130 dst_sel:BYTE_1 dst_unused:UNUSED_PAD src0_sel:BYTE_1 src1_sel:BYTE_1
	v_sub_u16_sdwa v93, v93, v130 dst_sel:DWORD dst_unused:UNUSED_PAD src0_sel:WORD_1 src1_sel:WORD_1
	v_sub_u16_sdwa v128, v128, v130 dst_sel:BYTE_1 dst_unused:UNUSED_PAD src0_sel:DWORD src1_sel:BYTE_3
	v_bitop3_b16 v135, v135, v136, s23 bitop3:0xec
	v_bitop3_b16 v93, v93, v128, s23 bitop3:0xec
	v_lshlrev_b32_e32 v93, 16, v93
	v_or_b32_sdwa v135, v135, v93 dst_sel:DWORD dst_unused:UNUSED_PAD src0_sel:WORD_0 src1_sel:DWORD
	v_ashrrev_i32_e32 v93, s17, v129
	v_ashrrev_i32_e32 v129, s3, v131
	v_lshlrev_b32_e32 v129, 2, v129
	v_bfe_u32 v128, v93, 24, 2
	v_and_b32_e32 v93, 0x3030303, v93
	v_and_b32_e32 v129, 0x4040404, v129
	v_sub_u16_e32 v130, v93, v129
	v_sub_u16_sdwa v131, v93, v129 dst_sel:BYTE_1 dst_unused:UNUSED_PAD src0_sel:BYTE_1 src1_sel:BYTE_1
	v_sub_u16_sdwa v93, v93, v129 dst_sel:DWORD dst_unused:UNUSED_PAD src0_sel:WORD_1 src1_sel:WORD_1
	v_sub_u16_sdwa v128, v128, v129 dst_sel:BYTE_1 dst_unused:UNUSED_PAD src0_sel:DWORD src1_sel:BYTE_3
	v_bitop3_b16 v130, v130, v131, s23 bitop3:0xec
	v_bitop3_b16 v93, v93, v128, s23 bitop3:0xec
	v_lshlrev_b32_e32 v93, 16, v93
	v_or_b32_sdwa v136, v130, v93 dst_sel:DWORD dst_unused:UNUSED_PAD src0_sel:WORD_0 src1_sel:DWORD
	v_add_u32_e32 v93, 0x1088, v96
	ds_read2_b32 v[128:129], v93 offset1:1
	ds_read2_b32 v[130:131], v134 offset0:2 offset1:3
	s_waitcnt lgkmcnt(1)
	v_ashrrev_i32_e32 v93, s17, v128
	s_waitcnt lgkmcnt(0)
	v_ashrrev_i32_e32 v130, s3, v130
	v_lshlrev_b32_e32 v130, 2, v130
	v_bfe_u32 v128, v93, 24, 2
	v_and_b32_e32 v93, 0x3030303, v93
	v_and_b32_e32 v130, 0x4040404, v130
	v_sub_u16_e32 v137, v93, v130
	v_sub_u16_sdwa v138, v93, v130 dst_sel:BYTE_1 dst_unused:UNUSED_PAD src0_sel:BYTE_1 src1_sel:BYTE_1
	v_sub_u16_sdwa v93, v93, v130 dst_sel:DWORD dst_unused:UNUSED_PAD src0_sel:WORD_1 src1_sel:WORD_1
	v_sub_u16_sdwa v128, v128, v130 dst_sel:BYTE_1 dst_unused:UNUSED_PAD src0_sel:DWORD src1_sel:BYTE_3
	v_bitop3_b16 v137, v137, v138, s23 bitop3:0xec
	v_bitop3_b16 v93, v93, v128, s23 bitop3:0xec
	v_lshlrev_b32_e32 v93, 16, v93
	v_or_b32_sdwa v137, v137, v93 dst_sel:DWORD dst_unused:UNUSED_PAD src0_sel:WORD_0 src1_sel:DWORD
	v_ashrrev_i32_e32 v93, s17, v129
	v_ashrrev_i32_e32 v129, s3, v131
	v_lshlrev_b32_e32 v129, 2, v129
	v_bfe_u32 v128, v93, 24, 2
	v_and_b32_e32 v93, 0x3030303, v93
	v_and_b32_e32 v129, 0x4040404, v129
	v_sub_u16_e32 v130, v93, v129
	v_sub_u16_sdwa v131, v93, v129 dst_sel:BYTE_1 dst_unused:UNUSED_PAD src0_sel:BYTE_1 src1_sel:BYTE_1
	v_sub_u16_sdwa v93, v93, v129 dst_sel:DWORD dst_unused:UNUSED_PAD src0_sel:WORD_1 src1_sel:WORD_1
	v_sub_u16_sdwa v128, v128, v129 dst_sel:BYTE_1 dst_unused:UNUSED_PAD src0_sel:DWORD src1_sel:BYTE_3
	v_bitop3_b16 v130, v130, v131, s23 bitop3:0xec
	v_bitop3_b16 v93, v93, v128, s23 bitop3:0xec
	v_lshlrev_b32_e32 v93, 16, v93
	v_or_b32_sdwa v138, v130, v93 dst_sel:DWORD dst_unused:UNUSED_PAD src0_sel:WORD_0 src1_sel:DWORD
	v_add_u32_e32 v93, 0x1090, v96
	ds_read2_b32 v[128:129], v93 offset1:1
	ds_read2_b32 v[130:131], v134 offset0:4 offset1:5
	;; [unrolled: 33-line block ×3, first 2 shown]
	s_waitcnt lgkmcnt(1)
	v_ashrrev_i32_e32 v93, s17, v128
	s_waitcnt lgkmcnt(0)
	v_ashrrev_i32_e32 v130, s3, v130
	v_lshlrev_b32_e32 v130, 2, v130
	v_bfe_u32 v128, v93, 24, 2
	v_and_b32_e32 v93, 0x3030303, v93
	v_and_b32_e32 v130, 0x4040404, v130
	v_sub_u16_e32 v134, v93, v130
	v_sub_u16_sdwa v141, v93, v130 dst_sel:BYTE_1 dst_unused:UNUSED_PAD src0_sel:BYTE_1 src1_sel:BYTE_1
	v_sub_u16_sdwa v93, v93, v130 dst_sel:DWORD dst_unused:UNUSED_PAD src0_sel:WORD_1 src1_sel:WORD_1
	v_sub_u16_sdwa v128, v128, v130 dst_sel:BYTE_1 dst_unused:UNUSED_PAD src0_sel:DWORD src1_sel:BYTE_3
	v_bitop3_b16 v134, v134, v141, s23 bitop3:0xec
	v_bitop3_b16 v93, v93, v128, s23 bitop3:0xec
	v_lshlrev_b32_e32 v93, 16, v93
	v_or_b32_sdwa v130, v134, v93 dst_sel:DWORD dst_unused:UNUSED_PAD src0_sel:WORD_0 src1_sel:DWORD
	v_ashrrev_i32_e32 v93, s17, v129
	v_ashrrev_i32_e32 v129, s3, v131
	v_lshlrev_b32_e32 v129, 2, v129
	v_bfe_u32 v128, v93, 24, 2
	v_and_b32_e32 v93, 0x3030303, v93
	v_and_b32_e32 v129, 0x4040404, v129
	v_sub_u16_e32 v131, v93, v129
	v_sub_u16_sdwa v134, v93, v129 dst_sel:BYTE_1 dst_unused:UNUSED_PAD src0_sel:BYTE_1 src1_sel:BYTE_1
	v_sub_u16_sdwa v93, v93, v129 dst_sel:DWORD dst_unused:UNUSED_PAD src0_sel:WORD_1 src1_sel:WORD_1
	v_sub_u16_sdwa v128, v128, v129 dst_sel:BYTE_1 dst_unused:UNUSED_PAD src0_sel:DWORD src1_sel:BYTE_3
	v_bitop3_b16 v131, v131, v134, s23 bitop3:0xec
	v_bitop3_b16 v93, v93, v128, s23 bitop3:0xec
	v_lshlrev_b32_e32 v93, 16, v93
	v_or_b32_sdwa v129, v131, v93 dst_sel:DWORD dst_unused:UNUSED_PAD src0_sel:WORD_0 src1_sel:DWORD
	v_add_u32_e32 v128, s28, v79
	v_add3_u32 v93, s27, v114, v115
	ds_read_b32 v93, v93
	ds_read_u16 v128, v128 offset:26354
	v_mov_b32_e32 v131, 0
	v_dot4c_i32_i8_e32 v131, v135, v6
	v_mov_b32_e32 v135, 0
	v_dot4c_i32_i8_e32 v131, v136, v7
	v_dot4c_i32_i8_e32 v135, v139, v2
	;; [unrolled: 1-line block ×5, first 2 shown]
	s_waitcnt lgkmcnt(0)
	v_lshrrev_b16_e32 v134, 8, v128
	v_bfe_i32 v128, v128, 0, 8
	v_dot4c_i32_i8_e32 v135, v130, v4
	v_mul_lo_u32 v128, v131, v128
	v_dot4c_i32_i8_e32 v135, v129, v5
	v_bfe_i32 v129, v134, 0, 8
	v_mad_u64_u32 v[130:131], s[30:31], v132, v133, v[94:95]
	s_nop 0
	v_mad_u64_u32 v[128:129], s[30:31], v135, v129, v[128:129]
	v_cvt_f32_i32_e32 v129, v128
	v_cvt_f32_i32_e32 v128, v130
	v_pk_mul_f32 v[92:93], v[90:91], v[92:93] op_sel_hi:[0,1]
	v_add3_u32 v130, s29, v116, v117
	v_pk_fma_f32 v[32:33], v[92:93], v[128:129], v[32:33]
	v_add_u32_e32 v92, 0x2100, v96
	ds_read2_b32 v[92:93], v92 offset1:1
	ds_read2_b32 v[128:129], v130 offset1:1
	s_waitcnt lgkmcnt(1)
	v_ashrrev_i32_e32 v92, s17, v92
	s_waitcnt lgkmcnt(0)
	v_ashrrev_i32_e32 v128, s3, v128
	v_lshlrev_b32_e32 v128, 2, v128
	v_bfe_u32 v94, v92, 24, 2
	v_and_b32_e32 v92, 0x3030303, v92
	v_and_b32_e32 v128, 0x4040404, v128
	v_sub_u16_e32 v131, v92, v128
	v_sub_u16_sdwa v132, v92, v128 dst_sel:BYTE_1 dst_unused:UNUSED_PAD src0_sel:BYTE_1 src1_sel:BYTE_1
	v_sub_u16_sdwa v92, v92, v128 dst_sel:DWORD dst_unused:UNUSED_PAD src0_sel:WORD_1 src1_sel:WORD_1
	v_sub_u16_sdwa v94, v94, v128 dst_sel:BYTE_1 dst_unused:UNUSED_PAD src0_sel:DWORD src1_sel:BYTE_3
	v_bitop3_b16 v131, v131, v132, s23 bitop3:0xec
	v_bitop3_b16 v92, v92, v94, s23 bitop3:0xec
	v_lshlrev_b32_e32 v92, 16, v92
	v_ashrrev_i32_e32 v128, s3, v129
	v_or_b32_sdwa v94, v131, v92 dst_sel:DWORD dst_unused:UNUSED_PAD src0_sel:WORD_0 src1_sel:DWORD
	v_ashrrev_i32_e32 v92, s17, v93
	v_lshlrev_b32_e32 v128, 2, v128
	v_bfe_u32 v93, v92, 24, 2
	v_and_b32_e32 v92, 0x3030303, v92
	v_and_b32_e32 v128, 0x4040404, v128
	v_sub_u16_e32 v129, v92, v128
	v_sub_u16_sdwa v131, v92, v128 dst_sel:BYTE_1 dst_unused:UNUSED_PAD src0_sel:BYTE_1 src1_sel:BYTE_1
	v_sub_u16_sdwa v92, v92, v128 dst_sel:DWORD dst_unused:UNUSED_PAD src0_sel:WORD_1 src1_sel:WORD_1
	v_sub_u16_sdwa v93, v93, v128 dst_sel:BYTE_1 dst_unused:UNUSED_PAD src0_sel:DWORD src1_sel:BYTE_3
	v_bitop3_b16 v129, v129, v131, s23 bitop3:0xec
	v_bitop3_b16 v92, v92, v93, s23 bitop3:0xec
	v_lshlrev_b32_e32 v92, 16, v92
	v_or_b32_sdwa v131, v129, v92 dst_sel:DWORD dst_unused:UNUSED_PAD src0_sel:WORD_0 src1_sel:DWORD
	v_add_u32_e32 v92, 0x2108, v96
	ds_read2_b32 v[92:93], v92 offset1:1
	ds_read2_b32 v[128:129], v130 offset0:2 offset1:3
	s_waitcnt lgkmcnt(1)
	v_ashrrev_i32_e32 v92, s17, v92
	s_waitcnt lgkmcnt(0)
	v_ashrrev_i32_e32 v128, s3, v128
	v_lshlrev_b32_e32 v128, 2, v128
	v_bfe_u32 v132, v92, 24, 2
	v_and_b32_e32 v92, 0x3030303, v92
	v_and_b32_e32 v128, 0x4040404, v128
	v_sub_u16_e32 v133, v92, v128
	v_sub_u16_sdwa v134, v92, v128 dst_sel:BYTE_1 dst_unused:UNUSED_PAD src0_sel:BYTE_1 src1_sel:BYTE_1
	v_sub_u16_sdwa v92, v92, v128 dst_sel:DWORD dst_unused:UNUSED_PAD src0_sel:WORD_1 src1_sel:WORD_1
	v_sub_u16_sdwa v128, v132, v128 dst_sel:BYTE_1 dst_unused:UNUSED_PAD src0_sel:DWORD src1_sel:BYTE_3
	v_bitop3_b16 v133, v133, v134, s23 bitop3:0xec
	v_bitop3_b16 v92, v92, v128, s23 bitop3:0xec
	v_lshlrev_b32_e32 v92, 16, v92
	v_ashrrev_i32_e32 v128, s3, v129
	v_or_b32_sdwa v132, v133, v92 dst_sel:DWORD dst_unused:UNUSED_PAD src0_sel:WORD_0 src1_sel:DWORD
	v_ashrrev_i32_e32 v92, s17, v93
	v_lshlrev_b32_e32 v128, 2, v128
	v_bfe_u32 v93, v92, 24, 2
	v_and_b32_e32 v92, 0x3030303, v92
	v_and_b32_e32 v128, 0x4040404, v128
	v_sub_u16_e32 v129, v92, v128
	v_sub_u16_sdwa v133, v92, v128 dst_sel:BYTE_1 dst_unused:UNUSED_PAD src0_sel:BYTE_1 src1_sel:BYTE_1
	v_sub_u16_sdwa v92, v92, v128 dst_sel:DWORD dst_unused:UNUSED_PAD src0_sel:WORD_1 src1_sel:WORD_1
	v_sub_u16_sdwa v93, v93, v128 dst_sel:BYTE_1 dst_unused:UNUSED_PAD src0_sel:DWORD src1_sel:BYTE_3
	v_bitop3_b16 v129, v129, v133, s23 bitop3:0xec
	v_bitop3_b16 v92, v92, v93, s23 bitop3:0xec
	v_lshlrev_b32_e32 v92, 16, v92
	v_or_b32_sdwa v133, v129, v92 dst_sel:DWORD dst_unused:UNUSED_PAD src0_sel:WORD_0 src1_sel:DWORD
	v_add_u32_e32 v92, 0x2110, v96
	ds_read2_b32 v[92:93], v92 offset1:1
	ds_read2_b32 v[128:129], v130 offset0:4 offset1:5
	;; [unrolled: 33-line block ×3, first 2 shown]
	s_waitcnt lgkmcnt(1)
	v_ashrrev_i32_e32 v92, s17, v92
	s_waitcnt lgkmcnt(0)
	v_ashrrev_i32_e32 v128, s3, v128
	v_lshlrev_b32_e32 v128, 2, v128
	v_bfe_u32 v136, v92, 24, 2
	v_and_b32_e32 v92, 0x3030303, v92
	v_and_b32_e32 v128, 0x4040404, v128
	v_sub_u16_e32 v130, v92, v128
	v_sub_u16_sdwa v137, v92, v128 dst_sel:BYTE_1 dst_unused:UNUSED_PAD src0_sel:BYTE_1 src1_sel:BYTE_1
	v_sub_u16_sdwa v92, v92, v128 dst_sel:DWORD dst_unused:UNUSED_PAD src0_sel:WORD_1 src1_sel:WORD_1
	v_sub_u16_sdwa v128, v136, v128 dst_sel:BYTE_1 dst_unused:UNUSED_PAD src0_sel:DWORD src1_sel:BYTE_3
	v_bitop3_b16 v130, v130, v137, s23 bitop3:0xec
	v_bitop3_b16 v92, v92, v128, s23 bitop3:0xec
	v_lshlrev_b32_e32 v92, 16, v92
	v_ashrrev_i32_e32 v128, s3, v129
	v_or_b32_sdwa v130, v130, v92 dst_sel:DWORD dst_unused:UNUSED_PAD src0_sel:WORD_0 src1_sel:DWORD
	v_ashrrev_i32_e32 v92, s17, v93
	v_lshlrev_b32_e32 v128, 2, v128
	v_bfe_u32 v93, v92, 24, 2
	v_and_b32_e32 v92, 0x3030303, v92
	v_and_b32_e32 v128, 0x4040404, v128
	v_sub_u16_e32 v129, v92, v128
	v_sub_u16_sdwa v136, v92, v128 dst_sel:BYTE_1 dst_unused:UNUSED_PAD src0_sel:BYTE_1 src1_sel:BYTE_1
	v_sub_u16_sdwa v92, v92, v128 dst_sel:DWORD dst_unused:UNUSED_PAD src0_sel:WORD_1 src1_sel:WORD_1
	v_sub_u16_sdwa v93, v93, v128 dst_sel:BYTE_1 dst_unused:UNUSED_PAD src0_sel:DWORD src1_sel:BYTE_3
	v_mov_b32_e32 v128, 0
	v_bitop3_b16 v92, v92, v93, s23 bitop3:0xec
	v_dot4c_i32_i8_e32 v128, v134, v2
	v_bitop3_b16 v129, v129, v136, s23 bitop3:0xec
	v_lshlrev_b32_e32 v92, 16, v92
	v_dot4c_i32_i8_e32 v128, v135, v3
	v_or_b32_sdwa v93, v129, v92 dst_sel:DWORD dst_unused:UNUSED_PAD src0_sel:WORD_0 src1_sel:DWORD
	v_add_u32_e32 v129, s28, v77
	v_dot4c_i32_i8_e32 v128, v130, v4
	v_dot4c_i32_i8_e32 v128, v93, v5
	ds_read_u16 v93, v129 offset:27378
	v_mov_b32_e32 v136, 0
	v_dot4c_i32_i8_e32 v136, v94, v6
	v_dot4c_i32_i8_e32 v136, v131, v7
	;; [unrolled: 1-line block ×4, first 2 shown]
	s_waitcnt lgkmcnt(0)
	v_lshrrev_b16_e32 v94, 8, v93
	v_bfe_i32 v93, v93, 0, 8
	v_add3_u32 v92, s27, v118, v119
	v_bfe_i32 v129, v94, 0, 8
	v_mul_lo_u32 v94, v136, v93
	v_add_u32_e32 v93, 0x3180, v96
	v_add3_u32 v136, s29, v120, v121
	ds_read_b32 v92, v92
	ds_read2_b32 v[130:131], v93 offset1:1
	ds_read2_b32 v[132:133], v136 offset1:1
	s_waitcnt lgkmcnt(1)
	v_ashrrev_i32_e32 v93, s17, v130
	s_waitcnt lgkmcnt(0)
	v_ashrrev_i32_e32 v132, s3, v132
	v_lshlrev_b32_e32 v132, 2, v132
	v_bfe_u32 v130, v93, 24, 2
	v_and_b32_e32 v93, 0x3030303, v93
	v_and_b32_e32 v132, 0x4040404, v132
	v_sub_u16_e32 v134, v93, v132
	v_sub_u16_sdwa v135, v93, v132 dst_sel:BYTE_1 dst_unused:UNUSED_PAD src0_sel:BYTE_1 src1_sel:BYTE_1
	v_sub_u16_sdwa v93, v93, v132 dst_sel:DWORD dst_unused:UNUSED_PAD src0_sel:WORD_1 src1_sel:WORD_1
	v_sub_u16_sdwa v130, v130, v132 dst_sel:BYTE_1 dst_unused:UNUSED_PAD src0_sel:DWORD src1_sel:BYTE_3
	v_bitop3_b16 v134, v134, v135, s23 bitop3:0xec
	v_bitop3_b16 v93, v93, v130, s23 bitop3:0xec
	v_lshlrev_b32_e32 v93, 16, v93
	v_ashrrev_i32_e32 v132, s3, v133
	v_or_b32_sdwa v130, v134, v93 dst_sel:DWORD dst_unused:UNUSED_PAD src0_sel:WORD_0 src1_sel:DWORD
	v_ashrrev_i32_e32 v93, s17, v131
	v_lshlrev_b32_e32 v132, 2, v132
	v_bfe_u32 v131, v93, 24, 2
	v_and_b32_e32 v93, 0x3030303, v93
	v_and_b32_e32 v132, 0x4040404, v132
	v_sub_u16_e32 v133, v93, v132
	v_sub_u16_sdwa v134, v93, v132 dst_sel:BYTE_1 dst_unused:UNUSED_PAD src0_sel:BYTE_1 src1_sel:BYTE_1
	v_sub_u16_sdwa v93, v93, v132 dst_sel:DWORD dst_unused:UNUSED_PAD src0_sel:WORD_1 src1_sel:WORD_1
	v_sub_u16_sdwa v131, v131, v132 dst_sel:BYTE_1 dst_unused:UNUSED_PAD src0_sel:DWORD src1_sel:BYTE_3
	v_bitop3_b16 v133, v133, v134, s23 bitop3:0xec
	v_bitop3_b16 v93, v93, v131, s23 bitop3:0xec
	v_lshlrev_b32_e32 v93, 16, v93
	v_or_b32_sdwa v131, v133, v93 dst_sel:DWORD dst_unused:UNUSED_PAD src0_sel:WORD_0 src1_sel:DWORD
	v_add_u32_e32 v93, 0x3188, v96
	ds_read2_b32 v[132:133], v93 offset1:1
	ds_read2_b32 v[134:135], v136 offset0:2 offset1:3
	s_waitcnt lgkmcnt(1)
	v_ashrrev_i32_e32 v93, s17, v132
	s_waitcnt lgkmcnt(0)
	v_ashrrev_i32_e32 v134, s3, v134
	v_lshlrev_b32_e32 v134, 2, v134
	v_bfe_u32 v132, v93, 24, 2
	v_and_b32_e32 v93, 0x3030303, v93
	v_and_b32_e32 v134, 0x4040404, v134
	v_sub_u16_e32 v137, v93, v134
	v_sub_u16_sdwa v138, v93, v134 dst_sel:BYTE_1 dst_unused:UNUSED_PAD src0_sel:BYTE_1 src1_sel:BYTE_1
	v_sub_u16_sdwa v93, v93, v134 dst_sel:DWORD dst_unused:UNUSED_PAD src0_sel:WORD_1 src1_sel:WORD_1
	v_sub_u16_sdwa v132, v132, v134 dst_sel:BYTE_1 dst_unused:UNUSED_PAD src0_sel:DWORD src1_sel:BYTE_3
	v_bitop3_b16 v137, v137, v138, s23 bitop3:0xec
	v_bitop3_b16 v93, v93, v132, s23 bitop3:0xec
	v_lshlrev_b32_e32 v93, 16, v93
	v_or_b32_sdwa v137, v137, v93 dst_sel:DWORD dst_unused:UNUSED_PAD src0_sel:WORD_0 src1_sel:DWORD
	v_ashrrev_i32_e32 v93, s17, v133
	v_ashrrev_i32_e32 v133, s3, v135
	v_lshlrev_b32_e32 v133, 2, v133
	v_bfe_u32 v132, v93, 24, 2
	v_and_b32_e32 v93, 0x3030303, v93
	v_and_b32_e32 v133, 0x4040404, v133
	v_sub_u16_e32 v134, v93, v133
	v_sub_u16_sdwa v135, v93, v133 dst_sel:BYTE_1 dst_unused:UNUSED_PAD src0_sel:BYTE_1 src1_sel:BYTE_1
	v_sub_u16_sdwa v93, v93, v133 dst_sel:DWORD dst_unused:UNUSED_PAD src0_sel:WORD_1 src1_sel:WORD_1
	v_sub_u16_sdwa v132, v132, v133 dst_sel:BYTE_1 dst_unused:UNUSED_PAD src0_sel:DWORD src1_sel:BYTE_3
	v_bitop3_b16 v134, v134, v135, s23 bitop3:0xec
	v_bitop3_b16 v93, v93, v132, s23 bitop3:0xec
	v_lshlrev_b32_e32 v93, 16, v93
	v_or_b32_sdwa v138, v134, v93 dst_sel:DWORD dst_unused:UNUSED_PAD src0_sel:WORD_0 src1_sel:DWORD
	v_add_u32_e32 v93, 0x3190, v96
	ds_read2_b32 v[132:133], v93 offset1:1
	ds_read2_b32 v[134:135], v136 offset0:4 offset1:5
	s_waitcnt lgkmcnt(1)
	v_ashrrev_i32_e32 v93, s17, v132
	s_waitcnt lgkmcnt(0)
	v_ashrrev_i32_e32 v134, s3, v134
	v_lshlrev_b32_e32 v134, 2, v134
	v_bfe_u32 v132, v93, 24, 2
	v_and_b32_e32 v93, 0x3030303, v93
	v_and_b32_e32 v134, 0x4040404, v134
	v_sub_u16_e32 v139, v93, v134
	v_sub_u16_sdwa v140, v93, v134 dst_sel:BYTE_1 dst_unused:UNUSED_PAD src0_sel:BYTE_1 src1_sel:BYTE_1
	v_sub_u16_sdwa v93, v93, v134 dst_sel:DWORD dst_unused:UNUSED_PAD src0_sel:WORD_1 src1_sel:WORD_1
	v_sub_u16_sdwa v132, v132, v134 dst_sel:BYTE_1 dst_unused:UNUSED_PAD src0_sel:DWORD src1_sel:BYTE_3
	v_bitop3_b16 v139, v139, v140, s23 bitop3:0xec
	v_bitop3_b16 v93, v93, v132, s23 bitop3:0xec
	v_lshlrev_b32_e32 v93, 16, v93
	v_or_b32_sdwa v139, v139, v93 dst_sel:DWORD dst_unused:UNUSED_PAD src0_sel:WORD_0 src1_sel:DWORD
	v_ashrrev_i32_e32 v93, s17, v133
	;; [unrolled: 33-line block ×3, first 2 shown]
	v_ashrrev_i32_e32 v133, s3, v135
	v_lshlrev_b32_e32 v133, 2, v133
	v_bfe_u32 v132, v93, 24, 2
	v_and_b32_e32 v93, 0x3030303, v93
	v_and_b32_e32 v133, 0x4040404, v133
	v_sub_u16_e32 v134, v93, v133
	v_sub_u16_sdwa v135, v93, v133 dst_sel:BYTE_1 dst_unused:UNUSED_PAD src0_sel:BYTE_1 src1_sel:BYTE_1
	v_sub_u16_sdwa v93, v93, v133 dst_sel:DWORD dst_unused:UNUSED_PAD src0_sel:WORD_1 src1_sel:WORD_1
	v_sub_u16_sdwa v132, v132, v133 dst_sel:BYTE_1 dst_unused:UNUSED_PAD src0_sel:DWORD src1_sel:BYTE_3
	v_bitop3_b16 v134, v134, v135, s23 bitop3:0xec
	v_bitop3_b16 v93, v93, v132, s23 bitop3:0xec
	v_lshlrev_b32_e32 v93, 16, v93
	v_or_b32_sdwa v132, v134, v93 dst_sel:DWORD dst_unused:UNUSED_PAD src0_sel:WORD_0 src1_sel:DWORD
	v_mov_b32_e32 v134, 0
	v_add_u32_e32 v133, s28, v75
	v_add3_u32 v93, s27, v122, v123
	v_dot4c_i32_i8_e32 v134, v130, v6
	v_mov_b32_e32 v6, 0
	ds_read_b32 v93, v93
	v_dot4c_i32_i8_e32 v6, v139, v2
	ds_read_u16 v2, v133 offset:28402
	v_dot4c_i32_i8_e32 v134, v131, v7
	v_dot4c_i32_i8_e32 v134, v137, v8
	;; [unrolled: 1-line block ×5, first 2 shown]
	s_waitcnt lgkmcnt(0)
	v_lshrrev_b16_e32 v3, 8, v2
	v_bfe_i32 v2, v2, 0, 8
	v_dot4c_i32_i8_e32 v6, v132, v5
	v_bfe_i32 v5, v3, 0, 8
	v_mul_lo_u32 v4, v134, v2
	v_mad_u64_u32 v[2:3], s[28:29], v128, v129, v[94:95]
	v_mad_u64_u32 v[4:5], s[28:29], v6, v5, v[4:5]
	v_cvt_f32_i32_e32 v3, v4
	v_cvt_f32_i32_e32 v2, v2
	v_pk_mul_f32 v[6:7], v[90:91], v[92:93] op_sel_hi:[0,1]
	s_add_i32 s3, s3, 1
	v_add_u32_e32 v95, 4, v95
	v_pk_fma_f32 v[30:31], v[6:7], v[2:3], v[30:31]
	v_add_u32_e32 v91, 32, v91
	s_cmp_lt_u32 s16, 30
	s_mov_b32 s27, s16
	s_cbranch_scc1 .LBB229_35
; %bb.36:                               ;   in Loop: Header=BB229_5 Depth=1
	s_barrier
	s_branch .LBB229_4
.LBB229_37:
	s_mul_i32 s0, s7, s4
	s_waitcnt vmcnt(0)
	v_cmp_gt_i32_e32 vcc, s0, v1
	s_and_saveexec_b64 s[0:1], vcc
	s_cbranch_execz .LBB229_46
; %bb.38:
	v_and_b32_e32 v0, 0x3ff, v0
	v_add_u32_e32 v2, s18, v0
	v_mul_lo_u32 v0, v1, s6
	v_cmp_gt_u32_e32 vcc, s6, v2
	s_and_saveexec_b64 s[0:1], vcc
	s_cbranch_execz .LBB229_40
; %bb.39:
	v_bfe_u32 v1, v32, 16, 1
	s_movk_i32 s2, 0x7fff
	v_add3_u32 v1, v32, v1, s2
	v_cmp_o_f32_e32 vcc, v32, v32
	v_mov_b32_e32 v3, 0x7fc0
	v_add_u32_e32 v4, v0, v2
	v_mov_b32_e32 v5, 0
	v_cndmask_b32_sdwa v1, v3, v1, vcc dst_sel:DWORD dst_unused:UNUSED_PAD src0_sel:DWORD src1_sel:WORD_1
	v_lshl_add_u64 v[4:5], v[4:5], 1, s[12:13]
	global_store_short v[4:5], v1, off
.LBB229_40:
	s_or_b64 exec, exec, s[0:1]
	v_add_u32_e32 v1, 32, v2
	v_cmp_gt_u32_e32 vcc, s6, v1
	s_and_saveexec_b64 s[0:1], vcc
	s_cbranch_execz .LBB229_42
; %bb.41:
	v_bfe_u32 v3, v33, 16, 1
	s_movk_i32 s2, 0x7fff
	v_add3_u32 v3, v33, v3, s2
	v_cmp_o_f32_e32 vcc, v33, v33
	v_mov_b32_e32 v4, 0x7fc0
	v_mov_b32_e32 v5, 0
	v_cndmask_b32_sdwa v3, v4, v3, vcc dst_sel:DWORD dst_unused:UNUSED_PAD src0_sel:DWORD src1_sel:WORD_1
	v_add_u32_e32 v4, v0, v1
	v_lshl_add_u64 v[4:5], v[4:5], 1, s[12:13]
	global_store_short v[4:5], v3, off
.LBB229_42:
	s_or_b64 exec, exec, s[0:1]
	v_add_u32_e32 v1, 64, v2
	v_cmp_gt_u32_e32 vcc, s6, v1
	s_and_saveexec_b64 s[0:1], vcc
	s_cbranch_execz .LBB229_44
; %bb.43:
	v_bfe_u32 v3, v30, 16, 1
	s_movk_i32 s2, 0x7fff
	v_add3_u32 v3, v30, v3, s2
	v_cmp_o_f32_e32 vcc, v30, v30
	v_mov_b32_e32 v4, 0x7fc0
	v_mov_b32_e32 v5, 0
	v_cndmask_b32_sdwa v3, v4, v3, vcc dst_sel:DWORD dst_unused:UNUSED_PAD src0_sel:DWORD src1_sel:WORD_1
	v_add_u32_e32 v4, v0, v1
	v_lshl_add_u64 v[4:5], v[4:5], 1, s[12:13]
	global_store_short v[4:5], v3, off
.LBB229_44:
	s_or_b64 exec, exec, s[0:1]
	v_add_u32_e32 v1, 0x60, v2
	v_cmp_gt_u32_e32 vcc, s6, v1
	s_and_b64 exec, exec, vcc
	s_cbranch_execz .LBB229_46
; %bb.45:
	v_bfe_u32 v2, v31, 16, 1
	s_movk_i32 s0, 0x7fff
	v_add3_u32 v2, v31, v2, s0
	v_cmp_o_f32_e32 vcc, v31, v31
	v_mov_b32_e32 v3, 0x7fc0
	v_add_u32_e32 v0, v0, v1
	v_mov_b32_e32 v1, 0
	v_cndmask_b32_sdwa v2, v3, v2, vcc dst_sel:DWORD dst_unused:UNUSED_PAD src0_sel:DWORD src1_sel:WORD_1
	v_lshl_add_u64 v[0:1], v[0:1], 1, s[12:13]
	global_store_short v[0:1], v2, off
.LBB229_46:
	s_endpgm
	.section	.rodata,"a",@progbits
	.p2align	6, 0x0
	.amdhsa_kernel _ZL8moe_q3_KIN3c108BFloat16ELb0EEvPKvS3_PT_PKiS7_S7_iiiiiii
		.amdhsa_group_segment_fixed_size 31776
		.amdhsa_private_segment_fixed_size 0
		.amdhsa_kernarg_size 76
		.amdhsa_user_sgpr_count 2
		.amdhsa_user_sgpr_dispatch_ptr 0
		.amdhsa_user_sgpr_queue_ptr 0
		.amdhsa_user_sgpr_kernarg_segment_ptr 1
		.amdhsa_user_sgpr_dispatch_id 0
		.amdhsa_user_sgpr_kernarg_preload_length 0
		.amdhsa_user_sgpr_kernarg_preload_offset 0
		.amdhsa_user_sgpr_private_segment_size 0
		.amdhsa_uses_dynamic_stack 0
		.amdhsa_enable_private_segment 0
		.amdhsa_system_sgpr_workgroup_id_x 1
		.amdhsa_system_sgpr_workgroup_id_y 1
		.amdhsa_system_sgpr_workgroup_id_z 0
		.amdhsa_system_sgpr_workgroup_info 0
		.amdhsa_system_vgpr_workitem_id 1
		.amdhsa_next_free_vgpr 153
		.amdhsa_next_free_sgpr 96
		.amdhsa_accum_offset 156
		.amdhsa_reserve_vcc 1
		.amdhsa_float_round_mode_32 0
		.amdhsa_float_round_mode_16_64 0
		.amdhsa_float_denorm_mode_32 3
		.amdhsa_float_denorm_mode_16_64 3
		.amdhsa_dx10_clamp 1
		.amdhsa_ieee_mode 1
		.amdhsa_fp16_overflow 0
		.amdhsa_tg_split 0
		.amdhsa_exception_fp_ieee_invalid_op 0
		.amdhsa_exception_fp_denorm_src 0
		.amdhsa_exception_fp_ieee_div_zero 0
		.amdhsa_exception_fp_ieee_overflow 0
		.amdhsa_exception_fp_ieee_underflow 0
		.amdhsa_exception_fp_ieee_inexact 0
		.amdhsa_exception_int_div_zero 0
	.end_amdhsa_kernel
	.section	.text._ZL8moe_q3_KIN3c108BFloat16ELb0EEvPKvS3_PT_PKiS7_S7_iiiiiii,"axG",@progbits,_ZL8moe_q3_KIN3c108BFloat16ELb0EEvPKvS3_PT_PKiS7_S7_iiiiiii,comdat
.Lfunc_end229:
	.size	_ZL8moe_q3_KIN3c108BFloat16ELb0EEvPKvS3_PT_PKiS7_S7_iiiiiii, .Lfunc_end229-_ZL8moe_q3_KIN3c108BFloat16ELb0EEvPKvS3_PT_PKiS7_S7_iiiiiii
                                        ; -- End function
	.set _ZL8moe_q3_KIN3c108BFloat16ELb0EEvPKvS3_PT_PKiS7_S7_iiiiiii.num_vgpr, 153
	.set _ZL8moe_q3_KIN3c108BFloat16ELb0EEvPKvS3_PT_PKiS7_S7_iiiiiii.num_agpr, 0
	.set _ZL8moe_q3_KIN3c108BFloat16ELb0EEvPKvS3_PT_PKiS7_S7_iiiiiii.numbered_sgpr, 36
	.set _ZL8moe_q3_KIN3c108BFloat16ELb0EEvPKvS3_PT_PKiS7_S7_iiiiiii.num_named_barrier, 0
	.set _ZL8moe_q3_KIN3c108BFloat16ELb0EEvPKvS3_PT_PKiS7_S7_iiiiiii.private_seg_size, 0
	.set _ZL8moe_q3_KIN3c108BFloat16ELb0EEvPKvS3_PT_PKiS7_S7_iiiiiii.uses_vcc, 1
	.set _ZL8moe_q3_KIN3c108BFloat16ELb0EEvPKvS3_PT_PKiS7_S7_iiiiiii.uses_flat_scratch, 0
	.set _ZL8moe_q3_KIN3c108BFloat16ELb0EEvPKvS3_PT_PKiS7_S7_iiiiiii.has_dyn_sized_stack, 0
	.set _ZL8moe_q3_KIN3c108BFloat16ELb0EEvPKvS3_PT_PKiS7_S7_iiiiiii.has_recursion, 0
	.set _ZL8moe_q3_KIN3c108BFloat16ELb0EEvPKvS3_PT_PKiS7_S7_iiiiiii.has_indirect_call, 0
	.section	.AMDGPU.csdata,"",@progbits
; Kernel info:
; codeLenInByte = 20492
; TotalNumSgprs: 42
; NumVgprs: 153
; NumAgprs: 0
; TotalNumVgprs: 153
; ScratchSize: 0
; MemoryBound: 0
; FloatMode: 240
; IeeeMode: 1
; LDSByteSize: 31776 bytes/workgroup (compile time only)
; SGPRBlocks: 12
; VGPRBlocks: 19
; NumSGPRsForWavesPerEU: 102
; NumVGPRsForWavesPerEU: 153
; AccumOffset: 156
; Occupancy: 3
; WaveLimiterHint : 1
; COMPUTE_PGM_RSRC2:SCRATCH_EN: 0
; COMPUTE_PGM_RSRC2:USER_SGPR: 2
; COMPUTE_PGM_RSRC2:TRAP_HANDLER: 0
; COMPUTE_PGM_RSRC2:TGID_X_EN: 1
; COMPUTE_PGM_RSRC2:TGID_Y_EN: 1
; COMPUTE_PGM_RSRC2:TGID_Z_EN: 0
; COMPUTE_PGM_RSRC2:TIDIG_COMP_CNT: 1
; COMPUTE_PGM_RSRC3_GFX90A:ACCUM_OFFSET: 38
; COMPUTE_PGM_RSRC3_GFX90A:TG_SPLIT: 0
	.section	.text._ZL8moe_q3_KIN3c108BFloat16ELb1EEvPKvS3_PT_PKiS7_S7_iiiiiii,"axG",@progbits,_ZL8moe_q3_KIN3c108BFloat16ELb1EEvPKvS3_PT_PKiS7_S7_iiiiiii,comdat
	.globl	_ZL8moe_q3_KIN3c108BFloat16ELb1EEvPKvS3_PT_PKiS7_S7_iiiiiii ; -- Begin function _ZL8moe_q3_KIN3c108BFloat16ELb1EEvPKvS3_PT_PKiS7_S7_iiiiiii
	.p2align	8
	.type	_ZL8moe_q3_KIN3c108BFloat16ELb1EEvPKvS3_PT_PKiS7_S7_iiiiiii,@function
_ZL8moe_q3_KIN3c108BFloat16ELb1EEvPKvS3_PT_PKiS7_S7_iiiiiii: ; @_ZL8moe_q3_KIN3c108BFloat16ELb1EEvPKvS3_PT_PKiS7_S7_iiiiiii
; %bb.0:
	s_load_dwordx4 s[4:7], s[0:1], 0x18
	s_mov_b32 s8, s3
	s_mov_b32 s9, 0
	s_lshl_b64 s[10:11], s[8:9], 2
	s_waitcnt lgkmcnt(0)
	s_add_u32 s6, s6, s10
	s_addc_u32 s7, s7, s11
	s_load_dword s3, s[6:7], 0x0
	s_waitcnt lgkmcnt(0)
	s_cmpk_gt_u32 s3, 0xff
	s_cbranch_scc1 .LBB230_46
; %bb.1:
	s_load_dwordx2 s[6:7], s[0:1], 0x28
	s_waitcnt lgkmcnt(0)
	s_load_dword s7, s[6:7], 0x0
	s_lshl_b32 s6, s8, 3
	s_waitcnt lgkmcnt(0)
	s_cmp_gt_u32 s6, s7
	s_cbranch_scc1 .LBB230_46
; %bb.2:
	v_bfe_u32 v3, v0, 10, 10
	v_mov_b32_e32 v4, s4
	v_mov_b32_e32 v5, s5
	v_add_u32_e32 v40, s6, v3
	v_mov_b32_e32 v41, 0
	v_lshl_add_u64 v[4:5], v[40:41], 2, v[4:5]
	global_load_dword v1, v[4:5], off
	s_load_dwordx8 s[4:11], s[0:1], 0x30
	s_load_dwordx2 s[16:17], s[0:1], 0x10
	s_waitcnt lgkmcnt(0)
	s_lshl_b32 s11, s2, 7
	v_mov_b32_e32 v40, v41
	v_mov_b32_e32 v43, v41
	s_cmpk_lt_i32 s5, 0x100
	v_mov_b32_e32 v42, v41
	s_cbranch_scc1 .LBB230_37
; %bb.3:
	s_load_dwordx4 s[12:15], s[0:1], 0x0
	s_ashr_i32 s0, s5, 31
	s_lshr_b32 s0, s0, 24
	s_add_i32 s0, s5, s0
	s_ashr_i32 s20, s0, 8
	s_ashr_i32 s0, s8, 31
	s_lshr_b32 s0, s0, 27
	s_add_i32 s0, s8, s0
	s_mul_i32 s3, s3, s4
	s_ashr_i32 s8, s0, 5
	s_ashr_i32 s0, s3, 31
	s_waitcnt lgkmcnt(0)
	s_add_u32 s1, s12, s3
	s_mul_i32 s2, s20, s11
	s_addc_u32 s0, s13, s0
	s_mul_hi_i32 s3, s2, 0x6e
	s_mulk_i32 s2, 0x6e
	s_add_u32 s21, s1, s2
	s_addc_u32 s22, s0, s3
	s_not_b32 s0, s11
	s_add_i32 s1, s6, s0
	v_and_b32_e32 v11, 0x3ff, v0
	v_min_i32_e32 v5, s1, v3
	v_lshlrev_b32_e32 v2, 2, v11
	s_movk_i32 s0, 0x84
	v_mad_u64_u32 v[14:15], s[2:3], v5, s0, v[2:3]
	v_add_u32_e32 v15, 40, v3
	v_min_i32_e32 v70, s1, v15
	v_add_u32_e32 v15, 48, v3
	v_min_i32_e32 v72, s1, v15
	;; [unrolled: 2-line block ×10, first 2 shown]
	v_add_u32_e32 v15, 0x78, v3
	v_lshlrev_b32_e32 v40, 4, v3
	v_bfe_u32 v41, v0, 1, 9
	v_min_i32_e32 v90, s1, v15
	v_add_u32_e32 v15, v41, v40
	v_and_b32_e32 v15, 0x7f, v15
	v_min_i32_e32 v92, s1, v15
	v_ashrrev_i32_e32 v15, 31, v92
	v_add_u32_e32 v6, 8, v3
	v_add_u32_e32 v7, 16, v3
	;; [unrolled: 1-line block ×4, first 2 shown]
	v_lshrrev_b32_e32 v15, 28, v15
	v_min_i32_e32 v6, s1, v6
	v_min_i32_e32 v7, s1, v7
	v_min_i32_e32 v8, s1, v8
	v_min_i32_e32 v9, s1, v9
	v_add_u32_e32 v15, v92, v15
	v_mad_u64_u32 v[16:17], s[2:3], v6, s0, v[2:3]
	v_mad_u64_u32 v[18:19], s[2:3], v7, s0, v[2:3]
	;; [unrolled: 1-line block ×10, first 2 shown]
	v_and_b32_e32 v36, 1, v0
	v_ashrrev_i32_e32 v15, 4, v15
	v_bfe_u32 v10, v0, 4, 6
	v_lshlrev_b32_e32 v15, 2, v15
	v_lshlrev_b32_e32 v17, 2, v36
	s_movk_i32 s2, 0x7380
	v_add3_u32 v27, v15, v17, s2
	v_lshl_add_u32 v15, v3, 1, v10
	v_min_i32_e32 v94, s1, v15
	v_lshrrev_b32_e32 v17, 31, v94
	v_and_b32_e32 v4, 15, v0
	v_add_lshl_u32 v17, v94, v17, 1
	v_lshlrev_b32_e32 v12, 2, v4
	v_and_b32_e32 v17, -4, v17
	s_movk_i32 s2, 0x4200
	v_add3_u32 v31, v17, v12, s2
	v_add_u32_e32 v17, 16, v15
	v_min_i32_e32 v96, s1, v17
	v_lshrrev_b32_e32 v17, 31, v96
	v_add_lshl_u32 v17, v96, v17, 1
	v_and_b32_e32 v17, -4, v17
	v_add3_u32 v35, v17, v12, s2
	v_add_u32_e32 v17, 32, v15
	v_min_i32_e32 v98, s1, v17
	v_lshrrev_b32_e32 v17, 31, v98
	v_add_lshl_u32 v17, v98, v17, 1
	v_and_b32_e32 v17, -4, v17
	;; [unrolled: 6-line block ×5, first 2 shown]
	v_add3_u32 v48, v17, v12, s2
	v_add_u32_e32 v17, 0x60, v15
	v_add_u32_e32 v15, 0x70, v15
	v_min_i32_e32 v106, s1, v17
	v_min_i32_e32 v108, s1, v15
	v_lshrrev_b32_e32 v17, 31, v106
	v_lshrrev_b32_e32 v15, 31, v108
	v_add_lshl_u32 v17, v106, v17, 1
	v_add_lshl_u32 v15, v108, v15, 1
	v_and_b32_e32 v17, -4, v17
	v_and_b32_e32 v15, -4, v15
	v_add3_u32 v50, v17, v12, s2
	v_add3_u32 v52, v15, v12, s2
	v_bfe_u32 v15, v0, 3, 7
	v_mov_b32_e32 v17, 0x77a0
	s_abs_i32 s2, s10
	v_lshl_add_u32 v54, v3, 2, v15
	v_lshl_add_u32 v17, v3, 7, v17
	v_cvt_f32_u32_e32 v3, s2
	s_sub_i32 s3, 0, s2
	s_waitcnt vmcnt(0)
	v_sub_u32_e32 v21, 0, v1
	v_max_i32_e32 v21, v1, v21
	v_rcp_iflag_f32_e32 v3, v3
	v_xor_b32_e32 v19, s10, v1
	v_ashrrev_i32_e32 v19, 31, v19
	v_add_u32_e32 v58, 0x60, v11
	v_mul_f32_e32 v3, 0x4f7ffffe, v3
	v_cvt_u32_f32_e32 v3, v3
	v_lshlrev_b32_e32 v25, 5, v11
	v_add_u32_e32 v57, 64, v11
	v_add_u32_e32 v56, 32, v11
	v_mul_lo_u32 v23, s3, v3
	v_mul_hi_u32 v23, v3, v23
	v_add_u32_e32 v3, v3, v23
	v_mul_hi_u32 v3, v21, v3
	v_mul_lo_u32 v23, v3, s2
	v_sub_u32_e32 v21, v21, v23
	v_add_u32_e32 v23, 1, v3
	v_cmp_le_u32_e32 vcc, s2, v21
	v_lshlrev_b32_e32 v29, 3, v92
	v_lshlrev_b32_e32 v33, 6, v94
	v_cndmask_b32_e32 v3, v3, v23, vcc
	v_subrev_u32_e32 v23, s2, v21
	v_cndmask_b32_e32 v21, v21, v23, vcc
	v_add_u32_e32 v23, 1, v3
	v_cmp_le_u32_e32 vcc, s2, v21
	v_add_u32_e32 v27, v27, v29
	v_min_i32_e32 v110, s1, v54
	v_cndmask_b32_e32 v3, v3, v23, vcc
	v_xor_b32_e32 v3, v3, v19
	v_sub_u32_e32 v59, v3, v19
	v_and_b32_e32 v3, 0x1fc, v58
	v_add_u32_e32 v19, v25, v3
	v_and_b32_e32 v3, 0x1fc, v57
	v_add_u32_e32 v21, v25, v3
	;; [unrolled: 2-line block ×4, first 2 shown]
	v_and_b32_e32 v3, 3, v0
	v_add_u16_e32 v29, -2, v3
	v_cmp_gt_u32_e32 vcc, 2, v3
	v_lshlrev_b32_e32 v37, 6, v96
	v_and_b32_e32 v119, 7, v0
	v_cndmask_b32_e32 v55, v29, v3, vcc
	v_add_u32_e32 v29, v31, v33
	v_ashrrev_i32_e32 v33, 31, v110
	v_lshrrev_b32_e32 v33, 30, v33
	v_add_u32_e32 v31, v35, v37
	v_add_u32_e32 v33, v110, v33
	v_add_u32_e32 v37, 32, v54
	v_lshlrev_b32_e32 v38, 2, v119
	v_lshlrev_b32_e32 v43, 6, v98
	v_and_b32_e32 v33, -4, v33
	s_movk_i32 s2, 0x6300
	v_min_i32_e32 v112, s1, v37
	v_add3_u32 v60, v33, v38, s2
	v_add_u32_e32 v33, v42, v43
	v_ashrrev_i32_e32 v43, 31, v112
	v_lshlrev_b32_e32 v45, 6, v100
	v_lshrrev_b32_e32 v43, 30, v43
	v_lshlrev_b32_e32 v47, 6, v102
	v_add_u32_e32 v35, v44, v45
	v_add_u32_e32 v43, v112, v43
	;; [unrolled: 1-line block ×4, first 2 shown]
	v_and_b32_e32 v43, -4, v43
	v_min_i32_e32 v113, s1, v45
	v_add_u32_e32 v46, 0x60, v54
	v_add3_u32 v43, v43, v38, s2
	v_lshlrev_b32_e32 v44, 5, v112
	v_ashrrev_i32_e32 v45, 31, v113
	v_min_i32_e32 v115, s1, v46
	v_lshrrev_b32_e32 v45, 30, v45
	v_add_u32_e32 v69, v43, v44
	v_ashrrev_i32_e32 v43, 31, v115
	v_add_u32_e32 v45, v113, v45
	v_lshrrev_b32_e32 v43, 30, v43
	v_lshlrev_b32_e32 v42, 5, v110
	v_and_b32_e32 v45, -4, v45
	v_add_u32_e32 v43, v115, v43
	v_add3_u32 v45, v45, v38, s2
	v_add_u32_e32 v67, v60, v42
	v_lshlrev_b32_e32 v42, 5, v113
	v_and_b32_e32 v43, -4, v43
	v_add3_u32 v43, v43, v38, s2
	v_add_u32_e32 v71, v45, v42
	v_lshlrev_b32_e32 v42, 5, v115
	v_mov_b32_e32 v13, 0
	v_lshlrev_b32_e32 v49, 6, v104
	v_lshlrev_b32_e32 v51, 6, v106
	;; [unrolled: 1-line block ×3, first 2 shown]
	v_add_u32_e32 v73, v43, v42
	v_mov_b32_e32 v42, 2
	v_add_u32_e32 v77, 0x7ba0, v40
	v_add_u32_e32 v61, v48, v49
	;; [unrolled: 1-line block ×4, first 2 shown]
	v_lshlrev_b32_sdwa v44, v42, v55 dst_sel:DWORD dst_unused:UNUSED_PAD src0_sel:DWORD src1_sel:BYTE_0
	v_lshlrev_b32_e32 v75, 1, v3
	v_add_u32_e32 v79, v77, v2
	v_mad_u64_u32 v[46:47], s[2:3], v82, s0, v[2:3]
	v_mad_u64_u32 v[48:49], s[2:3], v84, s0, v[2:3]
	;; [unrolled: 1-line block ×5, first 2 shown]
	v_and_b32_e32 v2, 28, v2
	v_mov_b32_e32 v3, v13
	v_and_b32_e32 v40, 31, v0
	v_lshl_add_u32 v47, v40, 2, v17
	v_lshlrev_b32_e32 v40, 4, v56
	v_lshrrev_b32_e32 v42, 1, v56
	v_lshlrev_b32_e32 v43, 1, v56
	v_lshrrev_b32_e32 v60, 4, v56
	v_lshrrev_b32_e32 v49, 3, v56
	v_lshlrev_b32_e32 v62, 4, v57
	v_lshrrev_b32_e32 v64, 1, v57
	v_lshlrev_b32_e32 v66, 1, v57
	v_lshrrev_b32_e32 v68, 4, v57
	v_lshrrev_b32_e32 v51, 3, v57
	v_lshl_add_u64 v[56:57], s[14:15], 0, v[2:3]
	v_mul_u32_u24_e32 v2, 33, v11
	v_lshlrev_b32_e32 v55, 2, v2
	v_lshlrev_b32_e32 v2, 4, v11
	v_cmp_lt_u32_e64 s[2:3], 7, v4
	v_cmp_gt_u32_e32 vcc, 4, v11
	v_lshlrev_b32_e32 v107, 4, v58
	v_lshrrev_b32_e32 v105, 1, v58
	v_lshlrev_b32_e32 v111, 1, v58
	v_lshrrev_b32_e32 v109, 4, v58
	v_lshrrev_b32_e32 v53, 3, v58
	v_cmp_gt_i32_e64 s[0:1], s7, v59
	v_mul_lo_u32 v58, v59, s8
	v_lshlrev_b32_e32 v83, 2, v2
	v_lshlrev_b32_e32 v2, 1, v11
	v_cndmask_b32_e64 v118, 0, 1, s[2:3]
	v_cmp_lt_u32_e64 s[2:3], 3, v119
	s_movk_i32 s4, 0x6e
	s_mov_b32 s6, 0
	v_mov_b32_e32 v39, v13
	s_movk_i32 s23, 0xff
	v_mov_b32_e32 v45, v13
	s_and_b64 s[12:13], vcc, s[0:1]
	v_ashrrev_i32_e32 v59, 31, v58
	s_mov_b32 s24, 0x30303030
	s_movk_i32 s25, 0xe000
	s_movk_i32 s26, 0x3f00
	v_lshlrev_b32_e32 v81, 2, v41
	v_and_b32_e32 v85, 4, v2
	v_lshlrev_b32_e32 v87, 2, v2
	v_lshlrev_b32_e32 v89, 2, v42
	v_lshlrev_b32_e32 v91, 2, v40
	v_lshlrev_b32_e32 v93, 2, v60
	v_lshlrev_b32_e32 v95, 2, v43
	v_lshlrev_b32_e32 v97, 2, v64
	v_lshlrev_b32_e32 v99, 2, v62
	v_lshlrev_b32_e32 v101, 2, v68
	v_lshlrev_b32_e32 v103, 2, v66
	v_lshlrev_b32_e32 v105, 2, v105
	v_lshlrev_b32_e32 v107, 2, v107
	v_lshlrev_b32_e32 v109, 2, v109
	v_lshlrev_b32_e32 v111, 2, v111
	v_mov_b32_e32 v42, v13
	v_mov_b32_e32 v43, v13
	;; [unrolled: 1-line block ×4, first 2 shown]
	v_mul_lo_u32 v60, v5, s20
	v_mul_lo_u32 v62, v6, s20
	;; [unrolled: 1-line block ×29, first 2 shown]
	v_add_u32_e32 v113, 0x6f00, v19
	v_add_u32_e32 v115, 0x6b00, v21
	;; [unrolled: 1-line block ×3, first 2 shown]
	v_cndmask_b32_e64 v120, 0, 1, s[2:3]
	s_branch .LBB230_5
.LBB230_4:                              ;   in Loop: Header=BB230_5 Depth=1
	s_add_i32 s6, s6, 2
	s_cmp_ge_i32 s6, s20
	s_cbranch_scc1 .LBB230_37
.LBB230_5:                              ; =>This Loop Header: Depth=1
                                        ;     Child Loop BB230_11 Depth 2
                                        ;     Child Loop BB230_19 Depth 2
	;; [unrolled: 1-line block ×4, first 2 shown]
	s_mul_i32 s2, s6, 0x6e
	s_mul_hi_u32 s3, s6, 0x6e
	s_add_u32 s2, s21, s2
	s_addc_u32 s3, s22, s3
	v_mov_b64_e32 v[2:3], s[2:3]
	v_mad_u64_u32 v[4:5], s[2:3], v10, s4, v[2:3]
	v_mad_i64_i32 v[6:7], s[2:3], v60, s4, v[4:5]
	v_lshl_add_u64 v[6:7], v[6:7], 0, v[12:13]
	v_mad_i64_i32 v[8:9], s[2:3], v62, s4, v[4:5]
	v_mad_i64_i32 v[122:123], s[2:3], v64, s4, v[4:5]
	;; [unrolled: 1-line block ×7, first 2 shown]
	v_lshl_add_u64 v[8:9], v[8:9], 0, v[12:13]
	v_lshl_add_u64 v[122:123], v[122:123], 0, v[12:13]
	;; [unrolled: 1-line block ×7, first 2 shown]
	global_load_dword v119, v[6:7], off offset:32
	global_load_dword v121, v[8:9], off offset:32
	;; [unrolled: 1-line block ×8, first 2 shown]
	v_mad_i64_i32 v[6:7], s[2:3], v76, s4, v[4:5]
	v_lshl_add_u64 v[6:7], v[6:7], 0, v[12:13]
	v_mad_i64_i32 v[8:9], s[2:3], v78, s4, v[4:5]
	v_mad_i64_i32 v[122:123], s[2:3], v80, s4, v[4:5]
	;; [unrolled: 1-line block ×7, first 2 shown]
	v_lshl_add_u64 v[8:9], v[8:9], 0, v[12:13]
	v_lshl_add_u64 v[122:123], v[122:123], 0, v[12:13]
	;; [unrolled: 1-line block ×7, first 2 shown]
	global_load_dword v140, v[6:7], off offset:32
	global_load_dword v141, v[8:9], off offset:32
	;; [unrolled: 1-line block ×8, first 2 shown]
	v_mad_u64_u32 v[6:7], s[2:3], v118, s4, v[2:3]
	v_mad_i64_i32 v[4:5], s[2:3], v92, s4, v[2:3]
	v_lshl_add_u64 v[6:7], v[6:7], 0, v[38:39]
	v_mad_u64_u32 v[4:5], s[2:3], v36, s4, v[4:5]
	v_mad_i64_i32 v[126:127], s[2:3], v100, s4, v[6:7]
	v_mad_i64_i32 v[128:129], s[2:3], v102, s4, v[6:7]
	v_mad_u64_u32 v[2:3], s[2:3], v120, s4, v[2:3]
	v_mad_i64_i32 v[8:9], s[2:3], v94, s4, v[6:7]
	v_mad_i64_i32 v[122:123], s[2:3], v96, s4, v[6:7]
	;; [unrolled: 1-line block ×5, first 2 shown]
	global_load_ushort v148, v[4:5], off offset:108
	global_load_dword v149, v[8:9], off
	global_load_dword v150, v[122:123], off
	;; [unrolled: 1-line block ×3, first 2 shown]
	s_nop 0
	global_load_dword v126, v[126:127], off
	s_nop 0
	global_load_dword v127, v[128:129], off
	s_nop 0
	global_load_dword v128, v[130:131], off
	global_load_dword v129, v[132:133], off
	v_mad_i64_i32 v[4:5], s[2:3], v108, s4, v[6:7]
	v_mad_i64_i32 v[6:7], s[2:3], v110, s4, v[2:3]
	v_lshl_add_u64 v[8:9], v[6:7], 0, v[44:45]
	v_mad_i64_i32 v[122:123], s[2:3], v112, s4, v[2:3]
	v_mad_i64_i32 v[124:125], s[2:3], v114, s4, v[2:3]
	;; [unrolled: 1-line block ×3, first 2 shown]
	global_load_dword v130, v[4:5], off
	s_nop 0
	global_load_dword v8, v[8:9], off offset:96
	s_nop 0
	global_load_dword v9, v[2:3], off offset:104
	global_load_dword v131, v[124:125], off offset:104
	;; [unrolled: 1-line block ×3, first 2 shown]
	s_nop 0
	global_load_dword v6, v[6:7], off offset:104
	v_lshl_add_u64 v[4:5], v[122:123], 0, v[44:45]
	global_load_dword v7, v[4:5], off offset:96
	v_lshl_add_u64 v[4:5], v[124:125], 0, v[44:45]
	global_load_dword v4, v[4:5], off offset:96
	s_waitcnt vmcnt(31)
	ds_write_b32 v14, v119
	s_waitcnt vmcnt(30)
	ds_write_b32 v16, v121
	;; [unrolled: 2-line block ×9, first 2 shown]
	v_lshl_add_u64 v[2:3], v[2:3], 0, v[44:45]
	global_load_dword v2, v[2:3], off offset:96
	s_waitcnt vmcnt(23)
	ds_write_b32 v32, v141
	s_waitcnt vmcnt(22)
	ds_write_b32 v34, v142
	;; [unrolled: 2-line block ×4, first 2 shown]
	s_lshl_b32 s27, s6, 8
	s_cmp_lt_i32 s27, s5
	s_waitcnt vmcnt(16)
	v_cvt_f32_f16_e32 v3, v148
	ds_write_b32 v50, v145
	ds_write_b32 v52, v146
	;; [unrolled: 1-line block ×4, first 2 shown]
	s_waitcnt vmcnt(15)
	v_not_b32_e32 v3, v149
	ds_write_b32 v29, v3
	s_waitcnt vmcnt(14)
	v_not_b32_e32 v3, v150
	ds_write_b32 v31, v3
	;; [unrolled: 3-line block ×8, first 2 shown]
	s_waitcnt vmcnt(7)
	v_ashrrev_i32_e32 v3, v85, v8
	s_waitcnt vmcnt(3)
	v_ashrrev_i32_e32 v5, v75, v6
	v_and_b32_e32 v3, 0xf0f0f0f, v3
	v_lshlrev_b32_e32 v5, 4, v5
	v_and_or_b32 v3, v5, s24, v3
	v_lshlrev_b16_e32 v6, 8, v3
	v_add_u16_e32 v6, 0xe000, v6
	v_lshrrev_b32_e32 v5, 16, v3
	v_lshrrev_b16_e32 v6, 8, v6
	v_bitop3_b16 v3, v3, v6, s26 bitop3:0xec
	v_lshlrev_b16_e32 v6, 8, v5
	v_add_u16_e32 v6, 0xe000, v6
	v_lshrrev_b16_e32 v6, 8, v6
	v_bitop3_b16 v5, v5, v6, s26 bitop3:0xec
	v_add_u16_e32 v3, 0xe000, v3
	v_add_u16_sdwa v5, v5, s25 dst_sel:WORD_1 dst_unused:UNUSED_PAD src0_sel:DWORD src1_sel:DWORD
	s_waitcnt vmcnt(0)
	v_ashrrev_i32_e32 v2, v85, v2
	v_or_b32_e32 v3, v3, v5
	ds_write_b32 v67, v3
	v_ashrrev_i32_e32 v3, v85, v7
	v_ashrrev_i32_e32 v5, v75, v132
	v_and_b32_e32 v3, 0xf0f0f0f, v3
	v_lshlrev_b32_e32 v5, 4, v5
	v_and_or_b32 v3, v5, s24, v3
	v_lshlrev_b16_e32 v6, 8, v3
	v_add_u16_e32 v6, 0xe000, v6
	v_lshrrev_b32_e32 v5, 16, v3
	v_lshrrev_b16_e32 v6, 8, v6
	v_bitop3_b16 v3, v3, v6, s26 bitop3:0xec
	v_lshlrev_b16_e32 v6, 8, v5
	v_add_u16_e32 v6, 0xe000, v6
	v_lshrrev_b16_e32 v6, 8, v6
	v_bitop3_b16 v5, v5, v6, s26 bitop3:0xec
	v_add_u16_e32 v3, 0xe000, v3
	v_add_u16_sdwa v5, v5, s25 dst_sel:WORD_1 dst_unused:UNUSED_PAD src0_sel:DWORD src1_sel:DWORD
	v_and_b32_e32 v2, 0xf0f0f0f, v2
	v_or_b32_e32 v3, v3, v5
	ds_write_b32 v69, v3
	v_ashrrev_i32_e32 v3, v85, v4
	v_ashrrev_i32_e32 v4, v75, v131
	v_and_b32_e32 v3, 0xf0f0f0f, v3
	v_lshlrev_b32_e32 v4, 4, v4
	v_and_or_b32 v3, v4, s24, v3
	v_lshlrev_b16_e32 v5, 8, v3
	v_add_u16_e32 v5, 0xe000, v5
	v_lshrrev_b32_e32 v4, 16, v3
	v_lshrrev_b16_e32 v5, 8, v5
	v_bitop3_b16 v3, v3, v5, s26 bitop3:0xec
	v_lshlrev_b16_e32 v5, 8, v4
	v_add_u16_e32 v5, 0xe000, v5
	v_lshrrev_b16_e32 v5, 8, v5
	v_bitop3_b16 v4, v4, v5, s26 bitop3:0xec
	v_add_u16_e32 v3, 0xe000, v3
	v_add_u16_sdwa v4, v4, s25 dst_sel:WORD_1 dst_unused:UNUSED_PAD src0_sel:DWORD src1_sel:DWORD
	s_nop 0
	v_or_b32_e32 v3, v3, v4
	ds_write_b32 v71, v3
	v_ashrrev_i32_e32 v3, v75, v9
	v_lshlrev_b32_e32 v3, 4, v3
	v_and_or_b32 v2, v3, s24, v2
	v_lshlrev_b16_e32 v4, 8, v2
	v_add_u16_e32 v4, 0xe000, v4
	v_lshrrev_b32_e32 v3, 16, v2
	v_lshrrev_b16_e32 v4, 8, v4
	v_bitop3_b16 v2, v2, v4, s26 bitop3:0xec
	v_lshlrev_b16_e32 v4, 8, v3
	v_add_u16_e32 v4, 0xe000, v4
	v_lshrrev_b16_e32 v4, 8, v4
	v_bitop3_b16 v3, v3, v4, s26 bitop3:0xec
	v_add_u16_e32 v2, 0xe000, v2
	v_add_u16_sdwa v3, v3, s25 dst_sel:WORD_1 dst_unused:UNUSED_PAD src0_sel:DWORD src1_sel:DWORD
	s_nop 0
	v_or_b32_e32 v2, v2, v3
	ds_write_b32 v73, v2
	s_cbranch_scc0 .LBB230_4
; %bb.6:                                ;   in Loop: Header=BB230_5 Depth=1
	s_lshl_b32 s28, s6, 3
	v_add_u32_e32 v2, s28, v15
	v_cmp_gt_i32_e64 s[2:3], s8, v2
	s_and_b64 s[18:19], s[0:1], s[2:3]
	s_and_saveexec_b64 s[2:3], s[18:19]
	s_cbranch_execz .LBB230_8
; %bb.7:                                ;   in Loop: Header=BB230_5 Depth=1
	v_add_u32_e32 v2, v58, v2
	v_mad_i64_i32 v[2:3], s[18:19], v2, 36, v[56:57]
	global_load_dword v2, v[2:3], off offset:4
	s_waitcnt vmcnt(0)
	ds_write_b32 v47, v2
.LBB230_8:                              ;   in Loop: Header=BB230_5 Depth=1
	s_or_b64 exec, exec, s[2:3]
	v_add_u32_e32 v122, s28, v11
	v_cmp_gt_i32_e64 s[2:3], s8, v122
	s_and_b64 s[18:19], s[12:13], s[2:3]
	s_and_saveexec_b64 s[2:3], s[18:19]
	s_cbranch_execz .LBB230_10
; %bb.9:                                ;   in Loop: Header=BB230_5 Depth=1
	v_add_u32_e32 v2, v58, v122
	v_mad_i64_i32 v[2:3], s[18:19], v2, 36, s[14:15]
	global_load_dword v2, v[2:3], off
	s_waitcnt vmcnt(0)
	v_cvt_f32_f16_e32 v2, v2
	ds_write_b32 v79, v2
.LBB230_10:                             ;   in Loop: Header=BB230_5 Depth=1
	s_or_b64 exec, exec, s[2:3]
	s_mov_b32 s19, -2
	s_mov_b32 s2, 0
	v_mov_b32_e32 v121, v77
	v_mov_b32_e32 v123, v17
	s_mov_b32 s3, 0
	s_waitcnt lgkmcnt(0)
	s_barrier
.LBB230_11:                             ;   Parent Loop BB230_5 Depth=1
                                        ; =>  This Inner Loop Header: Depth=2
	s_add_i32 s18, s19, 2
	s_lshr_b32 s31, s18, 4
	s_and_b32 s30, s18, 0x3ffffff8
	v_lshl_add_u32 v125, s30, 2, v55
	s_lshl_b32 s30, s31, 5
	s_addk_i32 s30, 0x4200
	v_add3_u32 v130, s30, v81, v83
	ds_read_b32 v124, v121
	ds_read_b128 v[6:9], v123
	ds_read_b128 v[2:5], v123 offset:16
	ds_read2_b32 v[126:127], v125 offset1:1
	ds_read2_b32 v[128:129], v130 offset1:1
	s_and_b32 s29, s3, -16
	s_add_i32 s29, s19, s29
	s_lshl_b32 s19, s31, 2
	s_waitcnt lgkmcnt(1)
	v_ashrrev_i32_e32 v119, s18, v126
	s_waitcnt lgkmcnt(0)
	v_ashrrev_i32_e32 v128, s2, v128
	v_lshlrev_b32_e32 v128, 2, v128
	v_bfe_u32 v126, v119, 24, 2
	v_and_b32_e32 v119, 0x3030303, v119
	v_and_b32_e32 v128, 0x4040404, v128
	v_sub_u16_e32 v131, v119, v128
	v_sub_u16_sdwa v132, v119, v128 dst_sel:BYTE_1 dst_unused:UNUSED_PAD src0_sel:BYTE_1 src1_sel:BYTE_1
	v_sub_u16_sdwa v119, v119, v128 dst_sel:DWORD dst_unused:UNUSED_PAD src0_sel:WORD_1 src1_sel:WORD_1
	v_sub_u16_sdwa v126, v126, v128 dst_sel:BYTE_1 dst_unused:UNUSED_PAD src0_sel:DWORD src1_sel:BYTE_3
	v_bitop3_b16 v131, v131, v132, s23 bitop3:0xec
	v_bitop3_b16 v119, v119, v126, s23 bitop3:0xec
	v_lshlrev_b32_e32 v119, 16, v119
	v_or_b32_sdwa v131, v131, v119 dst_sel:DWORD dst_unused:UNUSED_PAD src0_sel:WORD_0 src1_sel:DWORD
	v_ashrrev_i32_e32 v119, s18, v127
	v_ashrrev_i32_e32 v127, s2, v129
	v_lshlrev_b32_e32 v127, 2, v127
	v_bfe_u32 v126, v119, 24, 2
	v_and_b32_e32 v119, 0x3030303, v119
	v_and_b32_e32 v127, 0x4040404, v127
	v_sub_u16_e32 v128, v119, v127
	v_sub_u16_sdwa v129, v119, v127 dst_sel:BYTE_1 dst_unused:UNUSED_PAD src0_sel:BYTE_1 src1_sel:BYTE_1
	v_sub_u16_sdwa v119, v119, v127 dst_sel:DWORD dst_unused:UNUSED_PAD src0_sel:WORD_1 src1_sel:WORD_1
	v_sub_u16_sdwa v126, v126, v127 dst_sel:BYTE_1 dst_unused:UNUSED_PAD src0_sel:DWORD src1_sel:BYTE_3
	v_bitop3_b16 v128, v128, v129, s23 bitop3:0xec
	v_bitop3_b16 v119, v119, v126, s23 bitop3:0xec
	v_lshlrev_b32_e32 v119, 16, v119
	v_or_b32_sdwa v132, v128, v119 dst_sel:DWORD dst_unused:UNUSED_PAD src0_sel:WORD_0 src1_sel:DWORD
	ds_read2_b32 v[126:127], v125 offset0:2 offset1:3
	ds_read2_b32 v[128:129], v130 offset0:2 offset1:3
	s_addk_i32 s19, 0x7380
	s_add_i32 s3, s3, 2
	v_add_u32_e32 v123, 32, v123
	s_waitcnt lgkmcnt(1)
	v_ashrrev_i32_e32 v119, s18, v126
	s_waitcnt lgkmcnt(0)
	v_ashrrev_i32_e32 v128, s2, v128
	v_lshlrev_b32_e32 v128, 2, v128
	v_bfe_u32 v126, v119, 24, 2
	v_and_b32_e32 v119, 0x3030303, v119
	v_and_b32_e32 v128, 0x4040404, v128
	v_sub_u16_e32 v133, v119, v128
	v_sub_u16_sdwa v134, v119, v128 dst_sel:BYTE_1 dst_unused:UNUSED_PAD src0_sel:BYTE_1 src1_sel:BYTE_1
	v_sub_u16_sdwa v119, v119, v128 dst_sel:DWORD dst_unused:UNUSED_PAD src0_sel:WORD_1 src1_sel:WORD_1
	v_sub_u16_sdwa v126, v126, v128 dst_sel:BYTE_1 dst_unused:UNUSED_PAD src0_sel:DWORD src1_sel:BYTE_3
	v_bitop3_b16 v133, v133, v134, s23 bitop3:0xec
	v_bitop3_b16 v119, v119, v126, s23 bitop3:0xec
	v_lshlrev_b32_e32 v119, 16, v119
	v_or_b32_sdwa v133, v133, v119 dst_sel:DWORD dst_unused:UNUSED_PAD src0_sel:WORD_0 src1_sel:DWORD
	v_ashrrev_i32_e32 v119, s18, v127
	v_ashrrev_i32_e32 v127, s2, v129
	v_lshlrev_b32_e32 v127, 2, v127
	v_bfe_u32 v126, v119, 24, 2
	v_and_b32_e32 v119, 0x3030303, v119
	v_and_b32_e32 v127, 0x4040404, v127
	v_sub_u16_e32 v128, v119, v127
	v_sub_u16_sdwa v129, v119, v127 dst_sel:BYTE_1 dst_unused:UNUSED_PAD src0_sel:BYTE_1 src1_sel:BYTE_1
	v_sub_u16_sdwa v119, v119, v127 dst_sel:DWORD dst_unused:UNUSED_PAD src0_sel:WORD_1 src1_sel:WORD_1
	v_sub_u16_sdwa v126, v126, v127 dst_sel:BYTE_1 dst_unused:UNUSED_PAD src0_sel:DWORD src1_sel:BYTE_3
	v_bitop3_b16 v128, v128, v129, s23 bitop3:0xec
	v_bitop3_b16 v119, v119, v126, s23 bitop3:0xec
	v_lshlrev_b32_e32 v119, 16, v119
	v_or_b32_sdwa v134, v128, v119 dst_sel:DWORD dst_unused:UNUSED_PAD src0_sel:WORD_0 src1_sel:DWORD
	ds_read2_b32 v[126:127], v125 offset0:4 offset1:5
	ds_read2_b32 v[128:129], v130 offset0:4 offset1:5
	v_add_u32_e32 v121, 4, v121
	s_waitcnt lgkmcnt(1)
	v_ashrrev_i32_e32 v119, s18, v126
	s_waitcnt lgkmcnt(0)
	v_ashrrev_i32_e32 v128, s2, v128
	v_lshlrev_b32_e32 v128, 2, v128
	v_bfe_u32 v126, v119, 24, 2
	v_and_b32_e32 v119, 0x3030303, v119
	v_and_b32_e32 v128, 0x4040404, v128
	v_sub_u16_e32 v135, v119, v128
	v_sub_u16_sdwa v136, v119, v128 dst_sel:BYTE_1 dst_unused:UNUSED_PAD src0_sel:BYTE_1 src1_sel:BYTE_1
	v_sub_u16_sdwa v119, v119, v128 dst_sel:DWORD dst_unused:UNUSED_PAD src0_sel:WORD_1 src1_sel:WORD_1
	v_sub_u16_sdwa v126, v126, v128 dst_sel:BYTE_1 dst_unused:UNUSED_PAD src0_sel:DWORD src1_sel:BYTE_3
	v_bitop3_b16 v135, v135, v136, s23 bitop3:0xec
	v_bitop3_b16 v119, v119, v126, s23 bitop3:0xec
	v_lshlrev_b32_e32 v119, 16, v119
	v_or_b32_sdwa v135, v135, v119 dst_sel:DWORD dst_unused:UNUSED_PAD src0_sel:WORD_0 src1_sel:DWORD
	v_ashrrev_i32_e32 v119, s18, v127
	v_ashrrev_i32_e32 v127, s2, v129
	v_lshlrev_b32_e32 v127, 2, v127
	v_bfe_u32 v126, v119, 24, 2
	v_and_b32_e32 v119, 0x3030303, v119
	v_and_b32_e32 v127, 0x4040404, v127
	v_sub_u16_e32 v128, v119, v127
	v_sub_u16_sdwa v129, v119, v127 dst_sel:BYTE_1 dst_unused:UNUSED_PAD src0_sel:BYTE_1 src1_sel:BYTE_1
	v_sub_u16_sdwa v119, v119, v127 dst_sel:DWORD dst_unused:UNUSED_PAD src0_sel:WORD_1 src1_sel:WORD_1
	v_sub_u16_sdwa v126, v126, v127 dst_sel:BYTE_1 dst_unused:UNUSED_PAD src0_sel:DWORD src1_sel:BYTE_3
	v_bitop3_b16 v128, v128, v129, s23 bitop3:0xec
	v_bitop3_b16 v119, v119, v126, s23 bitop3:0xec
	v_lshlrev_b32_e32 v119, 16, v119
	v_or_b32_sdwa v136, v128, v119 dst_sel:DWORD dst_unused:UNUSED_PAD src0_sel:WORD_0 src1_sel:DWORD
	ds_read2_b32 v[126:127], v125 offset0:6 offset1:7
	ds_read2_b32 v[128:129], v130 offset0:6 offset1:7
	s_waitcnt lgkmcnt(1)
	v_ashrrev_i32_e32 v119, s18, v126
	s_waitcnt lgkmcnt(0)
	v_ashrrev_i32_e32 v128, s2, v128
	v_lshlrev_b32_e32 v128, 2, v128
	v_bfe_u32 v126, v119, 24, 2
	v_and_b32_e32 v119, 0x3030303, v119
	v_and_b32_e32 v128, 0x4040404, v128
	v_sub_u16_e32 v130, v119, v128
	v_sub_u16_sdwa v137, v119, v128 dst_sel:BYTE_1 dst_unused:UNUSED_PAD src0_sel:BYTE_1 src1_sel:BYTE_1
	v_sub_u16_sdwa v119, v119, v128 dst_sel:DWORD dst_unused:UNUSED_PAD src0_sel:WORD_1 src1_sel:WORD_1
	v_sub_u16_sdwa v126, v126, v128 dst_sel:BYTE_1 dst_unused:UNUSED_PAD src0_sel:DWORD src1_sel:BYTE_3
	v_bitop3_b16 v130, v130, v137, s23 bitop3:0xec
	v_bitop3_b16 v119, v119, v126, s23 bitop3:0xec
	v_lshlrev_b32_e32 v119, 16, v119
	v_or_b32_sdwa v128, v130, v119 dst_sel:DWORD dst_unused:UNUSED_PAD src0_sel:WORD_0 src1_sel:DWORD
	v_ashrrev_i32_e32 v119, s18, v127
	v_ashrrev_i32_e32 v127, s2, v129
	v_lshlrev_b32_e32 v127, 2, v127
	v_bfe_u32 v126, v119, 24, 2
	v_and_b32_e32 v119, 0x3030303, v119
	v_and_b32_e32 v127, 0x4040404, v127
	v_sub_u16_e32 v129, v119, v127
	v_sub_u16_sdwa v130, v119, v127 dst_sel:BYTE_1 dst_unused:UNUSED_PAD src0_sel:BYTE_1 src1_sel:BYTE_1
	v_sub_u16_sdwa v119, v119, v127 dst_sel:DWORD dst_unused:UNUSED_PAD src0_sel:WORD_1 src1_sel:WORD_1
	v_bitop3_b16 v129, v129, v130, s23 bitop3:0xec
	v_mov_b32_e32 v130, 0
	v_dot4c_i32_i8_e32 v130, v131, v6
	v_dot4c_i32_i8_e32 v130, v132, v7
	v_dot4c_i32_i8_e32 v130, v133, v8
	v_sub_u16_sdwa v126, v126, v127 dst_sel:BYTE_1 dst_unused:UNUSED_PAD src0_sel:DWORD src1_sel:BYTE_3
	v_dot4c_i32_i8_e32 v130, v134, v9
	v_mov_b32_e32 v134, 0
	v_bitop3_b16 v119, v119, v126, s23 bitop3:0xec
	v_dot4c_i32_i8_e32 v134, v135, v2
	v_lshlrev_b32_e32 v119, 16, v119
	v_dot4c_i32_i8_e32 v134, v136, v3
	v_or_b32_sdwa v127, v129, v119 dst_sel:DWORD dst_unused:UNUSED_PAD src0_sel:WORD_0 src1_sel:DWORD
	v_add_u32_e32 v129, s29, v117
	v_dot4c_i32_i8_e32 v134, v128, v4
	v_dot4c_i32_i8_e32 v134, v127, v5
	ds_read_u16 v127, v129 offset:2
	v_lshlrev_b32_e32 v119, 2, v10
	v_add3_u32 v126, s19, v119, v87
	v_add3_u32 v135, s30, v89, v91
	ds_read_b32 v126, v126
	ds_read2_b32 v[132:133], v135 offset1:1
	s_waitcnt lgkmcnt(2)
	v_lshrrev_b16_e32 v128, 8, v127
	v_bfe_i32 v127, v127, 0, 8
	v_bfe_i32 v129, v128, 0, 8
	v_mul_lo_u32 v128, v130, v127
	v_add_u32_e32 v127, 0x1080, v125
	ds_read2_b32 v[130:131], v127 offset1:1
	s_waitcnt lgkmcnt(1)
	v_ashrrev_i32_e32 v132, s2, v132
	v_lshlrev_b32_e32 v132, 2, v132
	v_and_b32_e32 v132, 0x4040404, v132
	v_mad_u64_u32 v[128:129], s[34:35], v134, v129, v[128:129]
	s_waitcnt lgkmcnt(0)
	v_ashrrev_i32_e32 v127, s18, v130
	v_bfe_u32 v130, v127, 24, 2
	v_and_b32_e32 v127, 0x3030303, v127
	v_sub_u16_e32 v136, v127, v132
	v_sub_u16_sdwa v137, v127, v132 dst_sel:BYTE_1 dst_unused:UNUSED_PAD src0_sel:BYTE_1 src1_sel:BYTE_1
	v_sub_u16_sdwa v127, v127, v132 dst_sel:DWORD dst_unused:UNUSED_PAD src0_sel:WORD_1 src1_sel:WORD_1
	v_sub_u16_sdwa v130, v130, v132 dst_sel:BYTE_1 dst_unused:UNUSED_PAD src0_sel:DWORD src1_sel:BYTE_3
	v_bitop3_b16 v136, v136, v137, s23 bitop3:0xec
	v_bitop3_b16 v127, v127, v130, s23 bitop3:0xec
	v_lshlrev_b32_e32 v127, 16, v127
	v_or_b32_sdwa v136, v136, v127 dst_sel:DWORD dst_unused:UNUSED_PAD src0_sel:WORD_0 src1_sel:DWORD
	v_ashrrev_i32_e32 v127, s18, v131
	v_ashrrev_i32_e32 v131, s2, v133
	v_lshlrev_b32_e32 v131, 2, v131
	v_bfe_u32 v130, v127, 24, 2
	v_and_b32_e32 v127, 0x3030303, v127
	v_and_b32_e32 v131, 0x4040404, v131
	v_sub_u16_e32 v132, v127, v131
	v_sub_u16_sdwa v133, v127, v131 dst_sel:BYTE_1 dst_unused:UNUSED_PAD src0_sel:BYTE_1 src1_sel:BYTE_1
	v_sub_u16_sdwa v127, v127, v131 dst_sel:DWORD dst_unused:UNUSED_PAD src0_sel:WORD_1 src1_sel:WORD_1
	v_sub_u16_sdwa v130, v130, v131 dst_sel:BYTE_1 dst_unused:UNUSED_PAD src0_sel:DWORD src1_sel:BYTE_3
	v_bitop3_b16 v132, v132, v133, s23 bitop3:0xec
	v_bitop3_b16 v127, v127, v130, s23 bitop3:0xec
	v_lshlrev_b32_e32 v127, 16, v127
	v_or_b32_sdwa v137, v132, v127 dst_sel:DWORD dst_unused:UNUSED_PAD src0_sel:WORD_0 src1_sel:DWORD
	v_add_u32_e32 v127, 0x1088, v125
	ds_read2_b32 v[130:131], v127 offset1:1
	ds_read2_b32 v[132:133], v135 offset0:2 offset1:3
	v_cvt_f32_i32_e32 v128, v128
	s_waitcnt lgkmcnt(1)
	v_ashrrev_i32_e32 v127, s18, v130
	s_waitcnt lgkmcnt(0)
	v_ashrrev_i32_e32 v132, s2, v132
	v_lshlrev_b32_e32 v132, 2, v132
	v_bfe_u32 v130, v127, 24, 2
	v_and_b32_e32 v127, 0x3030303, v127
	v_and_b32_e32 v132, 0x4040404, v132
	v_sub_u16_e32 v138, v127, v132
	v_sub_u16_sdwa v139, v127, v132 dst_sel:BYTE_1 dst_unused:UNUSED_PAD src0_sel:BYTE_1 src1_sel:BYTE_1
	v_sub_u16_sdwa v127, v127, v132 dst_sel:DWORD dst_unused:UNUSED_PAD src0_sel:WORD_1 src1_sel:WORD_1
	v_sub_u16_sdwa v130, v130, v132 dst_sel:BYTE_1 dst_unused:UNUSED_PAD src0_sel:DWORD src1_sel:BYTE_3
	v_bitop3_b16 v138, v138, v139, s23 bitop3:0xec
	v_bitop3_b16 v127, v127, v130, s23 bitop3:0xec
	v_lshlrev_b32_e32 v127, 16, v127
	v_or_b32_sdwa v138, v138, v127 dst_sel:DWORD dst_unused:UNUSED_PAD src0_sel:WORD_0 src1_sel:DWORD
	v_ashrrev_i32_e32 v127, s18, v131
	v_ashrrev_i32_e32 v131, s2, v133
	v_lshlrev_b32_e32 v131, 2, v131
	v_bfe_u32 v130, v127, 24, 2
	v_and_b32_e32 v127, 0x3030303, v127
	v_and_b32_e32 v131, 0x4040404, v131
	v_sub_u16_e32 v132, v127, v131
	v_sub_u16_sdwa v133, v127, v131 dst_sel:BYTE_1 dst_unused:UNUSED_PAD src0_sel:BYTE_1 src1_sel:BYTE_1
	v_sub_u16_sdwa v127, v127, v131 dst_sel:DWORD dst_unused:UNUSED_PAD src0_sel:WORD_1 src1_sel:WORD_1
	v_sub_u16_sdwa v130, v130, v131 dst_sel:BYTE_1 dst_unused:UNUSED_PAD src0_sel:DWORD src1_sel:BYTE_3
	v_bitop3_b16 v132, v132, v133, s23 bitop3:0xec
	v_bitop3_b16 v127, v127, v130, s23 bitop3:0xec
	v_lshlrev_b32_e32 v127, 16, v127
	v_or_b32_sdwa v139, v132, v127 dst_sel:DWORD dst_unused:UNUSED_PAD src0_sel:WORD_0 src1_sel:DWORD
	v_add_u32_e32 v127, 0x1090, v125
	ds_read2_b32 v[130:131], v127 offset1:1
	ds_read2_b32 v[132:133], v135 offset0:4 offset1:5
	s_waitcnt lgkmcnt(1)
	v_ashrrev_i32_e32 v127, s18, v130
	s_waitcnt lgkmcnt(0)
	v_ashrrev_i32_e32 v132, s2, v132
	v_lshlrev_b32_e32 v132, 2, v132
	v_bfe_u32 v130, v127, 24, 2
	v_and_b32_e32 v127, 0x3030303, v127
	v_and_b32_e32 v132, 0x4040404, v132
	v_sub_u16_e32 v140, v127, v132
	v_sub_u16_sdwa v141, v127, v132 dst_sel:BYTE_1 dst_unused:UNUSED_PAD src0_sel:BYTE_1 src1_sel:BYTE_1
	v_sub_u16_sdwa v127, v127, v132 dst_sel:DWORD dst_unused:UNUSED_PAD src0_sel:WORD_1 src1_sel:WORD_1
	v_sub_u16_sdwa v130, v130, v132 dst_sel:BYTE_1 dst_unused:UNUSED_PAD src0_sel:DWORD src1_sel:BYTE_3
	v_bitop3_b16 v140, v140, v141, s23 bitop3:0xec
	v_bitop3_b16 v127, v127, v130, s23 bitop3:0xec
	v_lshlrev_b32_e32 v127, 16, v127
	v_or_b32_sdwa v140, v140, v127 dst_sel:DWORD dst_unused:UNUSED_PAD src0_sel:WORD_0 src1_sel:DWORD
	v_ashrrev_i32_e32 v127, s18, v131
	v_ashrrev_i32_e32 v131, s2, v133
	v_lshlrev_b32_e32 v131, 2, v131
	v_bfe_u32 v130, v127, 24, 2
	v_and_b32_e32 v127, 0x3030303, v127
	v_and_b32_e32 v131, 0x4040404, v131
	v_sub_u16_e32 v132, v127, v131
	v_sub_u16_sdwa v133, v127, v131 dst_sel:BYTE_1 dst_unused:UNUSED_PAD src0_sel:BYTE_1 src1_sel:BYTE_1
	v_sub_u16_sdwa v127, v127, v131 dst_sel:DWORD dst_unused:UNUSED_PAD src0_sel:WORD_1 src1_sel:WORD_1
	v_sub_u16_sdwa v130, v130, v131 dst_sel:BYTE_1 dst_unused:UNUSED_PAD src0_sel:DWORD src1_sel:BYTE_3
	v_bitop3_b16 v132, v132, v133, s23 bitop3:0xec
	v_bitop3_b16 v127, v127, v130, s23 bitop3:0xec
	v_lshlrev_b32_e32 v127, 16, v127
	v_or_b32_sdwa v141, v132, v127 dst_sel:DWORD dst_unused:UNUSED_PAD src0_sel:WORD_0 src1_sel:DWORD
	v_add_u32_e32 v127, 0x1098, v125
	ds_read2_b32 v[130:131], v127 offset1:1
	ds_read2_b32 v[132:133], v135 offset0:6 offset1:7
	s_waitcnt lgkmcnt(1)
	v_ashrrev_i32_e32 v127, s18, v130
	s_waitcnt lgkmcnt(0)
	v_ashrrev_i32_e32 v132, s2, v132
	v_lshlrev_b32_e32 v132, 2, v132
	v_bfe_u32 v130, v127, 24, 2
	v_and_b32_e32 v127, 0x3030303, v127
	v_and_b32_e32 v132, 0x4040404, v132
	v_sub_u16_e32 v135, v127, v132
	v_sub_u16_sdwa v142, v127, v132 dst_sel:BYTE_1 dst_unused:UNUSED_PAD src0_sel:BYTE_1 src1_sel:BYTE_1
	v_sub_u16_sdwa v127, v127, v132 dst_sel:DWORD dst_unused:UNUSED_PAD src0_sel:WORD_1 src1_sel:WORD_1
	v_sub_u16_sdwa v130, v130, v132 dst_sel:BYTE_1 dst_unused:UNUSED_PAD src0_sel:DWORD src1_sel:BYTE_3
	v_bitop3_b16 v135, v135, v142, s23 bitop3:0xec
	v_bitop3_b16 v127, v127, v130, s23 bitop3:0xec
	v_lshlrev_b32_e32 v127, 16, v127
	v_or_b32_sdwa v132, v135, v127 dst_sel:DWORD dst_unused:UNUSED_PAD src0_sel:WORD_0 src1_sel:DWORD
	v_ashrrev_i32_e32 v127, s18, v131
	v_ashrrev_i32_e32 v131, s2, v133
	v_lshlrev_b32_e32 v131, 2, v131
	v_bfe_u32 v130, v127, 24, 2
	v_and_b32_e32 v127, 0x3030303, v127
	v_and_b32_e32 v131, 0x4040404, v131
	v_sub_u16_e32 v133, v127, v131
	v_sub_u16_sdwa v135, v127, v131 dst_sel:BYTE_1 dst_unused:UNUSED_PAD src0_sel:BYTE_1 src1_sel:BYTE_1
	v_sub_u16_sdwa v127, v127, v131 dst_sel:DWORD dst_unused:UNUSED_PAD src0_sel:WORD_1 src1_sel:WORD_1
	v_sub_u16_sdwa v130, v130, v131 dst_sel:BYTE_1 dst_unused:UNUSED_PAD src0_sel:DWORD src1_sel:BYTE_3
	v_bitop3_b16 v133, v133, v135, s23 bitop3:0xec
	v_bitop3_b16 v127, v127, v130, s23 bitop3:0xec
	v_lshlrev_b32_e32 v127, 16, v127
	v_or_b32_sdwa v131, v133, v127 dst_sel:DWORD dst_unused:UNUSED_PAD src0_sel:WORD_0 src1_sel:DWORD
	v_add_u32_e32 v130, s29, v23
	v_add3_u32 v127, s19, v93, v95
	ds_read_b32 v127, v127
	ds_read_u16 v130, v130 offset:26370
	v_mov_b32_e32 v133, 0
	v_dot4c_i32_i8_e32 v133, v136, v6
	v_dot4c_i32_i8_e32 v133, v137, v7
	;; [unrolled: 1-line block ×4, first 2 shown]
	s_waitcnt lgkmcnt(0)
	v_lshrrev_b16_e32 v135, 8, v130
	v_bfe_i32 v130, v130, 0, 8
	v_pk_mul_f32 v[126:127], v[124:125], v[126:127] op_sel_hi:[0,1]
	v_mul_lo_u32 v130, v133, v130
	v_mov_b32_e32 v133, 0
	v_dot4c_i32_i8_e32 v133, v140, v2
	v_dot4c_i32_i8_e32 v133, v141, v3
	;; [unrolled: 1-line block ×4, first 2 shown]
	v_bfe_i32 v131, v135, 0, 8
	v_add3_u32 v136, s30, v97, v99
	v_add3_u32 v140, s30, v105, v107
	v_mad_u64_u32 v[130:131], s[34:35], v133, v131, v[130:131]
	v_cvt_f32_i32_e32 v129, v130
	ds_read2_b32 v[130:131], v136 offset1:1
	v_pk_fma_f32 v[42:43], v[126:127], v[128:129], v[42:43]
	v_add_u32_e32 v126, 0x2100, v125
	ds_read2_b32 v[128:129], v126 offset1:1
	s_waitcnt lgkmcnt(0)
	v_ashrrev_i32_e32 v126, s18, v128
	v_ashrrev_i32_e32 v128, s2, v130
	v_lshlrev_b32_e32 v128, 2, v128
	v_bfe_u32 v127, v126, 24, 2
	v_and_b32_e32 v126, 0x3030303, v126
	v_and_b32_e32 v128, 0x4040404, v128
	v_sub_u16_e32 v130, v126, v128
	v_sub_u16_sdwa v132, v126, v128 dst_sel:BYTE_1 dst_unused:UNUSED_PAD src0_sel:BYTE_1 src1_sel:BYTE_1
	v_sub_u16_sdwa v126, v126, v128 dst_sel:DWORD dst_unused:UNUSED_PAD src0_sel:WORD_1 src1_sel:WORD_1
	v_sub_u16_sdwa v127, v127, v128 dst_sel:BYTE_1 dst_unused:UNUSED_PAD src0_sel:DWORD src1_sel:BYTE_3
	v_bitop3_b16 v130, v130, v132, s23 bitop3:0xec
	v_bitop3_b16 v126, v126, v127, s23 bitop3:0xec
	v_lshlrev_b32_e32 v126, 16, v126
	v_or_b32_sdwa v127, v130, v126 dst_sel:DWORD dst_unused:UNUSED_PAD src0_sel:WORD_0 src1_sel:DWORD
	v_ashrrev_i32_e32 v126, s18, v129
	v_ashrrev_i32_e32 v129, s2, v131
	v_lshlrev_b32_e32 v129, 2, v129
	v_bfe_u32 v128, v126, 24, 2
	v_and_b32_e32 v126, 0x3030303, v126
	v_and_b32_e32 v129, 0x4040404, v129
	v_sub_u16_e32 v130, v126, v129
	v_sub_u16_sdwa v131, v126, v129 dst_sel:BYTE_1 dst_unused:UNUSED_PAD src0_sel:BYTE_1 src1_sel:BYTE_1
	v_sub_u16_sdwa v126, v126, v129 dst_sel:DWORD dst_unused:UNUSED_PAD src0_sel:WORD_1 src1_sel:WORD_1
	v_sub_u16_sdwa v128, v128, v129 dst_sel:BYTE_1 dst_unused:UNUSED_PAD src0_sel:DWORD src1_sel:BYTE_3
	v_bitop3_b16 v130, v130, v131, s23 bitop3:0xec
	v_bitop3_b16 v126, v126, v128, s23 bitop3:0xec
	v_lshlrev_b32_e32 v126, 16, v126
	v_or_b32_sdwa v128, v130, v126 dst_sel:DWORD dst_unused:UNUSED_PAD src0_sel:WORD_0 src1_sel:DWORD
	v_add_u32_e32 v126, 0x2108, v125
	ds_read2_b32 v[130:131], v126 offset1:1
	ds_read2_b32 v[132:133], v136 offset0:2 offset1:3
	s_waitcnt lgkmcnt(1)
	v_ashrrev_i32_e32 v126, s18, v130
	s_waitcnt lgkmcnt(0)
	v_ashrrev_i32_e32 v130, s2, v132
	v_lshlrev_b32_e32 v130, 2, v130
	v_bfe_u32 v129, v126, 24, 2
	v_and_b32_e32 v126, 0x3030303, v126
	v_and_b32_e32 v130, 0x4040404, v130
	v_sub_u16_e32 v132, v126, v130
	v_sub_u16_sdwa v134, v126, v130 dst_sel:BYTE_1 dst_unused:UNUSED_PAD src0_sel:BYTE_1 src1_sel:BYTE_1
	v_sub_u16_sdwa v126, v126, v130 dst_sel:DWORD dst_unused:UNUSED_PAD src0_sel:WORD_1 src1_sel:WORD_1
	v_sub_u16_sdwa v129, v129, v130 dst_sel:BYTE_1 dst_unused:UNUSED_PAD src0_sel:DWORD src1_sel:BYTE_3
	v_bitop3_b16 v132, v132, v134, s23 bitop3:0xec
	v_bitop3_b16 v126, v126, v129, s23 bitop3:0xec
	v_lshlrev_b32_e32 v126, 16, v126
	v_or_b32_sdwa v129, v132, v126 dst_sel:DWORD dst_unused:UNUSED_PAD src0_sel:WORD_0 src1_sel:DWORD
	v_ashrrev_i32_e32 v126, s18, v131
	v_ashrrev_i32_e32 v131, s2, v133
	v_lshlrev_b32_e32 v131, 2, v131
	v_bfe_u32 v130, v126, 24, 2
	v_and_b32_e32 v126, 0x3030303, v126
	v_and_b32_e32 v131, 0x4040404, v131
	v_sub_u16_e32 v132, v126, v131
	v_sub_u16_sdwa v133, v126, v131 dst_sel:BYTE_1 dst_unused:UNUSED_PAD src0_sel:BYTE_1 src1_sel:BYTE_1
	v_sub_u16_sdwa v126, v126, v131 dst_sel:DWORD dst_unused:UNUSED_PAD src0_sel:WORD_1 src1_sel:WORD_1
	v_sub_u16_sdwa v130, v130, v131 dst_sel:BYTE_1 dst_unused:UNUSED_PAD src0_sel:DWORD src1_sel:BYTE_3
	v_bitop3_b16 v132, v132, v133, s23 bitop3:0xec
	v_bitop3_b16 v126, v126, v130, s23 bitop3:0xec
	v_lshlrev_b32_e32 v126, 16, v126
	v_or_b32_sdwa v130, v132, v126 dst_sel:DWORD dst_unused:UNUSED_PAD src0_sel:WORD_0 src1_sel:DWORD
	v_add_u32_e32 v126, 0x2110, v125
	ds_read2_b32 v[132:133], v126 offset1:1
	ds_read2_b32 v[134:135], v136 offset0:4 offset1:5
	s_waitcnt lgkmcnt(1)
	v_ashrrev_i32_e32 v126, s18, v132
	s_waitcnt lgkmcnt(0)
	;; [unrolled: 33-line block ×3, first 2 shown]
	v_ashrrev_i32_e32 v134, s2, v134
	v_lshlrev_b32_e32 v134, 2, v134
	v_bfe_u32 v132, v126, 24, 2
	v_and_b32_e32 v126, 0x3030303, v126
	v_and_b32_e32 v134, 0x4040404, v134
	v_sub_u16_e32 v136, v126, v134
	v_sub_u16_sdwa v138, v126, v134 dst_sel:BYTE_1 dst_unused:UNUSED_PAD src0_sel:BYTE_1 src1_sel:BYTE_1
	v_sub_u16_sdwa v126, v126, v134 dst_sel:DWORD dst_unused:UNUSED_PAD src0_sel:WORD_1 src1_sel:WORD_1
	v_sub_u16_sdwa v132, v132, v134 dst_sel:BYTE_1 dst_unused:UNUSED_PAD src0_sel:DWORD src1_sel:BYTE_3
	v_bitop3_b16 v136, v136, v138, s23 bitop3:0xec
	v_bitop3_b16 v126, v126, v132, s23 bitop3:0xec
	v_lshlrev_b32_e32 v126, 16, v126
	v_ashrrev_i32_e32 v134, s2, v135
	v_or_b32_sdwa v132, v136, v126 dst_sel:DWORD dst_unused:UNUSED_PAD src0_sel:WORD_0 src1_sel:DWORD
	v_ashrrev_i32_e32 v126, s18, v133
	v_lshlrev_b32_e32 v134, 2, v134
	v_bfe_u32 v133, v126, 24, 2
	v_and_b32_e32 v126, 0x3030303, v126
	v_and_b32_e32 v134, 0x4040404, v134
	v_sub_u16_e32 v135, v126, v134
	v_sub_u16_sdwa v136, v126, v134 dst_sel:BYTE_1 dst_unused:UNUSED_PAD src0_sel:BYTE_1 src1_sel:BYTE_1
	v_sub_u16_sdwa v126, v126, v134 dst_sel:DWORD dst_unused:UNUSED_PAD src0_sel:WORD_1 src1_sel:WORD_1
	v_sub_u16_sdwa v133, v133, v134 dst_sel:BYTE_1 dst_unused:UNUSED_PAD src0_sel:DWORD src1_sel:BYTE_3
	v_bitop3_b16 v135, v135, v136, s23 bitop3:0xec
	v_bitop3_b16 v126, v126, v133, s23 bitop3:0xec
	v_lshlrev_b32_e32 v126, 16, v126
	v_or_b32_sdwa v133, v135, v126 dst_sel:DWORD dst_unused:UNUSED_PAD src0_sel:WORD_0 src1_sel:DWORD
	v_add_u32_e32 v134, s29, v115
	v_mov_b32_e32 v135, 0
	v_dot4c_i32_i8_e32 v135, v127, v6
	ds_read_u16 v127, v134 offset:2
	v_dot4c_i32_i8_e32 v135, v128, v7
	v_dot4c_i32_i8_e32 v135, v129, v8
	v_mov_b32_e32 v129, 0
	v_dot4c_i32_i8_e32 v129, v131, v2
	v_dot4c_i32_i8_e32 v135, v130, v9
	;; [unrolled: 1-line block ×3, first 2 shown]
	s_waitcnt lgkmcnt(0)
	v_lshrrev_b16_e32 v128, 8, v127
	v_bfe_i32 v127, v127, 0, 8
	v_add3_u32 v126, s19, v101, v103
	v_dot4c_i32_i8_e32 v129, v132, v4
	v_bfe_i32 v130, v128, 0, 8
	v_mul_lo_u32 v128, v135, v127
	v_add_u32_e32 v127, 0x3180, v125
	ds_read_b32 v126, v126
	ds_read2_b32 v[134:135], v140 offset1:1
	v_dot4c_i32_i8_e32 v129, v133, v5
	ds_read2_b32 v[132:133], v127 offset1:1
	s_waitcnt lgkmcnt(0)
	v_ashrrev_i32_e32 v127, s18, v132
	v_ashrrev_i32_e32 v132, s2, v134
	v_lshlrev_b32_e32 v132, 2, v132
	v_bfe_u32 v131, v127, 24, 2
	v_and_b32_e32 v127, 0x3030303, v127
	v_and_b32_e32 v132, 0x4040404, v132
	v_sub_u16_e32 v134, v127, v132
	v_sub_u16_sdwa v136, v127, v132 dst_sel:BYTE_1 dst_unused:UNUSED_PAD src0_sel:BYTE_1 src1_sel:BYTE_1
	v_sub_u16_sdwa v127, v127, v132 dst_sel:DWORD dst_unused:UNUSED_PAD src0_sel:WORD_1 src1_sel:WORD_1
	v_sub_u16_sdwa v131, v131, v132 dst_sel:BYTE_1 dst_unused:UNUSED_PAD src0_sel:DWORD src1_sel:BYTE_3
	v_bitop3_b16 v134, v134, v136, s23 bitop3:0xec
	v_bitop3_b16 v127, v127, v131, s23 bitop3:0xec
	v_lshlrev_b32_e32 v127, 16, v127
	v_or_b32_sdwa v131, v134, v127 dst_sel:DWORD dst_unused:UNUSED_PAD src0_sel:WORD_0 src1_sel:DWORD
	v_ashrrev_i32_e32 v127, s18, v133
	v_ashrrev_i32_e32 v133, s2, v135
	v_lshlrev_b32_e32 v133, 2, v133
	v_bfe_u32 v132, v127, 24, 2
	v_and_b32_e32 v127, 0x3030303, v127
	v_and_b32_e32 v133, 0x4040404, v133
	v_sub_u16_e32 v134, v127, v133
	v_sub_u16_sdwa v135, v127, v133 dst_sel:BYTE_1 dst_unused:UNUSED_PAD src0_sel:BYTE_1 src1_sel:BYTE_1
	v_sub_u16_sdwa v127, v127, v133 dst_sel:DWORD dst_unused:UNUSED_PAD src0_sel:WORD_1 src1_sel:WORD_1
	v_sub_u16_sdwa v132, v132, v133 dst_sel:BYTE_1 dst_unused:UNUSED_PAD src0_sel:DWORD src1_sel:BYTE_3
	v_bitop3_b16 v134, v134, v135, s23 bitop3:0xec
	v_bitop3_b16 v127, v127, v132, s23 bitop3:0xec
	v_lshlrev_b32_e32 v127, 16, v127
	v_or_b32_sdwa v132, v134, v127 dst_sel:DWORD dst_unused:UNUSED_PAD src0_sel:WORD_0 src1_sel:DWORD
	v_add_u32_e32 v127, 0x3188, v125
	ds_read2_b32 v[134:135], v127 offset1:1
	ds_read2_b32 v[136:137], v140 offset0:2 offset1:3
	s_waitcnt lgkmcnt(1)
	v_ashrrev_i32_e32 v127, s18, v134
	s_waitcnt lgkmcnt(0)
	v_ashrrev_i32_e32 v134, s2, v136
	v_lshlrev_b32_e32 v134, 2, v134
	v_bfe_u32 v133, v127, 24, 2
	v_and_b32_e32 v127, 0x3030303, v127
	v_and_b32_e32 v134, 0x4040404, v134
	v_sub_u16_e32 v136, v127, v134
	v_sub_u16_sdwa v138, v127, v134 dst_sel:BYTE_1 dst_unused:UNUSED_PAD src0_sel:BYTE_1 src1_sel:BYTE_1
	v_sub_u16_sdwa v127, v127, v134 dst_sel:DWORD dst_unused:UNUSED_PAD src0_sel:WORD_1 src1_sel:WORD_1
	v_sub_u16_sdwa v133, v133, v134 dst_sel:BYTE_1 dst_unused:UNUSED_PAD src0_sel:DWORD src1_sel:BYTE_3
	v_bitop3_b16 v136, v136, v138, s23 bitop3:0xec
	v_bitop3_b16 v127, v127, v133, s23 bitop3:0xec
	v_lshlrev_b32_e32 v127, 16, v127
	v_or_b32_sdwa v133, v136, v127 dst_sel:DWORD dst_unused:UNUSED_PAD src0_sel:WORD_0 src1_sel:DWORD
	v_ashrrev_i32_e32 v127, s18, v135
	v_ashrrev_i32_e32 v135, s2, v137
	v_lshlrev_b32_e32 v135, 2, v135
	v_bfe_u32 v134, v127, 24, 2
	v_and_b32_e32 v127, 0x3030303, v127
	v_and_b32_e32 v135, 0x4040404, v135
	v_sub_u16_e32 v136, v127, v135
	v_sub_u16_sdwa v137, v127, v135 dst_sel:BYTE_1 dst_unused:UNUSED_PAD src0_sel:BYTE_1 src1_sel:BYTE_1
	v_sub_u16_sdwa v127, v127, v135 dst_sel:DWORD dst_unused:UNUSED_PAD src0_sel:WORD_1 src1_sel:WORD_1
	v_sub_u16_sdwa v134, v134, v135 dst_sel:BYTE_1 dst_unused:UNUSED_PAD src0_sel:DWORD src1_sel:BYTE_3
	v_bitop3_b16 v136, v136, v137, s23 bitop3:0xec
	v_bitop3_b16 v127, v127, v134, s23 bitop3:0xec
	v_lshlrev_b32_e32 v127, 16, v127
	v_or_b32_sdwa v134, v136, v127 dst_sel:DWORD dst_unused:UNUSED_PAD src0_sel:WORD_0 src1_sel:DWORD
	v_add_u32_e32 v127, 0x3190, v125
	ds_read2_b32 v[136:137], v127 offset1:1
	ds_read2_b32 v[138:139], v140 offset0:4 offset1:5
	v_add_u32_e32 v125, 0x3198, v125
	s_waitcnt lgkmcnt(1)
	v_ashrrev_i32_e32 v127, s18, v136
	s_waitcnt lgkmcnt(0)
	v_ashrrev_i32_e32 v136, s2, v138
	v_lshlrev_b32_e32 v136, 2, v136
	v_bfe_u32 v135, v127, 24, 2
	v_and_b32_e32 v127, 0x3030303, v127
	v_and_b32_e32 v136, 0x4040404, v136
	v_sub_u16_e32 v138, v127, v136
	v_sub_u16_sdwa v141, v127, v136 dst_sel:BYTE_1 dst_unused:UNUSED_PAD src0_sel:BYTE_1 src1_sel:BYTE_1
	v_sub_u16_sdwa v127, v127, v136 dst_sel:DWORD dst_unused:UNUSED_PAD src0_sel:WORD_1 src1_sel:WORD_1
	v_sub_u16_sdwa v135, v135, v136 dst_sel:BYTE_1 dst_unused:UNUSED_PAD src0_sel:DWORD src1_sel:BYTE_3
	v_bitop3_b16 v138, v138, v141, s23 bitop3:0xec
	v_bitop3_b16 v127, v127, v135, s23 bitop3:0xec
	v_lshlrev_b32_e32 v127, 16, v127
	v_or_b32_sdwa v135, v138, v127 dst_sel:DWORD dst_unused:UNUSED_PAD src0_sel:WORD_0 src1_sel:DWORD
	v_ashrrev_i32_e32 v127, s18, v137
	v_ashrrev_i32_e32 v137, s2, v139
	v_lshlrev_b32_e32 v137, 2, v137
	v_bfe_u32 v136, v127, 24, 2
	v_and_b32_e32 v127, 0x3030303, v127
	v_and_b32_e32 v137, 0x4040404, v137
	v_sub_u16_e32 v138, v127, v137
	v_sub_u16_sdwa v139, v127, v137 dst_sel:BYTE_1 dst_unused:UNUSED_PAD src0_sel:BYTE_1 src1_sel:BYTE_1
	v_sub_u16_sdwa v127, v127, v137 dst_sel:DWORD dst_unused:UNUSED_PAD src0_sel:WORD_1 src1_sel:WORD_1
	v_sub_u16_sdwa v136, v136, v137 dst_sel:BYTE_1 dst_unused:UNUSED_PAD src0_sel:DWORD src1_sel:BYTE_3
	v_bitop3_b16 v138, v138, v139, s23 bitop3:0xec
	v_bitop3_b16 v127, v127, v136, s23 bitop3:0xec
	v_lshlrev_b32_e32 v127, 16, v127
	ds_read2_b32 v[140:141], v140 offset0:6 offset1:7
	v_or_b32_sdwa v136, v138, v127 dst_sel:DWORD dst_unused:UNUSED_PAD src0_sel:WORD_0 src1_sel:DWORD
	ds_read2_b32 v[138:139], v125 offset1:1
	s_waitcnt lgkmcnt(1)
	v_ashrrev_i32_e32 v137, s2, v140
	v_lshlrev_b32_e32 v137, 2, v137
	s_waitcnt lgkmcnt(0)
	v_ashrrev_i32_e32 v125, s18, v138
	v_bfe_u32 v127, v125, 24, 2
	v_and_b32_e32 v125, 0x3030303, v125
	v_and_b32_e32 v137, 0x4040404, v137
	v_sub_u16_e32 v138, v125, v137
	v_sub_u16_sdwa v140, v125, v137 dst_sel:BYTE_1 dst_unused:UNUSED_PAD src0_sel:BYTE_1 src1_sel:BYTE_1
	v_sub_u16_sdwa v125, v125, v137 dst_sel:DWORD dst_unused:UNUSED_PAD src0_sel:WORD_1 src1_sel:WORD_1
	v_sub_u16_sdwa v127, v127, v137 dst_sel:BYTE_1 dst_unused:UNUSED_PAD src0_sel:DWORD src1_sel:BYTE_3
	v_bitop3_b16 v138, v138, v140, s23 bitop3:0xec
	v_bitop3_b16 v125, v125, v127, s23 bitop3:0xec
	v_lshlrev_b32_e32 v125, 16, v125
	v_or_b32_sdwa v125, v138, v125 dst_sel:DWORD dst_unused:UNUSED_PAD src0_sel:WORD_0 src1_sel:DWORD
	v_ashrrev_i32_e32 v138, s2, v141
	v_ashrrev_i32_e32 v127, s18, v139
	v_lshlrev_b32_e32 v138, 2, v138
	v_bfe_u32 v137, v127, 24, 2
	v_and_b32_e32 v127, 0x3030303, v127
	v_and_b32_e32 v138, 0x4040404, v138
	v_sub_u16_e32 v139, v127, v138
	v_sub_u16_sdwa v140, v127, v138 dst_sel:BYTE_1 dst_unused:UNUSED_PAD src0_sel:BYTE_1 src1_sel:BYTE_1
	v_sub_u16_sdwa v127, v127, v138 dst_sel:DWORD dst_unused:UNUSED_PAD src0_sel:WORD_1 src1_sel:WORD_1
	v_sub_u16_sdwa v137, v137, v138 dst_sel:BYTE_1 dst_unused:UNUSED_PAD src0_sel:DWORD src1_sel:BYTE_3
	v_bitop3_b16 v139, v139, v140, s23 bitop3:0xec
	v_bitop3_b16 v127, v127, v137, s23 bitop3:0xec
	v_lshlrev_b32_e32 v127, 16, v127
	v_or_b32_sdwa v137, v139, v127 dst_sel:DWORD dst_unused:UNUSED_PAD src0_sel:WORD_0 src1_sel:DWORD
	v_mov_b32_e32 v139, 0
	v_add_u32_e32 v138, s29, v113
	v_add3_u32 v127, s19, v109, v111
	v_dot4c_i32_i8_e32 v139, v131, v6
	v_mov_b32_e32 v6, 0
	ds_read_b32 v127, v127
	v_dot4c_i32_i8_e32 v6, v135, v2
	ds_read_u16 v2, v138 offset:2
	v_dot4c_i32_i8_e32 v139, v132, v7
	v_dot4c_i32_i8_e32 v139, v133, v8
	;; [unrolled: 1-line block ×5, first 2 shown]
	s_waitcnt lgkmcnt(0)
	v_lshrrev_b16_e32 v3, 8, v2
	v_bfe_i32 v2, v2, 0, 8
	v_dot4c_i32_i8_e32 v6, v137, v5
	v_bfe_i32 v5, v3, 0, 8
	v_mul_lo_u32 v4, v139, v2
	v_mad_u64_u32 v[2:3], s[30:31], v129, v130, v[128:129]
	v_mad_u64_u32 v[4:5], s[30:31], v6, v5, v[4:5]
	v_cvt_f32_i32_e32 v3, v4
	v_cvt_f32_i32_e32 v2, v2
	v_pk_mul_f32 v[6:7], v[124:125], v[126:127] op_sel_hi:[0,1]
	s_add_i32 s2, s2, 1
	s_cmp_lt_u32 s18, 6
	v_pk_fma_f32 v[40:41], v[6:7], v[2:3], v[40:41]
	s_mov_b32 s19, s18
	s_cbranch_scc1 .LBB230_11
; %bb.12:                               ;   in Loop: Header=BB230_5 Depth=1
	s_or_b32 s2, s27, 0x80
	s_cmp_ge_i32 s2, s5
	s_barrier
	s_cbranch_scc1 .LBB230_4
; %bb.13:                               ;   in Loop: Header=BB230_5 Depth=1
	v_add_u32_e32 v2, s28, v49
	v_cmp_gt_i32_e64 s[2:3], s8, v2
	s_and_b64 s[18:19], s[0:1], s[2:3]
	s_and_saveexec_b64 s[2:3], s[18:19]
	s_cbranch_execz .LBB230_15
; %bb.14:                               ;   in Loop: Header=BB230_5 Depth=1
	v_add_u32_e32 v2, v58, v2
	v_mad_i64_i32 v[2:3], s[18:19], v2, 36, v[56:57]
	global_load_dword v2, v[2:3], off offset:4
	s_waitcnt vmcnt(0)
	ds_write_b32 v47, v2
.LBB230_15:                             ;   in Loop: Header=BB230_5 Depth=1
	s_or_b64 exec, exec, s[2:3]
	s_and_saveexec_b64 s[18:19], vcc
	s_cbranch_execz .LBB230_18
; %bb.16:                               ;   in Loop: Header=BB230_5 Depth=1
	v_or_b32_e32 v2, 4, v122
	v_cmp_gt_i32_e64 s[2:3], s8, v2
	s_and_b64 s[2:3], s[0:1], s[2:3]
	s_and_b64 exec, exec, s[2:3]
	s_cbranch_execz .LBB230_18
; %bb.17:                               ;   in Loop: Header=BB230_5 Depth=1
	v_ashrrev_i32_e32 v123, 31, v122
	v_lshl_add_u64 v[2:3], v[58:59], 0, v[122:123]
	v_mad_u64_u32 v[4:5], s[2:3], v2, 36, s[14:15]
	v_mad_i32_i24 v5, v3, 36, v5
	global_load_dword v2, v[4:5], off offset:144
	s_waitcnt vmcnt(0)
	v_cvt_f32_f16_e32 v2, v2
	ds_write_b32 v79, v2
.LBB230_18:                             ;   in Loop: Header=BB230_5 Depth=1
	s_or_b64 exec, exec, s[18:19]
	s_mov_b32 s2, 8
	s_mov_b32 s29, 6
	;; [unrolled: 1-line block ×3, first 2 shown]
	v_mov_b32_e32 v121, v17
	v_mov_b32_e32 v123, v77
	s_waitcnt lgkmcnt(0)
	s_barrier
.LBB230_19:                             ;   Parent Loop BB230_5 Depth=1
                                        ; =>  This Inner Loop Header: Depth=2
	s_add_i32 s18, s29, 2
	s_lshr_b32 s33, s18, 4
	s_and_b32 s31, s18, 0x3ffffff8
	v_lshl_add_u32 v125, s31, 2, v55
	s_lshl_b32 s31, s33, 5
	s_addk_i32 s31, 0x4200
	v_add3_u32 v131, s31, v81, v83
	ds_read_b32 v124, v123
	ds_read_b128 v[6:9], v121
	ds_read_b128 v[2:5], v121 offset:16
	ds_read2_b32 v[126:127], v125 offset1:1
	ds_read2_b32 v[128:129], v131 offset1:1
	s_add_i32 s19, s29, -6
	s_and_b32 s30, s2, -16
	s_add_i32 s30, s29, s30
	s_waitcnt lgkmcnt(1)
	v_ashrrev_i32_e32 v126, s19, v126
	s_waitcnt lgkmcnt(0)
	v_ashrrev_i32_e32 v128, s3, v128
	v_lshlrev_b32_e32 v128, 2, v128
	v_bfe_u32 v130, v126, 24, 2
	v_and_b32_e32 v126, 0x3030303, v126
	v_and_b32_e32 v128, 0x4040404, v128
	v_sub_u16_e32 v132, v126, v128
	v_sub_u16_sdwa v133, v126, v128 dst_sel:BYTE_1 dst_unused:UNUSED_PAD src0_sel:BYTE_1 src1_sel:BYTE_1
	v_sub_u16_sdwa v126, v126, v128 dst_sel:DWORD dst_unused:UNUSED_PAD src0_sel:WORD_1 src1_sel:WORD_1
	v_sub_u16_sdwa v128, v130, v128 dst_sel:BYTE_1 dst_unused:UNUSED_PAD src0_sel:DWORD src1_sel:BYTE_3
	v_bitop3_b16 v132, v132, v133, s23 bitop3:0xec
	v_bitop3_b16 v126, v126, v128, s23 bitop3:0xec
	v_lshlrev_b32_e32 v126, 16, v126
	v_ashrrev_i32_e32 v128, s3, v129
	v_or_b32_sdwa v130, v132, v126 dst_sel:DWORD dst_unused:UNUSED_PAD src0_sel:WORD_0 src1_sel:DWORD
	v_ashrrev_i32_e32 v126, s19, v127
	v_lshlrev_b32_e32 v128, 2, v128
	v_bfe_u32 v127, v126, 24, 2
	v_and_b32_e32 v126, 0x3030303, v126
	v_and_b32_e32 v128, 0x4040404, v128
	v_sub_u16_e32 v129, v126, v128
	v_sub_u16_sdwa v132, v126, v128 dst_sel:BYTE_1 dst_unused:UNUSED_PAD src0_sel:BYTE_1 src1_sel:BYTE_1
	v_sub_u16_sdwa v126, v126, v128 dst_sel:DWORD dst_unused:UNUSED_PAD src0_sel:WORD_1 src1_sel:WORD_1
	v_sub_u16_sdwa v127, v127, v128 dst_sel:BYTE_1 dst_unused:UNUSED_PAD src0_sel:DWORD src1_sel:BYTE_3
	v_bitop3_b16 v129, v129, v132, s23 bitop3:0xec
	v_bitop3_b16 v126, v126, v127, s23 bitop3:0xec
	v_lshlrev_b32_e32 v126, 16, v126
	v_or_b32_sdwa v132, v129, v126 dst_sel:DWORD dst_unused:UNUSED_PAD src0_sel:WORD_0 src1_sel:DWORD
	ds_read2_b32 v[126:127], v125 offset0:2 offset1:3
	ds_read2_b32 v[128:129], v131 offset0:2 offset1:3
	s_lshl_b32 s29, s33, 2
	s_addk_i32 s29, 0x7380
	s_add_i32 s2, s2, 2
	s_waitcnt lgkmcnt(1)
	v_ashrrev_i32_e32 v126, s19, v126
	s_waitcnt lgkmcnt(0)
	v_ashrrev_i32_e32 v128, s3, v128
	v_lshlrev_b32_e32 v128, 2, v128
	v_bfe_u32 v133, v126, 24, 2
	v_and_b32_e32 v126, 0x3030303, v126
	v_and_b32_e32 v128, 0x4040404, v128
	v_sub_u16_e32 v134, v126, v128
	v_sub_u16_sdwa v135, v126, v128 dst_sel:BYTE_1 dst_unused:UNUSED_PAD src0_sel:BYTE_1 src1_sel:BYTE_1
	v_sub_u16_sdwa v126, v126, v128 dst_sel:DWORD dst_unused:UNUSED_PAD src0_sel:WORD_1 src1_sel:WORD_1
	v_sub_u16_sdwa v128, v133, v128 dst_sel:BYTE_1 dst_unused:UNUSED_PAD src0_sel:DWORD src1_sel:BYTE_3
	v_bitop3_b16 v134, v134, v135, s23 bitop3:0xec
	v_bitop3_b16 v126, v126, v128, s23 bitop3:0xec
	v_lshlrev_b32_e32 v126, 16, v126
	v_ashrrev_i32_e32 v128, s3, v129
	v_or_b32_sdwa v133, v134, v126 dst_sel:DWORD dst_unused:UNUSED_PAD src0_sel:WORD_0 src1_sel:DWORD
	v_ashrrev_i32_e32 v126, s19, v127
	v_lshlrev_b32_e32 v128, 2, v128
	v_bfe_u32 v127, v126, 24, 2
	v_and_b32_e32 v126, 0x3030303, v126
	v_and_b32_e32 v128, 0x4040404, v128
	v_sub_u16_e32 v129, v126, v128
	v_sub_u16_sdwa v134, v126, v128 dst_sel:BYTE_1 dst_unused:UNUSED_PAD src0_sel:BYTE_1 src1_sel:BYTE_1
	v_sub_u16_sdwa v126, v126, v128 dst_sel:DWORD dst_unused:UNUSED_PAD src0_sel:WORD_1 src1_sel:WORD_1
	v_sub_u16_sdwa v127, v127, v128 dst_sel:BYTE_1 dst_unused:UNUSED_PAD src0_sel:DWORD src1_sel:BYTE_3
	v_bitop3_b16 v129, v129, v134, s23 bitop3:0xec
	v_bitop3_b16 v126, v126, v127, s23 bitop3:0xec
	v_lshlrev_b32_e32 v126, 16, v126
	v_or_b32_sdwa v134, v129, v126 dst_sel:DWORD dst_unused:UNUSED_PAD src0_sel:WORD_0 src1_sel:DWORD
	ds_read2_b32 v[126:127], v125 offset0:4 offset1:5
	ds_read2_b32 v[128:129], v131 offset0:4 offset1:5
	v_add_u32_e32 v123, 4, v123
	v_add_u32_e32 v121, 32, v121
	s_waitcnt lgkmcnt(1)
	v_ashrrev_i32_e32 v126, s19, v126
	s_waitcnt lgkmcnt(0)
	v_ashrrev_i32_e32 v128, s3, v128
	v_lshlrev_b32_e32 v128, 2, v128
	v_bfe_u32 v135, v126, 24, 2
	v_and_b32_e32 v126, 0x3030303, v126
	v_and_b32_e32 v128, 0x4040404, v128
	v_sub_u16_e32 v136, v126, v128
	v_sub_u16_sdwa v137, v126, v128 dst_sel:BYTE_1 dst_unused:UNUSED_PAD src0_sel:BYTE_1 src1_sel:BYTE_1
	v_sub_u16_sdwa v126, v126, v128 dst_sel:DWORD dst_unused:UNUSED_PAD src0_sel:WORD_1 src1_sel:WORD_1
	v_sub_u16_sdwa v128, v135, v128 dst_sel:BYTE_1 dst_unused:UNUSED_PAD src0_sel:DWORD src1_sel:BYTE_3
	v_bitop3_b16 v136, v136, v137, s23 bitop3:0xec
	v_bitop3_b16 v126, v126, v128, s23 bitop3:0xec
	v_lshlrev_b32_e32 v126, 16, v126
	v_ashrrev_i32_e32 v128, s3, v129
	v_or_b32_sdwa v135, v136, v126 dst_sel:DWORD dst_unused:UNUSED_PAD src0_sel:WORD_0 src1_sel:DWORD
	v_ashrrev_i32_e32 v126, s19, v127
	v_lshlrev_b32_e32 v128, 2, v128
	v_bfe_u32 v127, v126, 24, 2
	v_and_b32_e32 v126, 0x3030303, v126
	v_and_b32_e32 v128, 0x4040404, v128
	v_sub_u16_e32 v129, v126, v128
	v_sub_u16_sdwa v136, v126, v128 dst_sel:BYTE_1 dst_unused:UNUSED_PAD src0_sel:BYTE_1 src1_sel:BYTE_1
	v_sub_u16_sdwa v126, v126, v128 dst_sel:DWORD dst_unused:UNUSED_PAD src0_sel:WORD_1 src1_sel:WORD_1
	v_sub_u16_sdwa v127, v127, v128 dst_sel:BYTE_1 dst_unused:UNUSED_PAD src0_sel:DWORD src1_sel:BYTE_3
	v_bitop3_b16 v129, v129, v136, s23 bitop3:0xec
	v_bitop3_b16 v126, v126, v127, s23 bitop3:0xec
	v_lshlrev_b32_e32 v126, 16, v126
	v_or_b32_sdwa v136, v129, v126 dst_sel:DWORD dst_unused:UNUSED_PAD src0_sel:WORD_0 src1_sel:DWORD
	ds_read2_b32 v[126:127], v125 offset0:6 offset1:7
	ds_read2_b32 v[128:129], v131 offset0:6 offset1:7
	s_waitcnt lgkmcnt(1)
	v_ashrrev_i32_e32 v126, s19, v126
	s_waitcnt lgkmcnt(0)
	v_ashrrev_i32_e32 v128, s3, v128
	v_lshlrev_b32_e32 v128, 2, v128
	v_bfe_u32 v137, v126, 24, 2
	v_and_b32_e32 v126, 0x3030303, v126
	v_and_b32_e32 v128, 0x4040404, v128
	v_sub_u16_e32 v131, v126, v128
	v_sub_u16_sdwa v138, v126, v128 dst_sel:BYTE_1 dst_unused:UNUSED_PAD src0_sel:BYTE_1 src1_sel:BYTE_1
	v_sub_u16_sdwa v126, v126, v128 dst_sel:DWORD dst_unused:UNUSED_PAD src0_sel:WORD_1 src1_sel:WORD_1
	v_sub_u16_sdwa v128, v137, v128 dst_sel:BYTE_1 dst_unused:UNUSED_PAD src0_sel:DWORD src1_sel:BYTE_3
	v_bitop3_b16 v131, v131, v138, s23 bitop3:0xec
	v_bitop3_b16 v126, v126, v128, s23 bitop3:0xec
	v_lshlrev_b32_e32 v126, 16, v126
	v_ashrrev_i32_e32 v129, s3, v129
	v_or_b32_sdwa v128, v131, v126 dst_sel:DWORD dst_unused:UNUSED_PAD src0_sel:WORD_0 src1_sel:DWORD
	v_ashrrev_i32_e32 v126, s19, v127
	v_lshlrev_b32_e32 v129, 2, v129
	v_bfe_u32 v127, v126, 24, 2
	v_and_b32_e32 v126, 0x3030303, v126
	v_and_b32_e32 v129, 0x4040404, v129
	v_sub_u16_e32 v131, v126, v129
	v_sub_u16_sdwa v137, v126, v129 dst_sel:BYTE_1 dst_unused:UNUSED_PAD src0_sel:BYTE_1 src1_sel:BYTE_1
	v_sub_u16_sdwa v126, v126, v129 dst_sel:DWORD dst_unused:UNUSED_PAD src0_sel:WORD_1 src1_sel:WORD_1
	v_sub_u16_sdwa v127, v127, v129 dst_sel:BYTE_1 dst_unused:UNUSED_PAD src0_sel:DWORD src1_sel:BYTE_3
	v_bitop3_b16 v131, v131, v137, s23 bitop3:0xec
	v_bitop3_b16 v126, v126, v127, s23 bitop3:0xec
	v_lshlrev_b32_e32 v126, 16, v126
	v_or_b32_sdwa v127, v131, v126 dst_sel:DWORD dst_unused:UNUSED_PAD src0_sel:WORD_0 src1_sel:DWORD
	v_mov_b32_e32 v131, 0
	v_dot4c_i32_i8_e32 v131, v130, v6
	v_dot4c_i32_i8_e32 v131, v132, v7
	v_dot4c_i32_i8_e32 v131, v133, v8
	v_dot4c_i32_i8_e32 v131, v134, v9
	v_mov_b32_e32 v134, 0
	v_dot4c_i32_i8_e32 v134, v135, v2
	v_dot4c_i32_i8_e32 v134, v136, v3
	v_add_u32_e32 v129, s30, v25
	v_dot4c_i32_i8_e32 v134, v128, v4
	v_dot4c_i32_i8_e32 v134, v127, v5
	ds_read_u16 v127, v129 offset:25346
	v_add3_u32 v126, s29, v119, v87
	v_add3_u32 v135, s31, v89, v91
	ds_read_b32 v126, v126
	ds_read2_b32 v[132:133], v135 offset1:1
	s_waitcnt lgkmcnt(2)
	v_lshrrev_b16_e32 v128, 8, v127
	v_bfe_i32 v127, v127, 0, 8
	v_bfe_i32 v129, v128, 0, 8
	v_mul_lo_u32 v128, v131, v127
	v_add_u32_e32 v127, 0x1080, v125
	ds_read2_b32 v[130:131], v127 offset1:1
	s_waitcnt lgkmcnt(1)
	v_ashrrev_i32_e32 v132, s3, v132
	v_lshlrev_b32_e32 v132, 2, v132
	v_and_b32_e32 v132, 0x4040404, v132
	v_mad_u64_u32 v[128:129], s[34:35], v134, v129, v[128:129]
	s_waitcnt lgkmcnt(0)
	v_ashrrev_i32_e32 v127, s19, v130
	v_bfe_u32 v130, v127, 24, 2
	v_and_b32_e32 v127, 0x3030303, v127
	v_sub_u16_e32 v136, v127, v132
	v_sub_u16_sdwa v137, v127, v132 dst_sel:BYTE_1 dst_unused:UNUSED_PAD src0_sel:BYTE_1 src1_sel:BYTE_1
	v_sub_u16_sdwa v127, v127, v132 dst_sel:DWORD dst_unused:UNUSED_PAD src0_sel:WORD_1 src1_sel:WORD_1
	v_sub_u16_sdwa v130, v130, v132 dst_sel:BYTE_1 dst_unused:UNUSED_PAD src0_sel:DWORD src1_sel:BYTE_3
	v_bitop3_b16 v136, v136, v137, s23 bitop3:0xec
	v_bitop3_b16 v127, v127, v130, s23 bitop3:0xec
	v_lshlrev_b32_e32 v127, 16, v127
	v_or_b32_sdwa v136, v136, v127 dst_sel:DWORD dst_unused:UNUSED_PAD src0_sel:WORD_0 src1_sel:DWORD
	v_ashrrev_i32_e32 v127, s19, v131
	v_ashrrev_i32_e32 v131, s3, v133
	v_lshlrev_b32_e32 v131, 2, v131
	v_bfe_u32 v130, v127, 24, 2
	v_and_b32_e32 v127, 0x3030303, v127
	v_and_b32_e32 v131, 0x4040404, v131
	v_sub_u16_e32 v132, v127, v131
	v_sub_u16_sdwa v133, v127, v131 dst_sel:BYTE_1 dst_unused:UNUSED_PAD src0_sel:BYTE_1 src1_sel:BYTE_1
	v_sub_u16_sdwa v127, v127, v131 dst_sel:DWORD dst_unused:UNUSED_PAD src0_sel:WORD_1 src1_sel:WORD_1
	v_sub_u16_sdwa v130, v130, v131 dst_sel:BYTE_1 dst_unused:UNUSED_PAD src0_sel:DWORD src1_sel:BYTE_3
	v_bitop3_b16 v132, v132, v133, s23 bitop3:0xec
	v_bitop3_b16 v127, v127, v130, s23 bitop3:0xec
	v_lshlrev_b32_e32 v127, 16, v127
	v_or_b32_sdwa v137, v132, v127 dst_sel:DWORD dst_unused:UNUSED_PAD src0_sel:WORD_0 src1_sel:DWORD
	v_add_u32_e32 v127, 0x1088, v125
	ds_read2_b32 v[130:131], v127 offset1:1
	ds_read2_b32 v[132:133], v135 offset0:2 offset1:3
	v_cvt_f32_i32_e32 v128, v128
	s_waitcnt lgkmcnt(1)
	v_ashrrev_i32_e32 v127, s19, v130
	s_waitcnt lgkmcnt(0)
	v_ashrrev_i32_e32 v132, s3, v132
	v_lshlrev_b32_e32 v132, 2, v132
	v_bfe_u32 v130, v127, 24, 2
	v_and_b32_e32 v127, 0x3030303, v127
	v_and_b32_e32 v132, 0x4040404, v132
	v_sub_u16_e32 v138, v127, v132
	v_sub_u16_sdwa v139, v127, v132 dst_sel:BYTE_1 dst_unused:UNUSED_PAD src0_sel:BYTE_1 src1_sel:BYTE_1
	v_sub_u16_sdwa v127, v127, v132 dst_sel:DWORD dst_unused:UNUSED_PAD src0_sel:WORD_1 src1_sel:WORD_1
	v_sub_u16_sdwa v130, v130, v132 dst_sel:BYTE_1 dst_unused:UNUSED_PAD src0_sel:DWORD src1_sel:BYTE_3
	v_bitop3_b16 v138, v138, v139, s23 bitop3:0xec
	v_bitop3_b16 v127, v127, v130, s23 bitop3:0xec
	v_lshlrev_b32_e32 v127, 16, v127
	v_or_b32_sdwa v138, v138, v127 dst_sel:DWORD dst_unused:UNUSED_PAD src0_sel:WORD_0 src1_sel:DWORD
	v_ashrrev_i32_e32 v127, s19, v131
	v_ashrrev_i32_e32 v131, s3, v133
	v_lshlrev_b32_e32 v131, 2, v131
	v_bfe_u32 v130, v127, 24, 2
	v_and_b32_e32 v127, 0x3030303, v127
	v_and_b32_e32 v131, 0x4040404, v131
	v_sub_u16_e32 v132, v127, v131
	v_sub_u16_sdwa v133, v127, v131 dst_sel:BYTE_1 dst_unused:UNUSED_PAD src0_sel:BYTE_1 src1_sel:BYTE_1
	v_sub_u16_sdwa v127, v127, v131 dst_sel:DWORD dst_unused:UNUSED_PAD src0_sel:WORD_1 src1_sel:WORD_1
	v_sub_u16_sdwa v130, v130, v131 dst_sel:BYTE_1 dst_unused:UNUSED_PAD src0_sel:DWORD src1_sel:BYTE_3
	v_bitop3_b16 v132, v132, v133, s23 bitop3:0xec
	v_bitop3_b16 v127, v127, v130, s23 bitop3:0xec
	v_lshlrev_b32_e32 v127, 16, v127
	v_or_b32_sdwa v139, v132, v127 dst_sel:DWORD dst_unused:UNUSED_PAD src0_sel:WORD_0 src1_sel:DWORD
	v_add_u32_e32 v127, 0x1090, v125
	ds_read2_b32 v[130:131], v127 offset1:1
	ds_read2_b32 v[132:133], v135 offset0:4 offset1:5
	s_waitcnt lgkmcnt(1)
	v_ashrrev_i32_e32 v127, s19, v130
	s_waitcnt lgkmcnt(0)
	v_ashrrev_i32_e32 v132, s3, v132
	v_lshlrev_b32_e32 v132, 2, v132
	v_bfe_u32 v130, v127, 24, 2
	v_and_b32_e32 v127, 0x3030303, v127
	v_and_b32_e32 v132, 0x4040404, v132
	v_sub_u16_e32 v140, v127, v132
	v_sub_u16_sdwa v141, v127, v132 dst_sel:BYTE_1 dst_unused:UNUSED_PAD src0_sel:BYTE_1 src1_sel:BYTE_1
	v_sub_u16_sdwa v127, v127, v132 dst_sel:DWORD dst_unused:UNUSED_PAD src0_sel:WORD_1 src1_sel:WORD_1
	v_sub_u16_sdwa v130, v130, v132 dst_sel:BYTE_1 dst_unused:UNUSED_PAD src0_sel:DWORD src1_sel:BYTE_3
	v_bitop3_b16 v140, v140, v141, s23 bitop3:0xec
	v_bitop3_b16 v127, v127, v130, s23 bitop3:0xec
	v_lshlrev_b32_e32 v127, 16, v127
	v_or_b32_sdwa v140, v140, v127 dst_sel:DWORD dst_unused:UNUSED_PAD src0_sel:WORD_0 src1_sel:DWORD
	v_ashrrev_i32_e32 v127, s19, v131
	v_ashrrev_i32_e32 v131, s3, v133
	v_lshlrev_b32_e32 v131, 2, v131
	v_bfe_u32 v130, v127, 24, 2
	v_and_b32_e32 v127, 0x3030303, v127
	v_and_b32_e32 v131, 0x4040404, v131
	v_sub_u16_e32 v132, v127, v131
	v_sub_u16_sdwa v133, v127, v131 dst_sel:BYTE_1 dst_unused:UNUSED_PAD src0_sel:BYTE_1 src1_sel:BYTE_1
	v_sub_u16_sdwa v127, v127, v131 dst_sel:DWORD dst_unused:UNUSED_PAD src0_sel:WORD_1 src1_sel:WORD_1
	v_sub_u16_sdwa v130, v130, v131 dst_sel:BYTE_1 dst_unused:UNUSED_PAD src0_sel:DWORD src1_sel:BYTE_3
	v_bitop3_b16 v132, v132, v133, s23 bitop3:0xec
	v_bitop3_b16 v127, v127, v130, s23 bitop3:0xec
	v_lshlrev_b32_e32 v127, 16, v127
	v_or_b32_sdwa v141, v132, v127 dst_sel:DWORD dst_unused:UNUSED_PAD src0_sel:WORD_0 src1_sel:DWORD
	v_add_u32_e32 v127, 0x1098, v125
	ds_read2_b32 v[130:131], v127 offset1:1
	ds_read2_b32 v[132:133], v135 offset0:6 offset1:7
	s_waitcnt lgkmcnt(1)
	v_ashrrev_i32_e32 v127, s19, v130
	s_waitcnt lgkmcnt(0)
	v_ashrrev_i32_e32 v132, s3, v132
	v_lshlrev_b32_e32 v132, 2, v132
	v_bfe_u32 v130, v127, 24, 2
	v_and_b32_e32 v127, 0x3030303, v127
	v_and_b32_e32 v132, 0x4040404, v132
	v_sub_u16_e32 v135, v127, v132
	v_sub_u16_sdwa v142, v127, v132 dst_sel:BYTE_1 dst_unused:UNUSED_PAD src0_sel:BYTE_1 src1_sel:BYTE_1
	v_sub_u16_sdwa v127, v127, v132 dst_sel:DWORD dst_unused:UNUSED_PAD src0_sel:WORD_1 src1_sel:WORD_1
	v_sub_u16_sdwa v130, v130, v132 dst_sel:BYTE_1 dst_unused:UNUSED_PAD src0_sel:DWORD src1_sel:BYTE_3
	v_bitop3_b16 v135, v135, v142, s23 bitop3:0xec
	v_bitop3_b16 v127, v127, v130, s23 bitop3:0xec
	v_lshlrev_b32_e32 v127, 16, v127
	v_or_b32_sdwa v132, v135, v127 dst_sel:DWORD dst_unused:UNUSED_PAD src0_sel:WORD_0 src1_sel:DWORD
	v_ashrrev_i32_e32 v127, s19, v131
	v_ashrrev_i32_e32 v131, s3, v133
	v_lshlrev_b32_e32 v131, 2, v131
	v_bfe_u32 v130, v127, 24, 2
	v_and_b32_e32 v127, 0x3030303, v127
	v_and_b32_e32 v131, 0x4040404, v131
	v_sub_u16_e32 v133, v127, v131
	v_sub_u16_sdwa v135, v127, v131 dst_sel:BYTE_1 dst_unused:UNUSED_PAD src0_sel:BYTE_1 src1_sel:BYTE_1
	v_sub_u16_sdwa v127, v127, v131 dst_sel:DWORD dst_unused:UNUSED_PAD src0_sel:WORD_1 src1_sel:WORD_1
	v_sub_u16_sdwa v130, v130, v131 dst_sel:BYTE_1 dst_unused:UNUSED_PAD src0_sel:DWORD src1_sel:BYTE_3
	v_bitop3_b16 v133, v133, v135, s23 bitop3:0xec
	v_bitop3_b16 v127, v127, v130, s23 bitop3:0xec
	v_lshlrev_b32_e32 v127, 16, v127
	v_or_b32_sdwa v131, v133, v127 dst_sel:DWORD dst_unused:UNUSED_PAD src0_sel:WORD_0 src1_sel:DWORD
	v_add_u32_e32 v130, s30, v23
	v_add3_u32 v127, s29, v93, v95
	ds_read_b32 v127, v127
	ds_read_u16 v130, v130 offset:26370
	v_mov_b32_e32 v133, 0
	v_dot4c_i32_i8_e32 v133, v136, v6
	v_dot4c_i32_i8_e32 v133, v137, v7
	;; [unrolled: 1-line block ×4, first 2 shown]
	s_waitcnt lgkmcnt(0)
	v_lshrrev_b16_e32 v135, 8, v130
	v_bfe_i32 v130, v130, 0, 8
	v_pk_mul_f32 v[126:127], v[124:125], v[126:127] op_sel_hi:[0,1]
	v_mul_lo_u32 v130, v133, v130
	v_mov_b32_e32 v133, 0
	v_dot4c_i32_i8_e32 v133, v140, v2
	v_dot4c_i32_i8_e32 v133, v141, v3
	;; [unrolled: 1-line block ×4, first 2 shown]
	v_bfe_i32 v131, v135, 0, 8
	s_nop 1
	v_mad_u64_u32 v[130:131], s[34:35], v133, v131, v[130:131]
	v_cvt_f32_i32_e32 v129, v130
	v_add3_u32 v131, s31, v97, v99
	v_pk_fma_f32 v[42:43], v[126:127], v[128:129], v[42:43]
	v_add_u32_e32 v126, 0x2100, v125
	ds_read2_b32 v[126:127], v126 offset1:1
	ds_read2_b32 v[128:129], v131 offset1:1
	s_waitcnt lgkmcnt(1)
	v_ashrrev_i32_e32 v126, s19, v126
	s_waitcnt lgkmcnt(0)
	v_ashrrev_i32_e32 v128, s3, v128
	v_lshlrev_b32_e32 v128, 2, v128
	v_bfe_u32 v130, v126, 24, 2
	v_and_b32_e32 v126, 0x3030303, v126
	v_and_b32_e32 v128, 0x4040404, v128
	v_sub_u16_e32 v132, v126, v128
	v_sub_u16_sdwa v133, v126, v128 dst_sel:BYTE_1 dst_unused:UNUSED_PAD src0_sel:BYTE_1 src1_sel:BYTE_1
	v_sub_u16_sdwa v126, v126, v128 dst_sel:DWORD dst_unused:UNUSED_PAD src0_sel:WORD_1 src1_sel:WORD_1
	v_sub_u16_sdwa v128, v130, v128 dst_sel:BYTE_1 dst_unused:UNUSED_PAD src0_sel:DWORD src1_sel:BYTE_3
	v_bitop3_b16 v132, v132, v133, s23 bitop3:0xec
	v_bitop3_b16 v126, v126, v128, s23 bitop3:0xec
	v_lshlrev_b32_e32 v126, 16, v126
	v_ashrrev_i32_e32 v128, s3, v129
	v_or_b32_sdwa v130, v132, v126 dst_sel:DWORD dst_unused:UNUSED_PAD src0_sel:WORD_0 src1_sel:DWORD
	v_ashrrev_i32_e32 v126, s19, v127
	v_lshlrev_b32_e32 v128, 2, v128
	v_bfe_u32 v127, v126, 24, 2
	v_and_b32_e32 v126, 0x3030303, v126
	v_and_b32_e32 v128, 0x4040404, v128
	v_sub_u16_e32 v129, v126, v128
	v_sub_u16_sdwa v132, v126, v128 dst_sel:BYTE_1 dst_unused:UNUSED_PAD src0_sel:BYTE_1 src1_sel:BYTE_1
	v_sub_u16_sdwa v126, v126, v128 dst_sel:DWORD dst_unused:UNUSED_PAD src0_sel:WORD_1 src1_sel:WORD_1
	v_sub_u16_sdwa v127, v127, v128 dst_sel:BYTE_1 dst_unused:UNUSED_PAD src0_sel:DWORD src1_sel:BYTE_3
	v_bitop3_b16 v129, v129, v132, s23 bitop3:0xec
	v_bitop3_b16 v126, v126, v127, s23 bitop3:0xec
	v_lshlrev_b32_e32 v126, 16, v126
	v_or_b32_sdwa v132, v129, v126 dst_sel:DWORD dst_unused:UNUSED_PAD src0_sel:WORD_0 src1_sel:DWORD
	v_add_u32_e32 v126, 0x2108, v125
	ds_read2_b32 v[126:127], v126 offset1:1
	ds_read2_b32 v[128:129], v131 offset0:2 offset1:3
	s_waitcnt lgkmcnt(1)
	v_ashrrev_i32_e32 v126, s19, v126
	s_waitcnt lgkmcnt(0)
	v_ashrrev_i32_e32 v128, s3, v128
	v_lshlrev_b32_e32 v128, 2, v128
	v_bfe_u32 v133, v126, 24, 2
	v_and_b32_e32 v126, 0x3030303, v126
	v_and_b32_e32 v128, 0x4040404, v128
	v_sub_u16_e32 v134, v126, v128
	v_sub_u16_sdwa v135, v126, v128 dst_sel:BYTE_1 dst_unused:UNUSED_PAD src0_sel:BYTE_1 src1_sel:BYTE_1
	v_sub_u16_sdwa v126, v126, v128 dst_sel:DWORD dst_unused:UNUSED_PAD src0_sel:WORD_1 src1_sel:WORD_1
	v_sub_u16_sdwa v128, v133, v128 dst_sel:BYTE_1 dst_unused:UNUSED_PAD src0_sel:DWORD src1_sel:BYTE_3
	v_bitop3_b16 v134, v134, v135, s23 bitop3:0xec
	v_bitop3_b16 v126, v126, v128, s23 bitop3:0xec
	v_lshlrev_b32_e32 v126, 16, v126
	v_ashrrev_i32_e32 v128, s3, v129
	v_or_b32_sdwa v133, v134, v126 dst_sel:DWORD dst_unused:UNUSED_PAD src0_sel:WORD_0 src1_sel:DWORD
	v_ashrrev_i32_e32 v126, s19, v127
	v_lshlrev_b32_e32 v128, 2, v128
	v_bfe_u32 v127, v126, 24, 2
	v_and_b32_e32 v126, 0x3030303, v126
	v_and_b32_e32 v128, 0x4040404, v128
	v_sub_u16_e32 v129, v126, v128
	v_sub_u16_sdwa v134, v126, v128 dst_sel:BYTE_1 dst_unused:UNUSED_PAD src0_sel:BYTE_1 src1_sel:BYTE_1
	v_sub_u16_sdwa v126, v126, v128 dst_sel:DWORD dst_unused:UNUSED_PAD src0_sel:WORD_1 src1_sel:WORD_1
	v_sub_u16_sdwa v127, v127, v128 dst_sel:BYTE_1 dst_unused:UNUSED_PAD src0_sel:DWORD src1_sel:BYTE_3
	v_bitop3_b16 v129, v129, v134, s23 bitop3:0xec
	v_bitop3_b16 v126, v126, v127, s23 bitop3:0xec
	v_lshlrev_b32_e32 v126, 16, v126
	v_or_b32_sdwa v134, v129, v126 dst_sel:DWORD dst_unused:UNUSED_PAD src0_sel:WORD_0 src1_sel:DWORD
	v_add_u32_e32 v126, 0x2110, v125
	ds_read2_b32 v[126:127], v126 offset1:1
	ds_read2_b32 v[128:129], v131 offset0:4 offset1:5
	s_waitcnt lgkmcnt(1)
	v_ashrrev_i32_e32 v126, s19, v126
	s_waitcnt lgkmcnt(0)
	v_ashrrev_i32_e32 v128, s3, v128
	v_lshlrev_b32_e32 v128, 2, v128
	v_bfe_u32 v135, v126, 24, 2
	v_and_b32_e32 v126, 0x3030303, v126
	v_and_b32_e32 v128, 0x4040404, v128
	v_sub_u16_e32 v136, v126, v128
	v_sub_u16_sdwa v137, v126, v128 dst_sel:BYTE_1 dst_unused:UNUSED_PAD src0_sel:BYTE_1 src1_sel:BYTE_1
	v_sub_u16_sdwa v126, v126, v128 dst_sel:DWORD dst_unused:UNUSED_PAD src0_sel:WORD_1 src1_sel:WORD_1
	v_sub_u16_sdwa v128, v135, v128 dst_sel:BYTE_1 dst_unused:UNUSED_PAD src0_sel:DWORD src1_sel:BYTE_3
	v_bitop3_b16 v136, v136, v137, s23 bitop3:0xec
	v_bitop3_b16 v126, v126, v128, s23 bitop3:0xec
	v_lshlrev_b32_e32 v126, 16, v126
	v_ashrrev_i32_e32 v128, s3, v129
	v_or_b32_sdwa v135, v136, v126 dst_sel:DWORD dst_unused:UNUSED_PAD src0_sel:WORD_0 src1_sel:DWORD
	v_ashrrev_i32_e32 v126, s19, v127
	v_lshlrev_b32_e32 v128, 2, v128
	v_bfe_u32 v127, v126, 24, 2
	v_and_b32_e32 v126, 0x3030303, v126
	v_and_b32_e32 v128, 0x4040404, v128
	v_sub_u16_e32 v129, v126, v128
	v_sub_u16_sdwa v136, v126, v128 dst_sel:BYTE_1 dst_unused:UNUSED_PAD src0_sel:BYTE_1 src1_sel:BYTE_1
	v_sub_u16_sdwa v126, v126, v128 dst_sel:DWORD dst_unused:UNUSED_PAD src0_sel:WORD_1 src1_sel:WORD_1
	v_sub_u16_sdwa v127, v127, v128 dst_sel:BYTE_1 dst_unused:UNUSED_PAD src0_sel:DWORD src1_sel:BYTE_3
	v_bitop3_b16 v129, v129, v136, s23 bitop3:0xec
	v_bitop3_b16 v126, v126, v127, s23 bitop3:0xec
	v_lshlrev_b32_e32 v126, 16, v126
	v_or_b32_sdwa v136, v129, v126 dst_sel:DWORD dst_unused:UNUSED_PAD src0_sel:WORD_0 src1_sel:DWORD
	v_add_u32_e32 v126, 0x2118, v125
	ds_read2_b32 v[126:127], v126 offset1:1
	ds_read2_b32 v[128:129], v131 offset0:6 offset1:7
	s_waitcnt lgkmcnt(1)
	v_ashrrev_i32_e32 v126, s19, v126
	s_waitcnt lgkmcnt(0)
	v_ashrrev_i32_e32 v128, s3, v128
	v_lshlrev_b32_e32 v128, 2, v128
	v_bfe_u32 v137, v126, 24, 2
	v_and_b32_e32 v126, 0x3030303, v126
	v_and_b32_e32 v128, 0x4040404, v128
	v_sub_u16_e32 v131, v126, v128
	v_sub_u16_sdwa v138, v126, v128 dst_sel:BYTE_1 dst_unused:UNUSED_PAD src0_sel:BYTE_1 src1_sel:BYTE_1
	v_sub_u16_sdwa v126, v126, v128 dst_sel:DWORD dst_unused:UNUSED_PAD src0_sel:WORD_1 src1_sel:WORD_1
	v_sub_u16_sdwa v128, v137, v128 dst_sel:BYTE_1 dst_unused:UNUSED_PAD src0_sel:DWORD src1_sel:BYTE_3
	v_bitop3_b16 v131, v131, v138, s23 bitop3:0xec
	v_bitop3_b16 v126, v126, v128, s23 bitop3:0xec
	v_lshlrev_b32_e32 v126, 16, v126
	v_ashrrev_i32_e32 v129, s3, v129
	v_or_b32_sdwa v128, v131, v126 dst_sel:DWORD dst_unused:UNUSED_PAD src0_sel:WORD_0 src1_sel:DWORD
	v_ashrrev_i32_e32 v126, s19, v127
	v_lshlrev_b32_e32 v129, 2, v129
	v_bfe_u32 v127, v126, 24, 2
	v_and_b32_e32 v126, 0x3030303, v126
	v_and_b32_e32 v129, 0x4040404, v129
	v_sub_u16_e32 v131, v126, v129
	v_sub_u16_sdwa v137, v126, v129 dst_sel:BYTE_1 dst_unused:UNUSED_PAD src0_sel:BYTE_1 src1_sel:BYTE_1
	v_sub_u16_sdwa v126, v126, v129 dst_sel:DWORD dst_unused:UNUSED_PAD src0_sel:WORD_1 src1_sel:WORD_1
	v_sub_u16_sdwa v127, v127, v129 dst_sel:BYTE_1 dst_unused:UNUSED_PAD src0_sel:DWORD src1_sel:BYTE_3
	v_mov_b32_e32 v129, 0
	v_bitop3_b16 v126, v126, v127, s23 bitop3:0xec
	v_dot4c_i32_i8_e32 v129, v135, v2
	v_bitop3_b16 v131, v131, v137, s23 bitop3:0xec
	v_lshlrev_b32_e32 v126, 16, v126
	v_dot4c_i32_i8_e32 v129, v136, v3
	v_or_b32_sdwa v127, v131, v126 dst_sel:DWORD dst_unused:UNUSED_PAD src0_sel:WORD_0 src1_sel:DWORD
	v_add_u32_e32 v131, s30, v21
	v_dot4c_i32_i8_e32 v129, v128, v4
	v_dot4c_i32_i8_e32 v129, v127, v5
	ds_read_u16 v127, v131 offset:27394
	v_mov_b32_e32 v137, 0
	v_dot4c_i32_i8_e32 v137, v130, v6
	v_dot4c_i32_i8_e32 v137, v132, v7
	;; [unrolled: 1-line block ×4, first 2 shown]
	s_waitcnt lgkmcnt(0)
	v_lshrrev_b16_e32 v128, 8, v127
	v_bfe_i32 v127, v127, 0, 8
	v_add3_u32 v126, s29, v101, v103
	v_bfe_i32 v130, v128, 0, 8
	v_mul_lo_u32 v128, v137, v127
	v_add_u32_e32 v127, 0x3180, v125
	v_add3_u32 v136, s31, v105, v107
	ds_read_b32 v126, v126
	ds_read2_b32 v[132:133], v127 offset1:1
	ds_read2_b32 v[134:135], v136 offset1:1
	s_waitcnt lgkmcnt(1)
	v_ashrrev_i32_e32 v127, s19, v132
	s_waitcnt lgkmcnt(0)
	v_ashrrev_i32_e32 v132, s3, v134
	v_lshlrev_b32_e32 v132, 2, v132
	v_bfe_u32 v131, v127, 24, 2
	v_and_b32_e32 v127, 0x3030303, v127
	v_and_b32_e32 v132, 0x4040404, v132
	v_sub_u16_e32 v134, v127, v132
	v_sub_u16_sdwa v137, v127, v132 dst_sel:BYTE_1 dst_unused:UNUSED_PAD src0_sel:BYTE_1 src1_sel:BYTE_1
	v_sub_u16_sdwa v127, v127, v132 dst_sel:DWORD dst_unused:UNUSED_PAD src0_sel:WORD_1 src1_sel:WORD_1
	v_sub_u16_sdwa v131, v131, v132 dst_sel:BYTE_1 dst_unused:UNUSED_PAD src0_sel:DWORD src1_sel:BYTE_3
	v_bitop3_b16 v134, v134, v137, s23 bitop3:0xec
	v_bitop3_b16 v127, v127, v131, s23 bitop3:0xec
	v_lshlrev_b32_e32 v127, 16, v127
	v_or_b32_sdwa v131, v134, v127 dst_sel:DWORD dst_unused:UNUSED_PAD src0_sel:WORD_0 src1_sel:DWORD
	v_ashrrev_i32_e32 v127, s19, v133
	v_ashrrev_i32_e32 v133, s3, v135
	v_lshlrev_b32_e32 v133, 2, v133
	v_bfe_u32 v132, v127, 24, 2
	v_and_b32_e32 v127, 0x3030303, v127
	v_and_b32_e32 v133, 0x4040404, v133
	v_sub_u16_e32 v134, v127, v133
	v_sub_u16_sdwa v135, v127, v133 dst_sel:BYTE_1 dst_unused:UNUSED_PAD src0_sel:BYTE_1 src1_sel:BYTE_1
	v_sub_u16_sdwa v127, v127, v133 dst_sel:DWORD dst_unused:UNUSED_PAD src0_sel:WORD_1 src1_sel:WORD_1
	v_sub_u16_sdwa v132, v132, v133 dst_sel:BYTE_1 dst_unused:UNUSED_PAD src0_sel:DWORD src1_sel:BYTE_3
	v_bitop3_b16 v134, v134, v135, s23 bitop3:0xec
	v_bitop3_b16 v127, v127, v132, s23 bitop3:0xec
	v_lshlrev_b32_e32 v127, 16, v127
	v_or_b32_sdwa v137, v134, v127 dst_sel:DWORD dst_unused:UNUSED_PAD src0_sel:WORD_0 src1_sel:DWORD
	v_add_u32_e32 v127, 0x3188, v125
	ds_read2_b32 v[132:133], v127 offset1:1
	ds_read2_b32 v[134:135], v136 offset0:2 offset1:3
	s_waitcnt lgkmcnt(1)
	v_ashrrev_i32_e32 v127, s19, v132
	s_waitcnt lgkmcnt(0)
	v_ashrrev_i32_e32 v134, s3, v134
	v_lshlrev_b32_e32 v134, 2, v134
	v_bfe_u32 v132, v127, 24, 2
	v_and_b32_e32 v127, 0x3030303, v127
	v_and_b32_e32 v134, 0x4040404, v134
	v_sub_u16_e32 v138, v127, v134
	v_sub_u16_sdwa v139, v127, v134 dst_sel:BYTE_1 dst_unused:UNUSED_PAD src0_sel:BYTE_1 src1_sel:BYTE_1
	v_sub_u16_sdwa v127, v127, v134 dst_sel:DWORD dst_unused:UNUSED_PAD src0_sel:WORD_1 src1_sel:WORD_1
	v_sub_u16_sdwa v132, v132, v134 dst_sel:BYTE_1 dst_unused:UNUSED_PAD src0_sel:DWORD src1_sel:BYTE_3
	v_bitop3_b16 v138, v138, v139, s23 bitop3:0xec
	v_bitop3_b16 v127, v127, v132, s23 bitop3:0xec
	v_lshlrev_b32_e32 v127, 16, v127
	v_or_b32_sdwa v138, v138, v127 dst_sel:DWORD dst_unused:UNUSED_PAD src0_sel:WORD_0 src1_sel:DWORD
	v_ashrrev_i32_e32 v127, s19, v133
	v_ashrrev_i32_e32 v133, s3, v135
	v_lshlrev_b32_e32 v133, 2, v133
	v_bfe_u32 v132, v127, 24, 2
	v_and_b32_e32 v127, 0x3030303, v127
	v_and_b32_e32 v133, 0x4040404, v133
	v_sub_u16_e32 v134, v127, v133
	v_sub_u16_sdwa v135, v127, v133 dst_sel:BYTE_1 dst_unused:UNUSED_PAD src0_sel:BYTE_1 src1_sel:BYTE_1
	v_sub_u16_sdwa v127, v127, v133 dst_sel:DWORD dst_unused:UNUSED_PAD src0_sel:WORD_1 src1_sel:WORD_1
	v_sub_u16_sdwa v132, v132, v133 dst_sel:BYTE_1 dst_unused:UNUSED_PAD src0_sel:DWORD src1_sel:BYTE_3
	v_bitop3_b16 v134, v134, v135, s23 bitop3:0xec
	v_bitop3_b16 v127, v127, v132, s23 bitop3:0xec
	v_lshlrev_b32_e32 v127, 16, v127
	v_or_b32_sdwa v139, v134, v127 dst_sel:DWORD dst_unused:UNUSED_PAD src0_sel:WORD_0 src1_sel:DWORD
	v_add_u32_e32 v127, 0x3190, v125
	ds_read2_b32 v[132:133], v127 offset1:1
	ds_read2_b32 v[134:135], v136 offset0:4 offset1:5
	v_add_u32_e32 v125, 0x3198, v125
	s_waitcnt lgkmcnt(1)
	v_ashrrev_i32_e32 v127, s19, v132
	s_waitcnt lgkmcnt(0)
	v_ashrrev_i32_e32 v134, s3, v134
	v_lshlrev_b32_e32 v134, 2, v134
	v_bfe_u32 v132, v127, 24, 2
	v_and_b32_e32 v127, 0x3030303, v127
	v_and_b32_e32 v134, 0x4040404, v134
	v_sub_u16_e32 v140, v127, v134
	v_sub_u16_sdwa v141, v127, v134 dst_sel:BYTE_1 dst_unused:UNUSED_PAD src0_sel:BYTE_1 src1_sel:BYTE_1
	v_sub_u16_sdwa v127, v127, v134 dst_sel:DWORD dst_unused:UNUSED_PAD src0_sel:WORD_1 src1_sel:WORD_1
	v_sub_u16_sdwa v132, v132, v134 dst_sel:BYTE_1 dst_unused:UNUSED_PAD src0_sel:DWORD src1_sel:BYTE_3
	v_bitop3_b16 v140, v140, v141, s23 bitop3:0xec
	v_bitop3_b16 v127, v127, v132, s23 bitop3:0xec
	v_lshlrev_b32_e32 v127, 16, v127
	v_or_b32_sdwa v140, v140, v127 dst_sel:DWORD dst_unused:UNUSED_PAD src0_sel:WORD_0 src1_sel:DWORD
	v_ashrrev_i32_e32 v127, s19, v133
	v_ashrrev_i32_e32 v133, s3, v135
	v_lshlrev_b32_e32 v133, 2, v133
	v_bfe_u32 v132, v127, 24, 2
	v_and_b32_e32 v127, 0x3030303, v127
	v_and_b32_e32 v133, 0x4040404, v133
	v_sub_u16_e32 v134, v127, v133
	v_sub_u16_sdwa v135, v127, v133 dst_sel:BYTE_1 dst_unused:UNUSED_PAD src0_sel:BYTE_1 src1_sel:BYTE_1
	v_sub_u16_sdwa v127, v127, v133 dst_sel:DWORD dst_unused:UNUSED_PAD src0_sel:WORD_1 src1_sel:WORD_1
	v_sub_u16_sdwa v132, v132, v133 dst_sel:BYTE_1 dst_unused:UNUSED_PAD src0_sel:DWORD src1_sel:BYTE_3
	v_bitop3_b16 v134, v134, v135, s23 bitop3:0xec
	v_bitop3_b16 v127, v127, v132, s23 bitop3:0xec
	v_lshlrev_b32_e32 v127, 16, v127
	v_or_b32_sdwa v141, v134, v127 dst_sel:DWORD dst_unused:UNUSED_PAD src0_sel:WORD_0 src1_sel:DWORD
	ds_read2_b32 v[132:133], v125 offset1:1
	ds_read2_b32 v[134:135], v136 offset0:6 offset1:7
	s_waitcnt lgkmcnt(1)
	v_ashrrev_i32_e32 v125, s19, v132
	s_waitcnt lgkmcnt(0)
	v_ashrrev_i32_e32 v132, s3, v134
	v_lshlrev_b32_e32 v132, 2, v132
	v_bfe_u32 v127, v125, 24, 2
	v_and_b32_e32 v125, 0x3030303, v125
	v_and_b32_e32 v132, 0x4040404, v132
	v_sub_u16_e32 v134, v125, v132
	v_sub_u16_sdwa v136, v125, v132 dst_sel:BYTE_1 dst_unused:UNUSED_PAD src0_sel:BYTE_1 src1_sel:BYTE_1
	v_sub_u16_sdwa v125, v125, v132 dst_sel:DWORD dst_unused:UNUSED_PAD src0_sel:WORD_1 src1_sel:WORD_1
	v_sub_u16_sdwa v127, v127, v132 dst_sel:BYTE_1 dst_unused:UNUSED_PAD src0_sel:DWORD src1_sel:BYTE_3
	v_bitop3_b16 v134, v134, v136, s23 bitop3:0xec
	v_bitop3_b16 v125, v125, v127, s23 bitop3:0xec
	v_ashrrev_i32_e32 v127, s19, v133
	v_ashrrev_i32_e32 v133, s3, v135
	v_lshlrev_b32_e32 v133, 2, v133
	v_lshlrev_b32_e32 v125, 16, v125
	v_bfe_u32 v132, v127, 24, 2
	v_and_b32_e32 v127, 0x3030303, v127
	v_and_b32_e32 v133, 0x4040404, v133
	v_or_b32_sdwa v125, v134, v125 dst_sel:DWORD dst_unused:UNUSED_PAD src0_sel:WORD_0 src1_sel:DWORD
	v_sub_u16_e32 v134, v127, v133
	v_sub_u16_sdwa v135, v127, v133 dst_sel:BYTE_1 dst_unused:UNUSED_PAD src0_sel:BYTE_1 src1_sel:BYTE_1
	v_sub_u16_sdwa v127, v127, v133 dst_sel:DWORD dst_unused:UNUSED_PAD src0_sel:WORD_1 src1_sel:WORD_1
	v_sub_u16_sdwa v132, v132, v133 dst_sel:BYTE_1 dst_unused:UNUSED_PAD src0_sel:DWORD src1_sel:BYTE_3
	v_bitop3_b16 v134, v134, v135, s23 bitop3:0xec
	v_bitop3_b16 v127, v127, v132, s23 bitop3:0xec
	v_lshlrev_b32_e32 v127, 16, v127
	v_or_b32_sdwa v132, v134, v127 dst_sel:DWORD dst_unused:UNUSED_PAD src0_sel:WORD_0 src1_sel:DWORD
	v_mov_b32_e32 v134, 0
	v_add_u32_e32 v133, s30, v19
	v_add3_u32 v127, s29, v109, v111
	v_dot4c_i32_i8_e32 v134, v131, v6
	v_mov_b32_e32 v6, 0
	ds_read_b32 v127, v127
	v_dot4c_i32_i8_e32 v6, v140, v2
	ds_read_u16 v2, v133 offset:28418
	v_dot4c_i32_i8_e32 v134, v137, v7
	v_dot4c_i32_i8_e32 v134, v138, v8
	;; [unrolled: 1-line block ×5, first 2 shown]
	s_waitcnt lgkmcnt(0)
	v_lshrrev_b16_e32 v3, 8, v2
	v_bfe_i32 v2, v2, 0, 8
	v_dot4c_i32_i8_e32 v6, v132, v5
	v_bfe_i32 v5, v3, 0, 8
	v_mul_lo_u32 v4, v134, v2
	v_mad_u64_u32 v[2:3], s[30:31], v129, v130, v[128:129]
	v_mad_u64_u32 v[4:5], s[30:31], v6, v5, v[4:5]
	v_cvt_f32_i32_e32 v3, v4
	v_cvt_f32_i32_e32 v2, v2
	v_pk_mul_f32 v[6:7], v[124:125], v[126:127] op_sel_hi:[0,1]
	s_add_i32 s3, s3, 1
	s_cmp_lt_u32 s18, 14
	v_pk_fma_f32 v[40:41], v[6:7], v[2:3], v[40:41]
	s_mov_b32 s29, s18
	s_cbranch_scc1 .LBB230_19
; %bb.20:                               ;   in Loop: Header=BB230_5 Depth=1
	s_or_b32 s2, s27, 0x100
	s_cmp_ge_i32 s2, s5
	s_barrier
	s_cbranch_scc1 .LBB230_4
; %bb.21:                               ;   in Loop: Header=BB230_5 Depth=1
	v_add_u32_e32 v2, s28, v51
	v_cmp_gt_i32_e64 s[2:3], s8, v2
	s_and_b64 s[18:19], s[0:1], s[2:3]
	s_and_saveexec_b64 s[2:3], s[18:19]
	s_cbranch_execz .LBB230_23
; %bb.22:                               ;   in Loop: Header=BB230_5 Depth=1
	v_add_u32_e32 v2, v58, v2
	v_mad_i64_i32 v[2:3], s[18:19], v2, 36, v[56:57]
	global_load_dword v2, v[2:3], off offset:4
	s_waitcnt vmcnt(0)
	ds_write_b32 v47, v2
.LBB230_23:                             ;   in Loop: Header=BB230_5 Depth=1
	s_or_b64 exec, exec, s[2:3]
	s_and_saveexec_b64 s[18:19], vcc
	s_cbranch_execz .LBB230_26
; %bb.24:                               ;   in Loop: Header=BB230_5 Depth=1
	v_or_b32_e32 v2, 8, v122
	v_cmp_gt_i32_e64 s[2:3], s8, v2
	s_and_b64 s[2:3], s[0:1], s[2:3]
	s_and_b64 exec, exec, s[2:3]
	s_cbranch_execz .LBB230_26
; %bb.25:                               ;   in Loop: Header=BB230_5 Depth=1
	v_ashrrev_i32_e32 v123, 31, v122
	v_lshl_add_u64 v[2:3], v[58:59], 0, v[122:123]
	v_mad_u64_u32 v[4:5], s[2:3], v2, 36, s[14:15]
	v_mad_i32_i24 v5, v3, 36, v5
	global_load_dword v2, v[4:5], off offset:288
	s_waitcnt vmcnt(0)
	v_cvt_f32_f16_e32 v2, v2
	ds_write_b32 v79, v2
.LBB230_26:                             ;   in Loop: Header=BB230_5 Depth=1
	s_or_b64 exec, exec, s[18:19]
	s_mov_b32 s2, 16
	s_mov_b32 s29, 14
	;; [unrolled: 1-line block ×3, first 2 shown]
	v_mov_b32_e32 v121, v17
	v_mov_b32_e32 v123, v77
	s_waitcnt lgkmcnt(0)
	s_barrier
.LBB230_27:                             ;   Parent Loop BB230_5 Depth=1
                                        ; =>  This Inner Loop Header: Depth=2
	s_add_i32 s18, s29, 2
	s_lshr_b32 s33, s18, 4
	s_and_b32 s31, s18, 0x3ffffff8
	v_lshl_add_u32 v125, s31, 2, v55
	s_lshl_b32 s31, s33, 5
	s_addk_i32 s31, 0x4200
	v_add3_u32 v131, s31, v81, v83
	ds_read_b32 v124, v123
	ds_read_b128 v[6:9], v121
	ds_read_b128 v[2:5], v121 offset:16
	ds_read2_b32 v[126:127], v125 offset1:1
	ds_read2_b32 v[128:129], v131 offset1:1
	s_add_i32 s19, s29, -14
	s_and_b32 s30, s2, -16
	s_add_i32 s30, s29, s30
	s_waitcnt lgkmcnt(1)
	v_ashrrev_i32_e32 v126, s19, v126
	s_waitcnt lgkmcnt(0)
	v_ashrrev_i32_e32 v128, s3, v128
	v_lshlrev_b32_e32 v128, 2, v128
	v_bfe_u32 v130, v126, 24, 2
	v_and_b32_e32 v126, 0x3030303, v126
	v_and_b32_e32 v128, 0x4040404, v128
	v_sub_u16_e32 v132, v126, v128
	v_sub_u16_sdwa v133, v126, v128 dst_sel:BYTE_1 dst_unused:UNUSED_PAD src0_sel:BYTE_1 src1_sel:BYTE_1
	v_sub_u16_sdwa v126, v126, v128 dst_sel:DWORD dst_unused:UNUSED_PAD src0_sel:WORD_1 src1_sel:WORD_1
	v_sub_u16_sdwa v128, v130, v128 dst_sel:BYTE_1 dst_unused:UNUSED_PAD src0_sel:DWORD src1_sel:BYTE_3
	v_bitop3_b16 v132, v132, v133, s23 bitop3:0xec
	v_bitop3_b16 v126, v126, v128, s23 bitop3:0xec
	v_lshlrev_b32_e32 v126, 16, v126
	v_ashrrev_i32_e32 v128, s3, v129
	v_or_b32_sdwa v130, v132, v126 dst_sel:DWORD dst_unused:UNUSED_PAD src0_sel:WORD_0 src1_sel:DWORD
	v_ashrrev_i32_e32 v126, s19, v127
	v_lshlrev_b32_e32 v128, 2, v128
	v_bfe_u32 v127, v126, 24, 2
	v_and_b32_e32 v126, 0x3030303, v126
	v_and_b32_e32 v128, 0x4040404, v128
	v_sub_u16_e32 v129, v126, v128
	v_sub_u16_sdwa v132, v126, v128 dst_sel:BYTE_1 dst_unused:UNUSED_PAD src0_sel:BYTE_1 src1_sel:BYTE_1
	v_sub_u16_sdwa v126, v126, v128 dst_sel:DWORD dst_unused:UNUSED_PAD src0_sel:WORD_1 src1_sel:WORD_1
	v_sub_u16_sdwa v127, v127, v128 dst_sel:BYTE_1 dst_unused:UNUSED_PAD src0_sel:DWORD src1_sel:BYTE_3
	v_bitop3_b16 v129, v129, v132, s23 bitop3:0xec
	v_bitop3_b16 v126, v126, v127, s23 bitop3:0xec
	v_lshlrev_b32_e32 v126, 16, v126
	v_or_b32_sdwa v132, v129, v126 dst_sel:DWORD dst_unused:UNUSED_PAD src0_sel:WORD_0 src1_sel:DWORD
	ds_read2_b32 v[126:127], v125 offset0:2 offset1:3
	ds_read2_b32 v[128:129], v131 offset0:2 offset1:3
	s_lshl_b32 s29, s33, 2
	s_addk_i32 s29, 0x7380
	s_add_i32 s2, s2, 2
	s_waitcnt lgkmcnt(1)
	v_ashrrev_i32_e32 v126, s19, v126
	s_waitcnt lgkmcnt(0)
	v_ashrrev_i32_e32 v128, s3, v128
	v_lshlrev_b32_e32 v128, 2, v128
	v_bfe_u32 v133, v126, 24, 2
	v_and_b32_e32 v126, 0x3030303, v126
	v_and_b32_e32 v128, 0x4040404, v128
	v_sub_u16_e32 v134, v126, v128
	v_sub_u16_sdwa v135, v126, v128 dst_sel:BYTE_1 dst_unused:UNUSED_PAD src0_sel:BYTE_1 src1_sel:BYTE_1
	v_sub_u16_sdwa v126, v126, v128 dst_sel:DWORD dst_unused:UNUSED_PAD src0_sel:WORD_1 src1_sel:WORD_1
	v_sub_u16_sdwa v128, v133, v128 dst_sel:BYTE_1 dst_unused:UNUSED_PAD src0_sel:DWORD src1_sel:BYTE_3
	v_bitop3_b16 v134, v134, v135, s23 bitop3:0xec
	v_bitop3_b16 v126, v126, v128, s23 bitop3:0xec
	v_lshlrev_b32_e32 v126, 16, v126
	v_ashrrev_i32_e32 v128, s3, v129
	v_or_b32_sdwa v133, v134, v126 dst_sel:DWORD dst_unused:UNUSED_PAD src0_sel:WORD_0 src1_sel:DWORD
	v_ashrrev_i32_e32 v126, s19, v127
	v_lshlrev_b32_e32 v128, 2, v128
	v_bfe_u32 v127, v126, 24, 2
	v_and_b32_e32 v126, 0x3030303, v126
	v_and_b32_e32 v128, 0x4040404, v128
	v_sub_u16_e32 v129, v126, v128
	v_sub_u16_sdwa v134, v126, v128 dst_sel:BYTE_1 dst_unused:UNUSED_PAD src0_sel:BYTE_1 src1_sel:BYTE_1
	v_sub_u16_sdwa v126, v126, v128 dst_sel:DWORD dst_unused:UNUSED_PAD src0_sel:WORD_1 src1_sel:WORD_1
	v_sub_u16_sdwa v127, v127, v128 dst_sel:BYTE_1 dst_unused:UNUSED_PAD src0_sel:DWORD src1_sel:BYTE_3
	v_bitop3_b16 v129, v129, v134, s23 bitop3:0xec
	v_bitop3_b16 v126, v126, v127, s23 bitop3:0xec
	v_lshlrev_b32_e32 v126, 16, v126
	v_or_b32_sdwa v134, v129, v126 dst_sel:DWORD dst_unused:UNUSED_PAD src0_sel:WORD_0 src1_sel:DWORD
	ds_read2_b32 v[126:127], v125 offset0:4 offset1:5
	ds_read2_b32 v[128:129], v131 offset0:4 offset1:5
	v_add_u32_e32 v123, 4, v123
	v_add_u32_e32 v121, 32, v121
	s_waitcnt lgkmcnt(1)
	v_ashrrev_i32_e32 v126, s19, v126
	s_waitcnt lgkmcnt(0)
	v_ashrrev_i32_e32 v128, s3, v128
	v_lshlrev_b32_e32 v128, 2, v128
	v_bfe_u32 v135, v126, 24, 2
	v_and_b32_e32 v126, 0x3030303, v126
	v_and_b32_e32 v128, 0x4040404, v128
	v_sub_u16_e32 v136, v126, v128
	v_sub_u16_sdwa v137, v126, v128 dst_sel:BYTE_1 dst_unused:UNUSED_PAD src0_sel:BYTE_1 src1_sel:BYTE_1
	v_sub_u16_sdwa v126, v126, v128 dst_sel:DWORD dst_unused:UNUSED_PAD src0_sel:WORD_1 src1_sel:WORD_1
	v_sub_u16_sdwa v128, v135, v128 dst_sel:BYTE_1 dst_unused:UNUSED_PAD src0_sel:DWORD src1_sel:BYTE_3
	v_bitop3_b16 v136, v136, v137, s23 bitop3:0xec
	v_bitop3_b16 v126, v126, v128, s23 bitop3:0xec
	v_lshlrev_b32_e32 v126, 16, v126
	v_ashrrev_i32_e32 v128, s3, v129
	v_or_b32_sdwa v135, v136, v126 dst_sel:DWORD dst_unused:UNUSED_PAD src0_sel:WORD_0 src1_sel:DWORD
	v_ashrrev_i32_e32 v126, s19, v127
	v_lshlrev_b32_e32 v128, 2, v128
	v_bfe_u32 v127, v126, 24, 2
	v_and_b32_e32 v126, 0x3030303, v126
	v_and_b32_e32 v128, 0x4040404, v128
	v_sub_u16_e32 v129, v126, v128
	v_sub_u16_sdwa v136, v126, v128 dst_sel:BYTE_1 dst_unused:UNUSED_PAD src0_sel:BYTE_1 src1_sel:BYTE_1
	v_sub_u16_sdwa v126, v126, v128 dst_sel:DWORD dst_unused:UNUSED_PAD src0_sel:WORD_1 src1_sel:WORD_1
	v_sub_u16_sdwa v127, v127, v128 dst_sel:BYTE_1 dst_unused:UNUSED_PAD src0_sel:DWORD src1_sel:BYTE_3
	v_bitop3_b16 v129, v129, v136, s23 bitop3:0xec
	v_bitop3_b16 v126, v126, v127, s23 bitop3:0xec
	v_lshlrev_b32_e32 v126, 16, v126
	v_or_b32_sdwa v136, v129, v126 dst_sel:DWORD dst_unused:UNUSED_PAD src0_sel:WORD_0 src1_sel:DWORD
	ds_read2_b32 v[126:127], v125 offset0:6 offset1:7
	ds_read2_b32 v[128:129], v131 offset0:6 offset1:7
	s_waitcnt lgkmcnt(1)
	v_ashrrev_i32_e32 v126, s19, v126
	s_waitcnt lgkmcnt(0)
	v_ashrrev_i32_e32 v128, s3, v128
	v_lshlrev_b32_e32 v128, 2, v128
	v_bfe_u32 v137, v126, 24, 2
	v_and_b32_e32 v126, 0x3030303, v126
	v_and_b32_e32 v128, 0x4040404, v128
	v_sub_u16_e32 v131, v126, v128
	v_sub_u16_sdwa v138, v126, v128 dst_sel:BYTE_1 dst_unused:UNUSED_PAD src0_sel:BYTE_1 src1_sel:BYTE_1
	v_sub_u16_sdwa v126, v126, v128 dst_sel:DWORD dst_unused:UNUSED_PAD src0_sel:WORD_1 src1_sel:WORD_1
	v_sub_u16_sdwa v128, v137, v128 dst_sel:BYTE_1 dst_unused:UNUSED_PAD src0_sel:DWORD src1_sel:BYTE_3
	v_bitop3_b16 v131, v131, v138, s23 bitop3:0xec
	v_bitop3_b16 v126, v126, v128, s23 bitop3:0xec
	v_lshlrev_b32_e32 v126, 16, v126
	v_ashrrev_i32_e32 v129, s3, v129
	v_or_b32_sdwa v128, v131, v126 dst_sel:DWORD dst_unused:UNUSED_PAD src0_sel:WORD_0 src1_sel:DWORD
	v_ashrrev_i32_e32 v126, s19, v127
	v_lshlrev_b32_e32 v129, 2, v129
	v_bfe_u32 v127, v126, 24, 2
	v_and_b32_e32 v126, 0x3030303, v126
	v_and_b32_e32 v129, 0x4040404, v129
	v_sub_u16_e32 v131, v126, v129
	v_sub_u16_sdwa v137, v126, v129 dst_sel:BYTE_1 dst_unused:UNUSED_PAD src0_sel:BYTE_1 src1_sel:BYTE_1
	v_sub_u16_sdwa v126, v126, v129 dst_sel:DWORD dst_unused:UNUSED_PAD src0_sel:WORD_1 src1_sel:WORD_1
	v_sub_u16_sdwa v127, v127, v129 dst_sel:BYTE_1 dst_unused:UNUSED_PAD src0_sel:DWORD src1_sel:BYTE_3
	v_bitop3_b16 v131, v131, v137, s23 bitop3:0xec
	v_bitop3_b16 v126, v126, v127, s23 bitop3:0xec
	v_lshlrev_b32_e32 v126, 16, v126
	v_or_b32_sdwa v127, v131, v126 dst_sel:DWORD dst_unused:UNUSED_PAD src0_sel:WORD_0 src1_sel:DWORD
	v_mov_b32_e32 v131, 0
	v_dot4c_i32_i8_e32 v131, v130, v6
	v_dot4c_i32_i8_e32 v131, v132, v7
	;; [unrolled: 1-line block ×4, first 2 shown]
	v_mov_b32_e32 v134, 0
	v_dot4c_i32_i8_e32 v134, v135, v2
	v_dot4c_i32_i8_e32 v134, v136, v3
	v_add_u32_e32 v129, s30, v25
	v_dot4c_i32_i8_e32 v134, v128, v4
	v_dot4c_i32_i8_e32 v134, v127, v5
	ds_read_u16 v127, v129 offset:25330
	v_add3_u32 v126, s29, v119, v87
	v_add3_u32 v135, s31, v89, v91
	ds_read_b32 v126, v126
	ds_read2_b32 v[132:133], v135 offset1:1
	s_waitcnt lgkmcnt(2)
	v_lshrrev_b16_e32 v128, 8, v127
	v_bfe_i32 v127, v127, 0, 8
	v_bfe_i32 v129, v128, 0, 8
	v_mul_lo_u32 v128, v131, v127
	v_add_u32_e32 v127, 0x1080, v125
	ds_read2_b32 v[130:131], v127 offset1:1
	s_waitcnt lgkmcnt(1)
	v_ashrrev_i32_e32 v132, s3, v132
	v_lshlrev_b32_e32 v132, 2, v132
	v_and_b32_e32 v132, 0x4040404, v132
	v_mad_u64_u32 v[128:129], s[34:35], v134, v129, v[128:129]
	s_waitcnt lgkmcnt(0)
	v_ashrrev_i32_e32 v127, s19, v130
	v_bfe_u32 v130, v127, 24, 2
	v_and_b32_e32 v127, 0x3030303, v127
	v_sub_u16_e32 v136, v127, v132
	v_sub_u16_sdwa v137, v127, v132 dst_sel:BYTE_1 dst_unused:UNUSED_PAD src0_sel:BYTE_1 src1_sel:BYTE_1
	v_sub_u16_sdwa v127, v127, v132 dst_sel:DWORD dst_unused:UNUSED_PAD src0_sel:WORD_1 src1_sel:WORD_1
	v_sub_u16_sdwa v130, v130, v132 dst_sel:BYTE_1 dst_unused:UNUSED_PAD src0_sel:DWORD src1_sel:BYTE_3
	v_bitop3_b16 v136, v136, v137, s23 bitop3:0xec
	v_bitop3_b16 v127, v127, v130, s23 bitop3:0xec
	v_lshlrev_b32_e32 v127, 16, v127
	v_or_b32_sdwa v136, v136, v127 dst_sel:DWORD dst_unused:UNUSED_PAD src0_sel:WORD_0 src1_sel:DWORD
	v_ashrrev_i32_e32 v127, s19, v131
	v_ashrrev_i32_e32 v131, s3, v133
	v_lshlrev_b32_e32 v131, 2, v131
	v_bfe_u32 v130, v127, 24, 2
	v_and_b32_e32 v127, 0x3030303, v127
	v_and_b32_e32 v131, 0x4040404, v131
	v_sub_u16_e32 v132, v127, v131
	v_sub_u16_sdwa v133, v127, v131 dst_sel:BYTE_1 dst_unused:UNUSED_PAD src0_sel:BYTE_1 src1_sel:BYTE_1
	v_sub_u16_sdwa v127, v127, v131 dst_sel:DWORD dst_unused:UNUSED_PAD src0_sel:WORD_1 src1_sel:WORD_1
	v_sub_u16_sdwa v130, v130, v131 dst_sel:BYTE_1 dst_unused:UNUSED_PAD src0_sel:DWORD src1_sel:BYTE_3
	v_bitop3_b16 v132, v132, v133, s23 bitop3:0xec
	v_bitop3_b16 v127, v127, v130, s23 bitop3:0xec
	v_lshlrev_b32_e32 v127, 16, v127
	v_or_b32_sdwa v137, v132, v127 dst_sel:DWORD dst_unused:UNUSED_PAD src0_sel:WORD_0 src1_sel:DWORD
	v_add_u32_e32 v127, 0x1088, v125
	ds_read2_b32 v[130:131], v127 offset1:1
	ds_read2_b32 v[132:133], v135 offset0:2 offset1:3
	v_cvt_f32_i32_e32 v128, v128
	s_waitcnt lgkmcnt(1)
	v_ashrrev_i32_e32 v127, s19, v130
	s_waitcnt lgkmcnt(0)
	v_ashrrev_i32_e32 v132, s3, v132
	v_lshlrev_b32_e32 v132, 2, v132
	v_bfe_u32 v130, v127, 24, 2
	v_and_b32_e32 v127, 0x3030303, v127
	v_and_b32_e32 v132, 0x4040404, v132
	v_sub_u16_e32 v138, v127, v132
	v_sub_u16_sdwa v139, v127, v132 dst_sel:BYTE_1 dst_unused:UNUSED_PAD src0_sel:BYTE_1 src1_sel:BYTE_1
	v_sub_u16_sdwa v127, v127, v132 dst_sel:DWORD dst_unused:UNUSED_PAD src0_sel:WORD_1 src1_sel:WORD_1
	v_sub_u16_sdwa v130, v130, v132 dst_sel:BYTE_1 dst_unused:UNUSED_PAD src0_sel:DWORD src1_sel:BYTE_3
	v_bitop3_b16 v138, v138, v139, s23 bitop3:0xec
	v_bitop3_b16 v127, v127, v130, s23 bitop3:0xec
	v_lshlrev_b32_e32 v127, 16, v127
	v_or_b32_sdwa v138, v138, v127 dst_sel:DWORD dst_unused:UNUSED_PAD src0_sel:WORD_0 src1_sel:DWORD
	v_ashrrev_i32_e32 v127, s19, v131
	v_ashrrev_i32_e32 v131, s3, v133
	v_lshlrev_b32_e32 v131, 2, v131
	v_bfe_u32 v130, v127, 24, 2
	v_and_b32_e32 v127, 0x3030303, v127
	v_and_b32_e32 v131, 0x4040404, v131
	v_sub_u16_e32 v132, v127, v131
	v_sub_u16_sdwa v133, v127, v131 dst_sel:BYTE_1 dst_unused:UNUSED_PAD src0_sel:BYTE_1 src1_sel:BYTE_1
	v_sub_u16_sdwa v127, v127, v131 dst_sel:DWORD dst_unused:UNUSED_PAD src0_sel:WORD_1 src1_sel:WORD_1
	v_sub_u16_sdwa v130, v130, v131 dst_sel:BYTE_1 dst_unused:UNUSED_PAD src0_sel:DWORD src1_sel:BYTE_3
	v_bitop3_b16 v132, v132, v133, s23 bitop3:0xec
	v_bitop3_b16 v127, v127, v130, s23 bitop3:0xec
	v_lshlrev_b32_e32 v127, 16, v127
	v_or_b32_sdwa v139, v132, v127 dst_sel:DWORD dst_unused:UNUSED_PAD src0_sel:WORD_0 src1_sel:DWORD
	v_add_u32_e32 v127, 0x1090, v125
	ds_read2_b32 v[130:131], v127 offset1:1
	ds_read2_b32 v[132:133], v135 offset0:4 offset1:5
	s_waitcnt lgkmcnt(1)
	v_ashrrev_i32_e32 v127, s19, v130
	s_waitcnt lgkmcnt(0)
	v_ashrrev_i32_e32 v132, s3, v132
	v_lshlrev_b32_e32 v132, 2, v132
	v_bfe_u32 v130, v127, 24, 2
	v_and_b32_e32 v127, 0x3030303, v127
	v_and_b32_e32 v132, 0x4040404, v132
	v_sub_u16_e32 v140, v127, v132
	v_sub_u16_sdwa v141, v127, v132 dst_sel:BYTE_1 dst_unused:UNUSED_PAD src0_sel:BYTE_1 src1_sel:BYTE_1
	v_sub_u16_sdwa v127, v127, v132 dst_sel:DWORD dst_unused:UNUSED_PAD src0_sel:WORD_1 src1_sel:WORD_1
	v_sub_u16_sdwa v130, v130, v132 dst_sel:BYTE_1 dst_unused:UNUSED_PAD src0_sel:DWORD src1_sel:BYTE_3
	v_bitop3_b16 v140, v140, v141, s23 bitop3:0xec
	v_bitop3_b16 v127, v127, v130, s23 bitop3:0xec
	v_lshlrev_b32_e32 v127, 16, v127
	v_or_b32_sdwa v140, v140, v127 dst_sel:DWORD dst_unused:UNUSED_PAD src0_sel:WORD_0 src1_sel:DWORD
	v_ashrrev_i32_e32 v127, s19, v131
	v_ashrrev_i32_e32 v131, s3, v133
	v_lshlrev_b32_e32 v131, 2, v131
	v_bfe_u32 v130, v127, 24, 2
	v_and_b32_e32 v127, 0x3030303, v127
	v_and_b32_e32 v131, 0x4040404, v131
	v_sub_u16_e32 v132, v127, v131
	v_sub_u16_sdwa v133, v127, v131 dst_sel:BYTE_1 dst_unused:UNUSED_PAD src0_sel:BYTE_1 src1_sel:BYTE_1
	v_sub_u16_sdwa v127, v127, v131 dst_sel:DWORD dst_unused:UNUSED_PAD src0_sel:WORD_1 src1_sel:WORD_1
	v_sub_u16_sdwa v130, v130, v131 dst_sel:BYTE_1 dst_unused:UNUSED_PAD src0_sel:DWORD src1_sel:BYTE_3
	v_bitop3_b16 v132, v132, v133, s23 bitop3:0xec
	v_bitop3_b16 v127, v127, v130, s23 bitop3:0xec
	v_lshlrev_b32_e32 v127, 16, v127
	v_or_b32_sdwa v141, v132, v127 dst_sel:DWORD dst_unused:UNUSED_PAD src0_sel:WORD_0 src1_sel:DWORD
	v_add_u32_e32 v127, 0x1098, v125
	ds_read2_b32 v[130:131], v127 offset1:1
	ds_read2_b32 v[132:133], v135 offset0:6 offset1:7
	s_waitcnt lgkmcnt(1)
	v_ashrrev_i32_e32 v127, s19, v130
	s_waitcnt lgkmcnt(0)
	v_ashrrev_i32_e32 v132, s3, v132
	v_lshlrev_b32_e32 v132, 2, v132
	v_bfe_u32 v130, v127, 24, 2
	v_and_b32_e32 v127, 0x3030303, v127
	v_and_b32_e32 v132, 0x4040404, v132
	v_sub_u16_e32 v135, v127, v132
	v_sub_u16_sdwa v142, v127, v132 dst_sel:BYTE_1 dst_unused:UNUSED_PAD src0_sel:BYTE_1 src1_sel:BYTE_1
	v_sub_u16_sdwa v127, v127, v132 dst_sel:DWORD dst_unused:UNUSED_PAD src0_sel:WORD_1 src1_sel:WORD_1
	v_sub_u16_sdwa v130, v130, v132 dst_sel:BYTE_1 dst_unused:UNUSED_PAD src0_sel:DWORD src1_sel:BYTE_3
	v_bitop3_b16 v135, v135, v142, s23 bitop3:0xec
	v_bitop3_b16 v127, v127, v130, s23 bitop3:0xec
	v_lshlrev_b32_e32 v127, 16, v127
	v_or_b32_sdwa v132, v135, v127 dst_sel:DWORD dst_unused:UNUSED_PAD src0_sel:WORD_0 src1_sel:DWORD
	v_ashrrev_i32_e32 v127, s19, v131
	v_ashrrev_i32_e32 v131, s3, v133
	v_lshlrev_b32_e32 v131, 2, v131
	v_bfe_u32 v130, v127, 24, 2
	v_and_b32_e32 v127, 0x3030303, v127
	v_and_b32_e32 v131, 0x4040404, v131
	v_sub_u16_e32 v133, v127, v131
	v_sub_u16_sdwa v135, v127, v131 dst_sel:BYTE_1 dst_unused:UNUSED_PAD src0_sel:BYTE_1 src1_sel:BYTE_1
	v_sub_u16_sdwa v127, v127, v131 dst_sel:DWORD dst_unused:UNUSED_PAD src0_sel:WORD_1 src1_sel:WORD_1
	v_sub_u16_sdwa v130, v130, v131 dst_sel:BYTE_1 dst_unused:UNUSED_PAD src0_sel:DWORD src1_sel:BYTE_3
	v_bitop3_b16 v133, v133, v135, s23 bitop3:0xec
	v_bitop3_b16 v127, v127, v130, s23 bitop3:0xec
	v_lshlrev_b32_e32 v127, 16, v127
	v_or_b32_sdwa v131, v133, v127 dst_sel:DWORD dst_unused:UNUSED_PAD src0_sel:WORD_0 src1_sel:DWORD
	v_add_u32_e32 v130, s30, v23
	v_add3_u32 v127, s29, v93, v95
	ds_read_b32 v127, v127
	ds_read_u16 v130, v130 offset:26354
	v_mov_b32_e32 v133, 0
	v_dot4c_i32_i8_e32 v133, v136, v6
	v_dot4c_i32_i8_e32 v133, v137, v7
	;; [unrolled: 1-line block ×4, first 2 shown]
	s_waitcnt lgkmcnt(0)
	v_lshrrev_b16_e32 v135, 8, v130
	v_bfe_i32 v130, v130, 0, 8
	v_pk_mul_f32 v[126:127], v[124:125], v[126:127] op_sel_hi:[0,1]
	v_mul_lo_u32 v130, v133, v130
	v_mov_b32_e32 v133, 0
	v_dot4c_i32_i8_e32 v133, v140, v2
	v_dot4c_i32_i8_e32 v133, v141, v3
	;; [unrolled: 1-line block ×4, first 2 shown]
	v_bfe_i32 v131, v135, 0, 8
	s_nop 1
	v_mad_u64_u32 v[130:131], s[34:35], v133, v131, v[130:131]
	v_cvt_f32_i32_e32 v129, v130
	v_add3_u32 v131, s31, v97, v99
	v_pk_fma_f32 v[42:43], v[126:127], v[128:129], v[42:43]
	v_add_u32_e32 v126, 0x2100, v125
	ds_read2_b32 v[126:127], v126 offset1:1
	ds_read2_b32 v[128:129], v131 offset1:1
	s_waitcnt lgkmcnt(1)
	v_ashrrev_i32_e32 v126, s19, v126
	s_waitcnt lgkmcnt(0)
	v_ashrrev_i32_e32 v128, s3, v128
	v_lshlrev_b32_e32 v128, 2, v128
	v_bfe_u32 v130, v126, 24, 2
	v_and_b32_e32 v126, 0x3030303, v126
	v_and_b32_e32 v128, 0x4040404, v128
	v_sub_u16_e32 v132, v126, v128
	v_sub_u16_sdwa v133, v126, v128 dst_sel:BYTE_1 dst_unused:UNUSED_PAD src0_sel:BYTE_1 src1_sel:BYTE_1
	v_sub_u16_sdwa v126, v126, v128 dst_sel:DWORD dst_unused:UNUSED_PAD src0_sel:WORD_1 src1_sel:WORD_1
	v_sub_u16_sdwa v128, v130, v128 dst_sel:BYTE_1 dst_unused:UNUSED_PAD src0_sel:DWORD src1_sel:BYTE_3
	v_bitop3_b16 v132, v132, v133, s23 bitop3:0xec
	v_bitop3_b16 v126, v126, v128, s23 bitop3:0xec
	v_lshlrev_b32_e32 v126, 16, v126
	v_ashrrev_i32_e32 v128, s3, v129
	v_or_b32_sdwa v130, v132, v126 dst_sel:DWORD dst_unused:UNUSED_PAD src0_sel:WORD_0 src1_sel:DWORD
	v_ashrrev_i32_e32 v126, s19, v127
	v_lshlrev_b32_e32 v128, 2, v128
	v_bfe_u32 v127, v126, 24, 2
	v_and_b32_e32 v126, 0x3030303, v126
	v_and_b32_e32 v128, 0x4040404, v128
	v_sub_u16_e32 v129, v126, v128
	v_sub_u16_sdwa v132, v126, v128 dst_sel:BYTE_1 dst_unused:UNUSED_PAD src0_sel:BYTE_1 src1_sel:BYTE_1
	v_sub_u16_sdwa v126, v126, v128 dst_sel:DWORD dst_unused:UNUSED_PAD src0_sel:WORD_1 src1_sel:WORD_1
	v_sub_u16_sdwa v127, v127, v128 dst_sel:BYTE_1 dst_unused:UNUSED_PAD src0_sel:DWORD src1_sel:BYTE_3
	v_bitop3_b16 v129, v129, v132, s23 bitop3:0xec
	v_bitop3_b16 v126, v126, v127, s23 bitop3:0xec
	v_lshlrev_b32_e32 v126, 16, v126
	v_or_b32_sdwa v132, v129, v126 dst_sel:DWORD dst_unused:UNUSED_PAD src0_sel:WORD_0 src1_sel:DWORD
	v_add_u32_e32 v126, 0x2108, v125
	ds_read2_b32 v[126:127], v126 offset1:1
	ds_read2_b32 v[128:129], v131 offset0:2 offset1:3
	s_waitcnt lgkmcnt(1)
	v_ashrrev_i32_e32 v126, s19, v126
	s_waitcnt lgkmcnt(0)
	v_ashrrev_i32_e32 v128, s3, v128
	v_lshlrev_b32_e32 v128, 2, v128
	v_bfe_u32 v133, v126, 24, 2
	v_and_b32_e32 v126, 0x3030303, v126
	v_and_b32_e32 v128, 0x4040404, v128
	v_sub_u16_e32 v134, v126, v128
	v_sub_u16_sdwa v135, v126, v128 dst_sel:BYTE_1 dst_unused:UNUSED_PAD src0_sel:BYTE_1 src1_sel:BYTE_1
	v_sub_u16_sdwa v126, v126, v128 dst_sel:DWORD dst_unused:UNUSED_PAD src0_sel:WORD_1 src1_sel:WORD_1
	v_sub_u16_sdwa v128, v133, v128 dst_sel:BYTE_1 dst_unused:UNUSED_PAD src0_sel:DWORD src1_sel:BYTE_3
	v_bitop3_b16 v134, v134, v135, s23 bitop3:0xec
	v_bitop3_b16 v126, v126, v128, s23 bitop3:0xec
	v_lshlrev_b32_e32 v126, 16, v126
	v_ashrrev_i32_e32 v128, s3, v129
	v_or_b32_sdwa v133, v134, v126 dst_sel:DWORD dst_unused:UNUSED_PAD src0_sel:WORD_0 src1_sel:DWORD
	v_ashrrev_i32_e32 v126, s19, v127
	v_lshlrev_b32_e32 v128, 2, v128
	v_bfe_u32 v127, v126, 24, 2
	v_and_b32_e32 v126, 0x3030303, v126
	v_and_b32_e32 v128, 0x4040404, v128
	v_sub_u16_e32 v129, v126, v128
	v_sub_u16_sdwa v134, v126, v128 dst_sel:BYTE_1 dst_unused:UNUSED_PAD src0_sel:BYTE_1 src1_sel:BYTE_1
	v_sub_u16_sdwa v126, v126, v128 dst_sel:DWORD dst_unused:UNUSED_PAD src0_sel:WORD_1 src1_sel:WORD_1
	v_sub_u16_sdwa v127, v127, v128 dst_sel:BYTE_1 dst_unused:UNUSED_PAD src0_sel:DWORD src1_sel:BYTE_3
	v_bitop3_b16 v129, v129, v134, s23 bitop3:0xec
	v_bitop3_b16 v126, v126, v127, s23 bitop3:0xec
	v_lshlrev_b32_e32 v126, 16, v126
	v_or_b32_sdwa v134, v129, v126 dst_sel:DWORD dst_unused:UNUSED_PAD src0_sel:WORD_0 src1_sel:DWORD
	v_add_u32_e32 v126, 0x2110, v125
	ds_read2_b32 v[126:127], v126 offset1:1
	ds_read2_b32 v[128:129], v131 offset0:4 offset1:5
	;; [unrolled: 33-line block ×3, first 2 shown]
	s_waitcnt lgkmcnt(1)
	v_ashrrev_i32_e32 v126, s19, v126
	s_waitcnt lgkmcnt(0)
	v_ashrrev_i32_e32 v128, s3, v128
	v_lshlrev_b32_e32 v128, 2, v128
	v_bfe_u32 v137, v126, 24, 2
	v_and_b32_e32 v126, 0x3030303, v126
	v_and_b32_e32 v128, 0x4040404, v128
	v_sub_u16_e32 v131, v126, v128
	v_sub_u16_sdwa v138, v126, v128 dst_sel:BYTE_1 dst_unused:UNUSED_PAD src0_sel:BYTE_1 src1_sel:BYTE_1
	v_sub_u16_sdwa v126, v126, v128 dst_sel:DWORD dst_unused:UNUSED_PAD src0_sel:WORD_1 src1_sel:WORD_1
	v_sub_u16_sdwa v128, v137, v128 dst_sel:BYTE_1 dst_unused:UNUSED_PAD src0_sel:DWORD src1_sel:BYTE_3
	v_bitop3_b16 v131, v131, v138, s23 bitop3:0xec
	v_bitop3_b16 v126, v126, v128, s23 bitop3:0xec
	v_lshlrev_b32_e32 v126, 16, v126
	v_ashrrev_i32_e32 v129, s3, v129
	v_or_b32_sdwa v128, v131, v126 dst_sel:DWORD dst_unused:UNUSED_PAD src0_sel:WORD_0 src1_sel:DWORD
	v_ashrrev_i32_e32 v126, s19, v127
	v_lshlrev_b32_e32 v129, 2, v129
	v_bfe_u32 v127, v126, 24, 2
	v_and_b32_e32 v126, 0x3030303, v126
	v_and_b32_e32 v129, 0x4040404, v129
	v_sub_u16_e32 v131, v126, v129
	v_sub_u16_sdwa v137, v126, v129 dst_sel:BYTE_1 dst_unused:UNUSED_PAD src0_sel:BYTE_1 src1_sel:BYTE_1
	v_sub_u16_sdwa v126, v126, v129 dst_sel:DWORD dst_unused:UNUSED_PAD src0_sel:WORD_1 src1_sel:WORD_1
	v_sub_u16_sdwa v127, v127, v129 dst_sel:BYTE_1 dst_unused:UNUSED_PAD src0_sel:DWORD src1_sel:BYTE_3
	v_mov_b32_e32 v129, 0
	v_bitop3_b16 v126, v126, v127, s23 bitop3:0xec
	v_dot4c_i32_i8_e32 v129, v135, v2
	v_bitop3_b16 v131, v131, v137, s23 bitop3:0xec
	v_lshlrev_b32_e32 v126, 16, v126
	v_dot4c_i32_i8_e32 v129, v136, v3
	v_or_b32_sdwa v127, v131, v126 dst_sel:DWORD dst_unused:UNUSED_PAD src0_sel:WORD_0 src1_sel:DWORD
	v_add_u32_e32 v131, s30, v21
	v_dot4c_i32_i8_e32 v129, v128, v4
	v_dot4c_i32_i8_e32 v129, v127, v5
	ds_read_u16 v127, v131 offset:27378
	v_mov_b32_e32 v137, 0
	v_dot4c_i32_i8_e32 v137, v130, v6
	v_dot4c_i32_i8_e32 v137, v132, v7
	;; [unrolled: 1-line block ×4, first 2 shown]
	s_waitcnt lgkmcnt(0)
	v_lshrrev_b16_e32 v128, 8, v127
	v_bfe_i32 v127, v127, 0, 8
	v_add3_u32 v126, s29, v101, v103
	v_bfe_i32 v130, v128, 0, 8
	v_mul_lo_u32 v128, v137, v127
	v_add_u32_e32 v127, 0x3180, v125
	v_add3_u32 v136, s31, v105, v107
	ds_read_b32 v126, v126
	ds_read2_b32 v[132:133], v127 offset1:1
	ds_read2_b32 v[134:135], v136 offset1:1
	s_waitcnt lgkmcnt(1)
	v_ashrrev_i32_e32 v127, s19, v132
	s_waitcnt lgkmcnt(0)
	v_ashrrev_i32_e32 v132, s3, v134
	v_lshlrev_b32_e32 v132, 2, v132
	v_bfe_u32 v131, v127, 24, 2
	v_and_b32_e32 v127, 0x3030303, v127
	v_and_b32_e32 v132, 0x4040404, v132
	v_sub_u16_e32 v134, v127, v132
	v_sub_u16_sdwa v137, v127, v132 dst_sel:BYTE_1 dst_unused:UNUSED_PAD src0_sel:BYTE_1 src1_sel:BYTE_1
	v_sub_u16_sdwa v127, v127, v132 dst_sel:DWORD dst_unused:UNUSED_PAD src0_sel:WORD_1 src1_sel:WORD_1
	v_sub_u16_sdwa v131, v131, v132 dst_sel:BYTE_1 dst_unused:UNUSED_PAD src0_sel:DWORD src1_sel:BYTE_3
	v_bitop3_b16 v134, v134, v137, s23 bitop3:0xec
	v_bitop3_b16 v127, v127, v131, s23 bitop3:0xec
	v_lshlrev_b32_e32 v127, 16, v127
	v_or_b32_sdwa v131, v134, v127 dst_sel:DWORD dst_unused:UNUSED_PAD src0_sel:WORD_0 src1_sel:DWORD
	v_ashrrev_i32_e32 v127, s19, v133
	v_ashrrev_i32_e32 v133, s3, v135
	v_lshlrev_b32_e32 v133, 2, v133
	v_bfe_u32 v132, v127, 24, 2
	v_and_b32_e32 v127, 0x3030303, v127
	v_and_b32_e32 v133, 0x4040404, v133
	v_sub_u16_e32 v134, v127, v133
	v_sub_u16_sdwa v135, v127, v133 dst_sel:BYTE_1 dst_unused:UNUSED_PAD src0_sel:BYTE_1 src1_sel:BYTE_1
	v_sub_u16_sdwa v127, v127, v133 dst_sel:DWORD dst_unused:UNUSED_PAD src0_sel:WORD_1 src1_sel:WORD_1
	v_sub_u16_sdwa v132, v132, v133 dst_sel:BYTE_1 dst_unused:UNUSED_PAD src0_sel:DWORD src1_sel:BYTE_3
	v_bitop3_b16 v134, v134, v135, s23 bitop3:0xec
	v_bitop3_b16 v127, v127, v132, s23 bitop3:0xec
	v_lshlrev_b32_e32 v127, 16, v127
	v_or_b32_sdwa v137, v134, v127 dst_sel:DWORD dst_unused:UNUSED_PAD src0_sel:WORD_0 src1_sel:DWORD
	v_add_u32_e32 v127, 0x3188, v125
	ds_read2_b32 v[132:133], v127 offset1:1
	ds_read2_b32 v[134:135], v136 offset0:2 offset1:3
	s_waitcnt lgkmcnt(1)
	v_ashrrev_i32_e32 v127, s19, v132
	s_waitcnt lgkmcnt(0)
	v_ashrrev_i32_e32 v134, s3, v134
	v_lshlrev_b32_e32 v134, 2, v134
	v_bfe_u32 v132, v127, 24, 2
	v_and_b32_e32 v127, 0x3030303, v127
	v_and_b32_e32 v134, 0x4040404, v134
	v_sub_u16_e32 v138, v127, v134
	v_sub_u16_sdwa v139, v127, v134 dst_sel:BYTE_1 dst_unused:UNUSED_PAD src0_sel:BYTE_1 src1_sel:BYTE_1
	v_sub_u16_sdwa v127, v127, v134 dst_sel:DWORD dst_unused:UNUSED_PAD src0_sel:WORD_1 src1_sel:WORD_1
	v_sub_u16_sdwa v132, v132, v134 dst_sel:BYTE_1 dst_unused:UNUSED_PAD src0_sel:DWORD src1_sel:BYTE_3
	v_bitop3_b16 v138, v138, v139, s23 bitop3:0xec
	v_bitop3_b16 v127, v127, v132, s23 bitop3:0xec
	v_lshlrev_b32_e32 v127, 16, v127
	v_or_b32_sdwa v138, v138, v127 dst_sel:DWORD dst_unused:UNUSED_PAD src0_sel:WORD_0 src1_sel:DWORD
	v_ashrrev_i32_e32 v127, s19, v133
	v_ashrrev_i32_e32 v133, s3, v135
	v_lshlrev_b32_e32 v133, 2, v133
	v_bfe_u32 v132, v127, 24, 2
	v_and_b32_e32 v127, 0x3030303, v127
	v_and_b32_e32 v133, 0x4040404, v133
	v_sub_u16_e32 v134, v127, v133
	v_sub_u16_sdwa v135, v127, v133 dst_sel:BYTE_1 dst_unused:UNUSED_PAD src0_sel:BYTE_1 src1_sel:BYTE_1
	v_sub_u16_sdwa v127, v127, v133 dst_sel:DWORD dst_unused:UNUSED_PAD src0_sel:WORD_1 src1_sel:WORD_1
	v_sub_u16_sdwa v132, v132, v133 dst_sel:BYTE_1 dst_unused:UNUSED_PAD src0_sel:DWORD src1_sel:BYTE_3
	v_bitop3_b16 v134, v134, v135, s23 bitop3:0xec
	v_bitop3_b16 v127, v127, v132, s23 bitop3:0xec
	v_lshlrev_b32_e32 v127, 16, v127
	v_or_b32_sdwa v139, v134, v127 dst_sel:DWORD dst_unused:UNUSED_PAD src0_sel:WORD_0 src1_sel:DWORD
	v_add_u32_e32 v127, 0x3190, v125
	ds_read2_b32 v[132:133], v127 offset1:1
	ds_read2_b32 v[134:135], v136 offset0:4 offset1:5
	v_add_u32_e32 v125, 0x3198, v125
	s_waitcnt lgkmcnt(1)
	v_ashrrev_i32_e32 v127, s19, v132
	s_waitcnt lgkmcnt(0)
	v_ashrrev_i32_e32 v134, s3, v134
	v_lshlrev_b32_e32 v134, 2, v134
	v_bfe_u32 v132, v127, 24, 2
	v_and_b32_e32 v127, 0x3030303, v127
	v_and_b32_e32 v134, 0x4040404, v134
	v_sub_u16_e32 v140, v127, v134
	v_sub_u16_sdwa v141, v127, v134 dst_sel:BYTE_1 dst_unused:UNUSED_PAD src0_sel:BYTE_1 src1_sel:BYTE_1
	v_sub_u16_sdwa v127, v127, v134 dst_sel:DWORD dst_unused:UNUSED_PAD src0_sel:WORD_1 src1_sel:WORD_1
	v_sub_u16_sdwa v132, v132, v134 dst_sel:BYTE_1 dst_unused:UNUSED_PAD src0_sel:DWORD src1_sel:BYTE_3
	v_bitop3_b16 v140, v140, v141, s23 bitop3:0xec
	v_bitop3_b16 v127, v127, v132, s23 bitop3:0xec
	v_lshlrev_b32_e32 v127, 16, v127
	v_or_b32_sdwa v140, v140, v127 dst_sel:DWORD dst_unused:UNUSED_PAD src0_sel:WORD_0 src1_sel:DWORD
	v_ashrrev_i32_e32 v127, s19, v133
	v_ashrrev_i32_e32 v133, s3, v135
	v_lshlrev_b32_e32 v133, 2, v133
	v_bfe_u32 v132, v127, 24, 2
	v_and_b32_e32 v127, 0x3030303, v127
	v_and_b32_e32 v133, 0x4040404, v133
	v_sub_u16_e32 v134, v127, v133
	v_sub_u16_sdwa v135, v127, v133 dst_sel:BYTE_1 dst_unused:UNUSED_PAD src0_sel:BYTE_1 src1_sel:BYTE_1
	v_sub_u16_sdwa v127, v127, v133 dst_sel:DWORD dst_unused:UNUSED_PAD src0_sel:WORD_1 src1_sel:WORD_1
	v_sub_u16_sdwa v132, v132, v133 dst_sel:BYTE_1 dst_unused:UNUSED_PAD src0_sel:DWORD src1_sel:BYTE_3
	v_bitop3_b16 v134, v134, v135, s23 bitop3:0xec
	v_bitop3_b16 v127, v127, v132, s23 bitop3:0xec
	v_lshlrev_b32_e32 v127, 16, v127
	v_or_b32_sdwa v141, v134, v127 dst_sel:DWORD dst_unused:UNUSED_PAD src0_sel:WORD_0 src1_sel:DWORD
	ds_read2_b32 v[132:133], v125 offset1:1
	ds_read2_b32 v[134:135], v136 offset0:6 offset1:7
	s_waitcnt lgkmcnt(1)
	v_ashrrev_i32_e32 v125, s19, v132
	s_waitcnt lgkmcnt(0)
	v_ashrrev_i32_e32 v132, s3, v134
	v_lshlrev_b32_e32 v132, 2, v132
	v_bfe_u32 v127, v125, 24, 2
	v_and_b32_e32 v125, 0x3030303, v125
	v_and_b32_e32 v132, 0x4040404, v132
	v_sub_u16_e32 v134, v125, v132
	v_sub_u16_sdwa v136, v125, v132 dst_sel:BYTE_1 dst_unused:UNUSED_PAD src0_sel:BYTE_1 src1_sel:BYTE_1
	v_sub_u16_sdwa v125, v125, v132 dst_sel:DWORD dst_unused:UNUSED_PAD src0_sel:WORD_1 src1_sel:WORD_1
	v_sub_u16_sdwa v127, v127, v132 dst_sel:BYTE_1 dst_unused:UNUSED_PAD src0_sel:DWORD src1_sel:BYTE_3
	v_bitop3_b16 v134, v134, v136, s23 bitop3:0xec
	v_bitop3_b16 v125, v125, v127, s23 bitop3:0xec
	v_ashrrev_i32_e32 v127, s19, v133
	v_ashrrev_i32_e32 v133, s3, v135
	v_lshlrev_b32_e32 v133, 2, v133
	v_lshlrev_b32_e32 v125, 16, v125
	v_bfe_u32 v132, v127, 24, 2
	v_and_b32_e32 v127, 0x3030303, v127
	v_and_b32_e32 v133, 0x4040404, v133
	v_or_b32_sdwa v125, v134, v125 dst_sel:DWORD dst_unused:UNUSED_PAD src0_sel:WORD_0 src1_sel:DWORD
	v_sub_u16_e32 v134, v127, v133
	v_sub_u16_sdwa v135, v127, v133 dst_sel:BYTE_1 dst_unused:UNUSED_PAD src0_sel:BYTE_1 src1_sel:BYTE_1
	v_sub_u16_sdwa v127, v127, v133 dst_sel:DWORD dst_unused:UNUSED_PAD src0_sel:WORD_1 src1_sel:WORD_1
	v_sub_u16_sdwa v132, v132, v133 dst_sel:BYTE_1 dst_unused:UNUSED_PAD src0_sel:DWORD src1_sel:BYTE_3
	v_bitop3_b16 v134, v134, v135, s23 bitop3:0xec
	v_bitop3_b16 v127, v127, v132, s23 bitop3:0xec
	v_lshlrev_b32_e32 v127, 16, v127
	v_or_b32_sdwa v132, v134, v127 dst_sel:DWORD dst_unused:UNUSED_PAD src0_sel:WORD_0 src1_sel:DWORD
	v_mov_b32_e32 v134, 0
	v_add_u32_e32 v133, s30, v19
	v_add3_u32 v127, s29, v109, v111
	v_dot4c_i32_i8_e32 v134, v131, v6
	v_mov_b32_e32 v6, 0
	ds_read_b32 v127, v127
	v_dot4c_i32_i8_e32 v6, v140, v2
	ds_read_u16 v2, v133 offset:28402
	v_dot4c_i32_i8_e32 v134, v137, v7
	v_dot4c_i32_i8_e32 v134, v138, v8
	;; [unrolled: 1-line block ×5, first 2 shown]
	s_waitcnt lgkmcnt(0)
	v_lshrrev_b16_e32 v3, 8, v2
	v_bfe_i32 v2, v2, 0, 8
	v_dot4c_i32_i8_e32 v6, v132, v5
	v_bfe_i32 v5, v3, 0, 8
	v_mul_lo_u32 v4, v134, v2
	v_mad_u64_u32 v[2:3], s[30:31], v129, v130, v[128:129]
	v_mad_u64_u32 v[4:5], s[30:31], v6, v5, v[4:5]
	v_cvt_f32_i32_e32 v3, v4
	v_cvt_f32_i32_e32 v2, v2
	v_pk_mul_f32 v[6:7], v[124:125], v[126:127] op_sel_hi:[0,1]
	s_add_i32 s3, s3, 1
	s_cmp_lt_u32 s18, 22
	v_pk_fma_f32 v[40:41], v[6:7], v[2:3], v[40:41]
	s_mov_b32 s29, s18
	s_cbranch_scc1 .LBB230_27
; %bb.28:                               ;   in Loop: Header=BB230_5 Depth=1
	s_or_b32 s2, s27, 0x180
	s_cmp_ge_i32 s2, s5
	s_barrier
	s_cbranch_scc1 .LBB230_4
; %bb.29:                               ;   in Loop: Header=BB230_5 Depth=1
	v_add_u32_e32 v2, s28, v53
	v_cmp_gt_i32_e64 s[2:3], s8, v2
	s_and_b64 s[18:19], s[0:1], s[2:3]
	s_and_saveexec_b64 s[2:3], s[18:19]
	s_cbranch_execz .LBB230_31
; %bb.30:                               ;   in Loop: Header=BB230_5 Depth=1
	v_add_u32_e32 v2, v58, v2
	v_mad_i64_i32 v[2:3], s[18:19], v2, 36, v[56:57]
	global_load_dword v2, v[2:3], off offset:4
	s_waitcnt vmcnt(0)
	ds_write_b32 v47, v2
.LBB230_31:                             ;   in Loop: Header=BB230_5 Depth=1
	s_or_b64 exec, exec, s[2:3]
	s_and_saveexec_b64 s[18:19], vcc
	s_cbranch_execz .LBB230_34
; %bb.32:                               ;   in Loop: Header=BB230_5 Depth=1
	v_or_b32_e32 v2, 12, v122
	v_cmp_gt_i32_e64 s[2:3], s8, v2
	s_and_b64 s[2:3], s[0:1], s[2:3]
	s_and_b64 exec, exec, s[2:3]
	s_cbranch_execz .LBB230_34
; %bb.33:                               ;   in Loop: Header=BB230_5 Depth=1
	v_ashrrev_i32_e32 v123, 31, v122
	v_lshl_add_u64 v[2:3], v[58:59], 0, v[122:123]
	v_mad_u64_u32 v[4:5], s[2:3], v2, 36, s[14:15]
	v_mad_i32_i24 v5, v3, 36, v5
	global_load_dword v2, v[4:5], off offset:432
	s_waitcnt vmcnt(0)
	v_cvt_f32_f16_e32 v2, v2
	ds_write_b32 v79, v2
.LBB230_34:                             ;   in Loop: Header=BB230_5 Depth=1
	s_or_b64 exec, exec, s[18:19]
	s_mov_b32 s2, 24
	s_mov_b32 s27, 22
	;; [unrolled: 1-line block ×3, first 2 shown]
	v_mov_b32_e32 v121, v17
	v_mov_b32_e32 v123, v77
	s_waitcnt lgkmcnt(0)
	s_barrier
.LBB230_35:                             ;   Parent Loop BB230_5 Depth=1
                                        ; =>  This Inner Loop Header: Depth=2
	s_add_i32 s18, s27, 2
	s_lshr_b32 s30, s18, 4
	s_and_b32 s29, s18, 0x3ffffff8
	v_lshl_add_u32 v127, s29, 2, v55
	s_lshl_b32 s29, s30, 5
	s_addk_i32 s29, 0x4200
	v_add3_u32 v130, s29, v81, v83
	ds_read_b32 v122, v123
	ds_read_b128 v[6:9], v121
	ds_read_b128 v[2:5], v121 offset:16
	ds_read2_b32 v[124:125], v127 offset1:1
	ds_read2_b32 v[128:129], v130 offset1:1
	s_sub_i32 s19, s27, 22
	s_and_b32 s28, s2, -16
	s_add_i32 s28, s27, s28
	s_waitcnt lgkmcnt(1)
	v_ashrrev_i32_e32 v124, s19, v124
	s_waitcnt lgkmcnt(0)
	v_ashrrev_i32_e32 v128, s3, v128
	v_lshlrev_b32_e32 v128, 2, v128
	v_bfe_u32 v126, v124, 24, 2
	v_and_b32_e32 v124, 0x3030303, v124
	v_and_b32_e32 v128, 0x4040404, v128
	v_sub_u16_e32 v131, v124, v128
	v_sub_u16_sdwa v132, v124, v128 dst_sel:BYTE_1 dst_unused:UNUSED_PAD src0_sel:BYTE_1 src1_sel:BYTE_1
	v_sub_u16_sdwa v124, v124, v128 dst_sel:DWORD dst_unused:UNUSED_PAD src0_sel:WORD_1 src1_sel:WORD_1
	v_sub_u16_sdwa v126, v126, v128 dst_sel:BYTE_1 dst_unused:UNUSED_PAD src0_sel:DWORD src1_sel:BYTE_3
	v_bitop3_b16 v131, v131, v132, s23 bitop3:0xec
	v_bitop3_b16 v124, v124, v126, s23 bitop3:0xec
	v_lshlrev_b32_e32 v124, 16, v124
	v_ashrrev_i32_e32 v128, s3, v129
	v_or_b32_sdwa v126, v131, v124 dst_sel:DWORD dst_unused:UNUSED_PAD src0_sel:WORD_0 src1_sel:DWORD
	v_ashrrev_i32_e32 v124, s19, v125
	v_lshlrev_b32_e32 v128, 2, v128
	v_bfe_u32 v125, v124, 24, 2
	v_and_b32_e32 v124, 0x3030303, v124
	v_and_b32_e32 v128, 0x4040404, v128
	v_sub_u16_e32 v129, v124, v128
	v_sub_u16_sdwa v131, v124, v128 dst_sel:BYTE_1 dst_unused:UNUSED_PAD src0_sel:BYTE_1 src1_sel:BYTE_1
	v_sub_u16_sdwa v124, v124, v128 dst_sel:DWORD dst_unused:UNUSED_PAD src0_sel:WORD_1 src1_sel:WORD_1
	v_sub_u16_sdwa v125, v125, v128 dst_sel:BYTE_1 dst_unused:UNUSED_PAD src0_sel:DWORD src1_sel:BYTE_3
	v_bitop3_b16 v129, v129, v131, s23 bitop3:0xec
	v_bitop3_b16 v124, v124, v125, s23 bitop3:0xec
	v_lshlrev_b32_e32 v124, 16, v124
	v_or_b32_sdwa v131, v129, v124 dst_sel:DWORD dst_unused:UNUSED_PAD src0_sel:WORD_0 src1_sel:DWORD
	ds_read2_b32 v[124:125], v127 offset0:2 offset1:3
	ds_read2_b32 v[128:129], v130 offset0:2 offset1:3
	s_lshl_b32 s27, s30, 2
	s_addk_i32 s27, 0x7380
	s_add_i32 s2, s2, 2
	s_waitcnt lgkmcnt(1)
	v_ashrrev_i32_e32 v124, s19, v124
	s_waitcnt lgkmcnt(0)
	v_ashrrev_i32_e32 v128, s3, v128
	v_lshlrev_b32_e32 v128, 2, v128
	v_bfe_u32 v132, v124, 24, 2
	v_and_b32_e32 v124, 0x3030303, v124
	v_and_b32_e32 v128, 0x4040404, v128
	v_sub_u16_e32 v133, v124, v128
	v_sub_u16_sdwa v134, v124, v128 dst_sel:BYTE_1 dst_unused:UNUSED_PAD src0_sel:BYTE_1 src1_sel:BYTE_1
	v_sub_u16_sdwa v124, v124, v128 dst_sel:DWORD dst_unused:UNUSED_PAD src0_sel:WORD_1 src1_sel:WORD_1
	v_sub_u16_sdwa v128, v132, v128 dst_sel:BYTE_1 dst_unused:UNUSED_PAD src0_sel:DWORD src1_sel:BYTE_3
	v_bitop3_b16 v133, v133, v134, s23 bitop3:0xec
	v_bitop3_b16 v124, v124, v128, s23 bitop3:0xec
	v_lshlrev_b32_e32 v124, 16, v124
	v_ashrrev_i32_e32 v128, s3, v129
	v_or_b32_sdwa v132, v133, v124 dst_sel:DWORD dst_unused:UNUSED_PAD src0_sel:WORD_0 src1_sel:DWORD
	v_ashrrev_i32_e32 v124, s19, v125
	v_lshlrev_b32_e32 v128, 2, v128
	v_bfe_u32 v125, v124, 24, 2
	v_and_b32_e32 v124, 0x3030303, v124
	v_and_b32_e32 v128, 0x4040404, v128
	v_sub_u16_e32 v129, v124, v128
	v_sub_u16_sdwa v133, v124, v128 dst_sel:BYTE_1 dst_unused:UNUSED_PAD src0_sel:BYTE_1 src1_sel:BYTE_1
	v_sub_u16_sdwa v124, v124, v128 dst_sel:DWORD dst_unused:UNUSED_PAD src0_sel:WORD_1 src1_sel:WORD_1
	v_sub_u16_sdwa v125, v125, v128 dst_sel:BYTE_1 dst_unused:UNUSED_PAD src0_sel:DWORD src1_sel:BYTE_3
	v_bitop3_b16 v129, v129, v133, s23 bitop3:0xec
	v_bitop3_b16 v124, v124, v125, s23 bitop3:0xec
	v_lshlrev_b32_e32 v124, 16, v124
	v_or_b32_sdwa v133, v129, v124 dst_sel:DWORD dst_unused:UNUSED_PAD src0_sel:WORD_0 src1_sel:DWORD
	ds_read2_b32 v[124:125], v127 offset0:4 offset1:5
	ds_read2_b32 v[128:129], v130 offset0:4 offset1:5
	v_add_u32_e32 v121, 32, v121
	s_waitcnt lgkmcnt(1)
	v_ashrrev_i32_e32 v124, s19, v124
	s_waitcnt lgkmcnt(0)
	v_ashrrev_i32_e32 v128, s3, v128
	v_lshlrev_b32_e32 v128, 2, v128
	v_bfe_u32 v134, v124, 24, 2
	v_and_b32_e32 v124, 0x3030303, v124
	v_and_b32_e32 v128, 0x4040404, v128
	v_sub_u16_e32 v135, v124, v128
	v_sub_u16_sdwa v136, v124, v128 dst_sel:BYTE_1 dst_unused:UNUSED_PAD src0_sel:BYTE_1 src1_sel:BYTE_1
	v_sub_u16_sdwa v124, v124, v128 dst_sel:DWORD dst_unused:UNUSED_PAD src0_sel:WORD_1 src1_sel:WORD_1
	v_sub_u16_sdwa v128, v134, v128 dst_sel:BYTE_1 dst_unused:UNUSED_PAD src0_sel:DWORD src1_sel:BYTE_3
	v_bitop3_b16 v135, v135, v136, s23 bitop3:0xec
	v_bitop3_b16 v124, v124, v128, s23 bitop3:0xec
	v_lshlrev_b32_e32 v124, 16, v124
	v_ashrrev_i32_e32 v128, s3, v129
	v_or_b32_sdwa v134, v135, v124 dst_sel:DWORD dst_unused:UNUSED_PAD src0_sel:WORD_0 src1_sel:DWORD
	v_ashrrev_i32_e32 v124, s19, v125
	v_lshlrev_b32_e32 v128, 2, v128
	v_bfe_u32 v125, v124, 24, 2
	v_and_b32_e32 v124, 0x3030303, v124
	v_and_b32_e32 v128, 0x4040404, v128
	v_sub_u16_e32 v129, v124, v128
	v_sub_u16_sdwa v135, v124, v128 dst_sel:BYTE_1 dst_unused:UNUSED_PAD src0_sel:BYTE_1 src1_sel:BYTE_1
	v_sub_u16_sdwa v124, v124, v128 dst_sel:DWORD dst_unused:UNUSED_PAD src0_sel:WORD_1 src1_sel:WORD_1
	v_sub_u16_sdwa v125, v125, v128 dst_sel:BYTE_1 dst_unused:UNUSED_PAD src0_sel:DWORD src1_sel:BYTE_3
	v_bitop3_b16 v129, v129, v135, s23 bitop3:0xec
	v_bitop3_b16 v124, v124, v125, s23 bitop3:0xec
	v_lshlrev_b32_e32 v124, 16, v124
	v_or_b32_sdwa v135, v129, v124 dst_sel:DWORD dst_unused:UNUSED_PAD src0_sel:WORD_0 src1_sel:DWORD
	ds_read2_b32 v[124:125], v127 offset0:6 offset1:7
	ds_read2_b32 v[128:129], v130 offset0:6 offset1:7
	s_waitcnt lgkmcnt(1)
	v_ashrrev_i32_e32 v124, s19, v124
	s_waitcnt lgkmcnt(0)
	v_ashrrev_i32_e32 v128, s3, v128
	v_lshlrev_b32_e32 v128, 2, v128
	v_bfe_u32 v136, v124, 24, 2
	v_and_b32_e32 v124, 0x3030303, v124
	v_and_b32_e32 v128, 0x4040404, v128
	v_sub_u16_e32 v130, v124, v128
	v_sub_u16_sdwa v137, v124, v128 dst_sel:BYTE_1 dst_unused:UNUSED_PAD src0_sel:BYTE_1 src1_sel:BYTE_1
	v_sub_u16_sdwa v124, v124, v128 dst_sel:DWORD dst_unused:UNUSED_PAD src0_sel:WORD_1 src1_sel:WORD_1
	v_sub_u16_sdwa v128, v136, v128 dst_sel:BYTE_1 dst_unused:UNUSED_PAD src0_sel:DWORD src1_sel:BYTE_3
	v_bitop3_b16 v130, v130, v137, s23 bitop3:0xec
	v_bitop3_b16 v124, v124, v128, s23 bitop3:0xec
	v_lshlrev_b32_e32 v124, 16, v124
	v_ashrrev_i32_e32 v129, s3, v129
	v_or_b32_sdwa v128, v130, v124 dst_sel:DWORD dst_unused:UNUSED_PAD src0_sel:WORD_0 src1_sel:DWORD
	v_ashrrev_i32_e32 v124, s19, v125
	v_lshlrev_b32_e32 v129, 2, v129
	v_bfe_u32 v125, v124, 24, 2
	v_and_b32_e32 v124, 0x3030303, v124
	v_and_b32_e32 v129, 0x4040404, v129
	v_sub_u16_e32 v130, v124, v129
	v_sub_u16_sdwa v136, v124, v129 dst_sel:BYTE_1 dst_unused:UNUSED_PAD src0_sel:BYTE_1 src1_sel:BYTE_1
	v_sub_u16_sdwa v124, v124, v129 dst_sel:DWORD dst_unused:UNUSED_PAD src0_sel:WORD_1 src1_sel:WORD_1
	v_sub_u16_sdwa v125, v125, v129 dst_sel:BYTE_1 dst_unused:UNUSED_PAD src0_sel:DWORD src1_sel:BYTE_3
	v_bitop3_b16 v130, v130, v136, s23 bitop3:0xec
	v_bitop3_b16 v124, v124, v125, s23 bitop3:0xec
	v_lshlrev_b32_e32 v124, 16, v124
	v_or_b32_sdwa v125, v130, v124 dst_sel:DWORD dst_unused:UNUSED_PAD src0_sel:WORD_0 src1_sel:DWORD
	v_mov_b32_e32 v130, 0
	v_dot4c_i32_i8_e32 v130, v126, v6
	v_dot4c_i32_i8_e32 v130, v131, v7
	v_dot4c_i32_i8_e32 v130, v132, v8
	v_mov_b32_e32 v132, 0
	v_dot4c_i32_i8_e32 v132, v134, v2
	v_dot4c_i32_i8_e32 v132, v135, v3
	v_add_u32_e32 v129, s28, v25
	v_dot4c_i32_i8_e32 v132, v128, v4
	v_dot4c_i32_i8_e32 v132, v125, v5
	ds_read_u16 v125, v129 offset:25330
	v_dot4c_i32_i8_e32 v130, v133, v9
	v_add3_u32 v124, s27, v119, v87
	v_add3_u32 v134, s29, v89, v91
	ds_read_b32 v124, v124
	s_waitcnt lgkmcnt(1)
	v_lshrrev_b16_e32 v126, 8, v125
	v_bfe_i32 v125, v125, 0, 8
	v_bfe_i32 v133, v126, 0, 8
	v_mul_lo_u32 v126, v130, v125
	v_add_u32_e32 v125, 0x1080, v127
	ds_read2_b32 v[128:129], v125 offset1:1
	ds_read2_b32 v[130:131], v134 offset1:1
	s_waitcnt lgkmcnt(1)
	v_ashrrev_i32_e32 v125, s19, v128
	s_waitcnt lgkmcnt(0)
	v_ashrrev_i32_e32 v130, s3, v130
	v_lshlrev_b32_e32 v130, 2, v130
	v_bfe_u32 v128, v125, 24, 2
	v_and_b32_e32 v125, 0x3030303, v125
	v_and_b32_e32 v130, 0x4040404, v130
	v_sub_u16_e32 v135, v125, v130
	v_sub_u16_sdwa v136, v125, v130 dst_sel:BYTE_1 dst_unused:UNUSED_PAD src0_sel:BYTE_1 src1_sel:BYTE_1
	v_sub_u16_sdwa v125, v125, v130 dst_sel:DWORD dst_unused:UNUSED_PAD src0_sel:WORD_1 src1_sel:WORD_1
	v_sub_u16_sdwa v128, v128, v130 dst_sel:BYTE_1 dst_unused:UNUSED_PAD src0_sel:DWORD src1_sel:BYTE_3
	v_bitop3_b16 v135, v135, v136, s23 bitop3:0xec
	v_bitop3_b16 v125, v125, v128, s23 bitop3:0xec
	v_lshlrev_b32_e32 v125, 16, v125
	v_or_b32_sdwa v135, v135, v125 dst_sel:DWORD dst_unused:UNUSED_PAD src0_sel:WORD_0 src1_sel:DWORD
	v_ashrrev_i32_e32 v125, s19, v129
	v_ashrrev_i32_e32 v129, s3, v131
	v_lshlrev_b32_e32 v129, 2, v129
	v_bfe_u32 v128, v125, 24, 2
	v_and_b32_e32 v125, 0x3030303, v125
	v_and_b32_e32 v129, 0x4040404, v129
	v_sub_u16_e32 v130, v125, v129
	v_sub_u16_sdwa v131, v125, v129 dst_sel:BYTE_1 dst_unused:UNUSED_PAD src0_sel:BYTE_1 src1_sel:BYTE_1
	v_sub_u16_sdwa v125, v125, v129 dst_sel:DWORD dst_unused:UNUSED_PAD src0_sel:WORD_1 src1_sel:WORD_1
	v_sub_u16_sdwa v128, v128, v129 dst_sel:BYTE_1 dst_unused:UNUSED_PAD src0_sel:DWORD src1_sel:BYTE_3
	v_bitop3_b16 v130, v130, v131, s23 bitop3:0xec
	v_bitop3_b16 v125, v125, v128, s23 bitop3:0xec
	v_lshlrev_b32_e32 v125, 16, v125
	v_or_b32_sdwa v136, v130, v125 dst_sel:DWORD dst_unused:UNUSED_PAD src0_sel:WORD_0 src1_sel:DWORD
	v_add_u32_e32 v125, 0x1088, v127
	ds_read2_b32 v[128:129], v125 offset1:1
	ds_read2_b32 v[130:131], v134 offset0:2 offset1:3
	s_waitcnt lgkmcnt(1)
	v_ashrrev_i32_e32 v125, s19, v128
	s_waitcnt lgkmcnt(0)
	v_ashrrev_i32_e32 v130, s3, v130
	v_lshlrev_b32_e32 v130, 2, v130
	v_bfe_u32 v128, v125, 24, 2
	v_and_b32_e32 v125, 0x3030303, v125
	v_and_b32_e32 v130, 0x4040404, v130
	v_sub_u16_e32 v137, v125, v130
	v_sub_u16_sdwa v138, v125, v130 dst_sel:BYTE_1 dst_unused:UNUSED_PAD src0_sel:BYTE_1 src1_sel:BYTE_1
	v_sub_u16_sdwa v125, v125, v130 dst_sel:DWORD dst_unused:UNUSED_PAD src0_sel:WORD_1 src1_sel:WORD_1
	v_sub_u16_sdwa v128, v128, v130 dst_sel:BYTE_1 dst_unused:UNUSED_PAD src0_sel:DWORD src1_sel:BYTE_3
	v_bitop3_b16 v137, v137, v138, s23 bitop3:0xec
	v_bitop3_b16 v125, v125, v128, s23 bitop3:0xec
	v_lshlrev_b32_e32 v125, 16, v125
	v_or_b32_sdwa v137, v137, v125 dst_sel:DWORD dst_unused:UNUSED_PAD src0_sel:WORD_0 src1_sel:DWORD
	v_ashrrev_i32_e32 v125, s19, v129
	v_ashrrev_i32_e32 v129, s3, v131
	v_lshlrev_b32_e32 v129, 2, v129
	v_bfe_u32 v128, v125, 24, 2
	v_and_b32_e32 v125, 0x3030303, v125
	v_and_b32_e32 v129, 0x4040404, v129
	v_sub_u16_e32 v130, v125, v129
	v_sub_u16_sdwa v131, v125, v129 dst_sel:BYTE_1 dst_unused:UNUSED_PAD src0_sel:BYTE_1 src1_sel:BYTE_1
	v_sub_u16_sdwa v125, v125, v129 dst_sel:DWORD dst_unused:UNUSED_PAD src0_sel:WORD_1 src1_sel:WORD_1
	v_sub_u16_sdwa v128, v128, v129 dst_sel:BYTE_1 dst_unused:UNUSED_PAD src0_sel:DWORD src1_sel:BYTE_3
	v_bitop3_b16 v130, v130, v131, s23 bitop3:0xec
	v_bitop3_b16 v125, v125, v128, s23 bitop3:0xec
	v_lshlrev_b32_e32 v125, 16, v125
	v_or_b32_sdwa v138, v130, v125 dst_sel:DWORD dst_unused:UNUSED_PAD src0_sel:WORD_0 src1_sel:DWORD
	v_add_u32_e32 v125, 0x1090, v127
	ds_read2_b32 v[128:129], v125 offset1:1
	ds_read2_b32 v[130:131], v134 offset0:4 offset1:5
	;; [unrolled: 33-line block ×3, first 2 shown]
	s_waitcnt lgkmcnt(1)
	v_ashrrev_i32_e32 v125, s19, v128
	s_waitcnt lgkmcnt(0)
	v_ashrrev_i32_e32 v130, s3, v130
	v_lshlrev_b32_e32 v130, 2, v130
	v_bfe_u32 v128, v125, 24, 2
	v_and_b32_e32 v125, 0x3030303, v125
	v_and_b32_e32 v130, 0x4040404, v130
	v_sub_u16_e32 v134, v125, v130
	v_sub_u16_sdwa v141, v125, v130 dst_sel:BYTE_1 dst_unused:UNUSED_PAD src0_sel:BYTE_1 src1_sel:BYTE_1
	v_sub_u16_sdwa v125, v125, v130 dst_sel:DWORD dst_unused:UNUSED_PAD src0_sel:WORD_1 src1_sel:WORD_1
	v_sub_u16_sdwa v128, v128, v130 dst_sel:BYTE_1 dst_unused:UNUSED_PAD src0_sel:DWORD src1_sel:BYTE_3
	v_bitop3_b16 v134, v134, v141, s23 bitop3:0xec
	v_bitop3_b16 v125, v125, v128, s23 bitop3:0xec
	v_lshlrev_b32_e32 v125, 16, v125
	v_or_b32_sdwa v130, v134, v125 dst_sel:DWORD dst_unused:UNUSED_PAD src0_sel:WORD_0 src1_sel:DWORD
	v_ashrrev_i32_e32 v125, s19, v129
	v_ashrrev_i32_e32 v129, s3, v131
	v_lshlrev_b32_e32 v129, 2, v129
	v_bfe_u32 v128, v125, 24, 2
	v_and_b32_e32 v125, 0x3030303, v125
	v_and_b32_e32 v129, 0x4040404, v129
	v_sub_u16_e32 v131, v125, v129
	v_sub_u16_sdwa v134, v125, v129 dst_sel:BYTE_1 dst_unused:UNUSED_PAD src0_sel:BYTE_1 src1_sel:BYTE_1
	v_sub_u16_sdwa v125, v125, v129 dst_sel:DWORD dst_unused:UNUSED_PAD src0_sel:WORD_1 src1_sel:WORD_1
	v_sub_u16_sdwa v128, v128, v129 dst_sel:BYTE_1 dst_unused:UNUSED_PAD src0_sel:DWORD src1_sel:BYTE_3
	v_bitop3_b16 v131, v131, v134, s23 bitop3:0xec
	v_bitop3_b16 v125, v125, v128, s23 bitop3:0xec
	v_lshlrev_b32_e32 v125, 16, v125
	v_or_b32_sdwa v129, v131, v125 dst_sel:DWORD dst_unused:UNUSED_PAD src0_sel:WORD_0 src1_sel:DWORD
	v_add_u32_e32 v128, s28, v23
	v_add3_u32 v125, s27, v93, v95
	ds_read_b32 v125, v125
	ds_read_u16 v128, v128 offset:26354
	v_mov_b32_e32 v131, 0
	v_dot4c_i32_i8_e32 v131, v135, v6
	v_mov_b32_e32 v135, 0
	v_dot4c_i32_i8_e32 v131, v136, v7
	v_dot4c_i32_i8_e32 v135, v139, v2
	;; [unrolled: 1-line block ×5, first 2 shown]
	s_waitcnt lgkmcnt(0)
	v_lshrrev_b16_e32 v134, 8, v128
	v_bfe_i32 v128, v128, 0, 8
	v_dot4c_i32_i8_e32 v135, v130, v4
	v_mul_lo_u32 v128, v131, v128
	v_dot4c_i32_i8_e32 v135, v129, v5
	v_bfe_i32 v129, v134, 0, 8
	v_mad_u64_u32 v[130:131], s[30:31], v132, v133, v[126:127]
	s_nop 0
	v_mad_u64_u32 v[128:129], s[30:31], v135, v129, v[128:129]
	v_cvt_f32_i32_e32 v129, v128
	v_cvt_f32_i32_e32 v128, v130
	v_pk_mul_f32 v[124:125], v[122:123], v[124:125] op_sel_hi:[0,1]
	v_add3_u32 v130, s29, v97, v99
	v_pk_fma_f32 v[42:43], v[124:125], v[128:129], v[42:43]
	v_add_u32_e32 v124, 0x2100, v127
	ds_read2_b32 v[124:125], v124 offset1:1
	ds_read2_b32 v[128:129], v130 offset1:1
	s_waitcnt lgkmcnt(1)
	v_ashrrev_i32_e32 v124, s19, v124
	s_waitcnt lgkmcnt(0)
	v_ashrrev_i32_e32 v128, s3, v128
	v_lshlrev_b32_e32 v128, 2, v128
	v_bfe_u32 v126, v124, 24, 2
	v_and_b32_e32 v124, 0x3030303, v124
	v_and_b32_e32 v128, 0x4040404, v128
	v_sub_u16_e32 v131, v124, v128
	v_sub_u16_sdwa v132, v124, v128 dst_sel:BYTE_1 dst_unused:UNUSED_PAD src0_sel:BYTE_1 src1_sel:BYTE_1
	v_sub_u16_sdwa v124, v124, v128 dst_sel:DWORD dst_unused:UNUSED_PAD src0_sel:WORD_1 src1_sel:WORD_1
	v_sub_u16_sdwa v126, v126, v128 dst_sel:BYTE_1 dst_unused:UNUSED_PAD src0_sel:DWORD src1_sel:BYTE_3
	v_bitop3_b16 v131, v131, v132, s23 bitop3:0xec
	v_bitop3_b16 v124, v124, v126, s23 bitop3:0xec
	v_lshlrev_b32_e32 v124, 16, v124
	v_ashrrev_i32_e32 v128, s3, v129
	v_or_b32_sdwa v126, v131, v124 dst_sel:DWORD dst_unused:UNUSED_PAD src0_sel:WORD_0 src1_sel:DWORD
	v_ashrrev_i32_e32 v124, s19, v125
	v_lshlrev_b32_e32 v128, 2, v128
	v_bfe_u32 v125, v124, 24, 2
	v_and_b32_e32 v124, 0x3030303, v124
	v_and_b32_e32 v128, 0x4040404, v128
	v_sub_u16_e32 v129, v124, v128
	v_sub_u16_sdwa v131, v124, v128 dst_sel:BYTE_1 dst_unused:UNUSED_PAD src0_sel:BYTE_1 src1_sel:BYTE_1
	v_sub_u16_sdwa v124, v124, v128 dst_sel:DWORD dst_unused:UNUSED_PAD src0_sel:WORD_1 src1_sel:WORD_1
	v_sub_u16_sdwa v125, v125, v128 dst_sel:BYTE_1 dst_unused:UNUSED_PAD src0_sel:DWORD src1_sel:BYTE_3
	v_bitop3_b16 v129, v129, v131, s23 bitop3:0xec
	v_bitop3_b16 v124, v124, v125, s23 bitop3:0xec
	v_lshlrev_b32_e32 v124, 16, v124
	v_or_b32_sdwa v131, v129, v124 dst_sel:DWORD dst_unused:UNUSED_PAD src0_sel:WORD_0 src1_sel:DWORD
	v_add_u32_e32 v124, 0x2108, v127
	ds_read2_b32 v[124:125], v124 offset1:1
	ds_read2_b32 v[128:129], v130 offset0:2 offset1:3
	s_waitcnt lgkmcnt(1)
	v_ashrrev_i32_e32 v124, s19, v124
	s_waitcnt lgkmcnt(0)
	v_ashrrev_i32_e32 v128, s3, v128
	v_lshlrev_b32_e32 v128, 2, v128
	v_bfe_u32 v132, v124, 24, 2
	v_and_b32_e32 v124, 0x3030303, v124
	v_and_b32_e32 v128, 0x4040404, v128
	v_sub_u16_e32 v133, v124, v128
	v_sub_u16_sdwa v134, v124, v128 dst_sel:BYTE_1 dst_unused:UNUSED_PAD src0_sel:BYTE_1 src1_sel:BYTE_1
	v_sub_u16_sdwa v124, v124, v128 dst_sel:DWORD dst_unused:UNUSED_PAD src0_sel:WORD_1 src1_sel:WORD_1
	v_sub_u16_sdwa v128, v132, v128 dst_sel:BYTE_1 dst_unused:UNUSED_PAD src0_sel:DWORD src1_sel:BYTE_3
	v_bitop3_b16 v133, v133, v134, s23 bitop3:0xec
	v_bitop3_b16 v124, v124, v128, s23 bitop3:0xec
	v_lshlrev_b32_e32 v124, 16, v124
	v_ashrrev_i32_e32 v128, s3, v129
	v_or_b32_sdwa v132, v133, v124 dst_sel:DWORD dst_unused:UNUSED_PAD src0_sel:WORD_0 src1_sel:DWORD
	v_ashrrev_i32_e32 v124, s19, v125
	v_lshlrev_b32_e32 v128, 2, v128
	v_bfe_u32 v125, v124, 24, 2
	v_and_b32_e32 v124, 0x3030303, v124
	v_and_b32_e32 v128, 0x4040404, v128
	v_sub_u16_e32 v129, v124, v128
	v_sub_u16_sdwa v133, v124, v128 dst_sel:BYTE_1 dst_unused:UNUSED_PAD src0_sel:BYTE_1 src1_sel:BYTE_1
	v_sub_u16_sdwa v124, v124, v128 dst_sel:DWORD dst_unused:UNUSED_PAD src0_sel:WORD_1 src1_sel:WORD_1
	v_sub_u16_sdwa v125, v125, v128 dst_sel:BYTE_1 dst_unused:UNUSED_PAD src0_sel:DWORD src1_sel:BYTE_3
	v_bitop3_b16 v129, v129, v133, s23 bitop3:0xec
	v_bitop3_b16 v124, v124, v125, s23 bitop3:0xec
	v_lshlrev_b32_e32 v124, 16, v124
	v_or_b32_sdwa v133, v129, v124 dst_sel:DWORD dst_unused:UNUSED_PAD src0_sel:WORD_0 src1_sel:DWORD
	v_add_u32_e32 v124, 0x2110, v127
	ds_read2_b32 v[124:125], v124 offset1:1
	ds_read2_b32 v[128:129], v130 offset0:4 offset1:5
	;; [unrolled: 33-line block ×3, first 2 shown]
	s_waitcnt lgkmcnt(1)
	v_ashrrev_i32_e32 v124, s19, v124
	s_waitcnt lgkmcnt(0)
	v_ashrrev_i32_e32 v128, s3, v128
	v_lshlrev_b32_e32 v128, 2, v128
	v_bfe_u32 v136, v124, 24, 2
	v_and_b32_e32 v124, 0x3030303, v124
	v_and_b32_e32 v128, 0x4040404, v128
	v_sub_u16_e32 v130, v124, v128
	v_sub_u16_sdwa v137, v124, v128 dst_sel:BYTE_1 dst_unused:UNUSED_PAD src0_sel:BYTE_1 src1_sel:BYTE_1
	v_sub_u16_sdwa v124, v124, v128 dst_sel:DWORD dst_unused:UNUSED_PAD src0_sel:WORD_1 src1_sel:WORD_1
	v_sub_u16_sdwa v128, v136, v128 dst_sel:BYTE_1 dst_unused:UNUSED_PAD src0_sel:DWORD src1_sel:BYTE_3
	v_bitop3_b16 v130, v130, v137, s23 bitop3:0xec
	v_bitop3_b16 v124, v124, v128, s23 bitop3:0xec
	v_lshlrev_b32_e32 v124, 16, v124
	v_ashrrev_i32_e32 v128, s3, v129
	v_or_b32_sdwa v130, v130, v124 dst_sel:DWORD dst_unused:UNUSED_PAD src0_sel:WORD_0 src1_sel:DWORD
	v_ashrrev_i32_e32 v124, s19, v125
	v_lshlrev_b32_e32 v128, 2, v128
	v_bfe_u32 v125, v124, 24, 2
	v_and_b32_e32 v124, 0x3030303, v124
	v_and_b32_e32 v128, 0x4040404, v128
	v_sub_u16_e32 v129, v124, v128
	v_sub_u16_sdwa v136, v124, v128 dst_sel:BYTE_1 dst_unused:UNUSED_PAD src0_sel:BYTE_1 src1_sel:BYTE_1
	v_sub_u16_sdwa v124, v124, v128 dst_sel:DWORD dst_unused:UNUSED_PAD src0_sel:WORD_1 src1_sel:WORD_1
	v_sub_u16_sdwa v125, v125, v128 dst_sel:BYTE_1 dst_unused:UNUSED_PAD src0_sel:DWORD src1_sel:BYTE_3
	v_mov_b32_e32 v128, 0
	v_bitop3_b16 v124, v124, v125, s23 bitop3:0xec
	v_dot4c_i32_i8_e32 v128, v134, v2
	v_bitop3_b16 v129, v129, v136, s23 bitop3:0xec
	v_lshlrev_b32_e32 v124, 16, v124
	v_dot4c_i32_i8_e32 v128, v135, v3
	v_or_b32_sdwa v125, v129, v124 dst_sel:DWORD dst_unused:UNUSED_PAD src0_sel:WORD_0 src1_sel:DWORD
	v_add_u32_e32 v129, s28, v21
	v_dot4c_i32_i8_e32 v128, v130, v4
	v_dot4c_i32_i8_e32 v128, v125, v5
	ds_read_u16 v125, v129 offset:27378
	v_mov_b32_e32 v136, 0
	v_dot4c_i32_i8_e32 v136, v126, v6
	v_dot4c_i32_i8_e32 v136, v131, v7
	;; [unrolled: 1-line block ×4, first 2 shown]
	s_waitcnt lgkmcnt(0)
	v_lshrrev_b16_e32 v126, 8, v125
	v_bfe_i32 v125, v125, 0, 8
	v_add3_u32 v124, s27, v101, v103
	v_bfe_i32 v129, v126, 0, 8
	v_mul_lo_u32 v126, v136, v125
	v_add_u32_e32 v125, 0x3180, v127
	v_add3_u32 v136, s29, v105, v107
	ds_read_b32 v124, v124
	ds_read2_b32 v[130:131], v125 offset1:1
	ds_read2_b32 v[132:133], v136 offset1:1
	s_waitcnt lgkmcnt(1)
	v_ashrrev_i32_e32 v125, s19, v130
	s_waitcnt lgkmcnt(0)
	v_ashrrev_i32_e32 v132, s3, v132
	v_lshlrev_b32_e32 v132, 2, v132
	v_bfe_u32 v130, v125, 24, 2
	v_and_b32_e32 v125, 0x3030303, v125
	v_and_b32_e32 v132, 0x4040404, v132
	v_sub_u16_e32 v134, v125, v132
	v_sub_u16_sdwa v135, v125, v132 dst_sel:BYTE_1 dst_unused:UNUSED_PAD src0_sel:BYTE_1 src1_sel:BYTE_1
	v_sub_u16_sdwa v125, v125, v132 dst_sel:DWORD dst_unused:UNUSED_PAD src0_sel:WORD_1 src1_sel:WORD_1
	v_sub_u16_sdwa v130, v130, v132 dst_sel:BYTE_1 dst_unused:UNUSED_PAD src0_sel:DWORD src1_sel:BYTE_3
	v_bitop3_b16 v134, v134, v135, s23 bitop3:0xec
	v_bitop3_b16 v125, v125, v130, s23 bitop3:0xec
	v_lshlrev_b32_e32 v125, 16, v125
	v_ashrrev_i32_e32 v132, s3, v133
	v_or_b32_sdwa v130, v134, v125 dst_sel:DWORD dst_unused:UNUSED_PAD src0_sel:WORD_0 src1_sel:DWORD
	v_ashrrev_i32_e32 v125, s19, v131
	v_lshlrev_b32_e32 v132, 2, v132
	v_bfe_u32 v131, v125, 24, 2
	v_and_b32_e32 v125, 0x3030303, v125
	v_and_b32_e32 v132, 0x4040404, v132
	v_sub_u16_e32 v133, v125, v132
	v_sub_u16_sdwa v134, v125, v132 dst_sel:BYTE_1 dst_unused:UNUSED_PAD src0_sel:BYTE_1 src1_sel:BYTE_1
	v_sub_u16_sdwa v125, v125, v132 dst_sel:DWORD dst_unused:UNUSED_PAD src0_sel:WORD_1 src1_sel:WORD_1
	v_sub_u16_sdwa v131, v131, v132 dst_sel:BYTE_1 dst_unused:UNUSED_PAD src0_sel:DWORD src1_sel:BYTE_3
	v_bitop3_b16 v133, v133, v134, s23 bitop3:0xec
	v_bitop3_b16 v125, v125, v131, s23 bitop3:0xec
	v_lshlrev_b32_e32 v125, 16, v125
	v_or_b32_sdwa v131, v133, v125 dst_sel:DWORD dst_unused:UNUSED_PAD src0_sel:WORD_0 src1_sel:DWORD
	v_add_u32_e32 v125, 0x3188, v127
	ds_read2_b32 v[132:133], v125 offset1:1
	ds_read2_b32 v[134:135], v136 offset0:2 offset1:3
	s_waitcnt lgkmcnt(1)
	v_ashrrev_i32_e32 v125, s19, v132
	s_waitcnt lgkmcnt(0)
	v_ashrrev_i32_e32 v134, s3, v134
	v_lshlrev_b32_e32 v134, 2, v134
	v_bfe_u32 v132, v125, 24, 2
	v_and_b32_e32 v125, 0x3030303, v125
	v_and_b32_e32 v134, 0x4040404, v134
	v_sub_u16_e32 v137, v125, v134
	v_sub_u16_sdwa v138, v125, v134 dst_sel:BYTE_1 dst_unused:UNUSED_PAD src0_sel:BYTE_1 src1_sel:BYTE_1
	v_sub_u16_sdwa v125, v125, v134 dst_sel:DWORD dst_unused:UNUSED_PAD src0_sel:WORD_1 src1_sel:WORD_1
	v_sub_u16_sdwa v132, v132, v134 dst_sel:BYTE_1 dst_unused:UNUSED_PAD src0_sel:DWORD src1_sel:BYTE_3
	v_bitop3_b16 v137, v137, v138, s23 bitop3:0xec
	v_bitop3_b16 v125, v125, v132, s23 bitop3:0xec
	v_lshlrev_b32_e32 v125, 16, v125
	v_or_b32_sdwa v137, v137, v125 dst_sel:DWORD dst_unused:UNUSED_PAD src0_sel:WORD_0 src1_sel:DWORD
	v_ashrrev_i32_e32 v125, s19, v133
	v_ashrrev_i32_e32 v133, s3, v135
	v_lshlrev_b32_e32 v133, 2, v133
	v_bfe_u32 v132, v125, 24, 2
	v_and_b32_e32 v125, 0x3030303, v125
	v_and_b32_e32 v133, 0x4040404, v133
	v_sub_u16_e32 v134, v125, v133
	v_sub_u16_sdwa v135, v125, v133 dst_sel:BYTE_1 dst_unused:UNUSED_PAD src0_sel:BYTE_1 src1_sel:BYTE_1
	v_sub_u16_sdwa v125, v125, v133 dst_sel:DWORD dst_unused:UNUSED_PAD src0_sel:WORD_1 src1_sel:WORD_1
	v_sub_u16_sdwa v132, v132, v133 dst_sel:BYTE_1 dst_unused:UNUSED_PAD src0_sel:DWORD src1_sel:BYTE_3
	v_bitop3_b16 v134, v134, v135, s23 bitop3:0xec
	v_bitop3_b16 v125, v125, v132, s23 bitop3:0xec
	v_lshlrev_b32_e32 v125, 16, v125
	v_or_b32_sdwa v138, v134, v125 dst_sel:DWORD dst_unused:UNUSED_PAD src0_sel:WORD_0 src1_sel:DWORD
	v_add_u32_e32 v125, 0x3190, v127
	ds_read2_b32 v[132:133], v125 offset1:1
	ds_read2_b32 v[134:135], v136 offset0:4 offset1:5
	s_waitcnt lgkmcnt(1)
	v_ashrrev_i32_e32 v125, s19, v132
	s_waitcnt lgkmcnt(0)
	v_ashrrev_i32_e32 v134, s3, v134
	v_lshlrev_b32_e32 v134, 2, v134
	v_bfe_u32 v132, v125, 24, 2
	v_and_b32_e32 v125, 0x3030303, v125
	v_and_b32_e32 v134, 0x4040404, v134
	v_sub_u16_e32 v139, v125, v134
	v_sub_u16_sdwa v140, v125, v134 dst_sel:BYTE_1 dst_unused:UNUSED_PAD src0_sel:BYTE_1 src1_sel:BYTE_1
	v_sub_u16_sdwa v125, v125, v134 dst_sel:DWORD dst_unused:UNUSED_PAD src0_sel:WORD_1 src1_sel:WORD_1
	v_sub_u16_sdwa v132, v132, v134 dst_sel:BYTE_1 dst_unused:UNUSED_PAD src0_sel:DWORD src1_sel:BYTE_3
	v_bitop3_b16 v139, v139, v140, s23 bitop3:0xec
	v_bitop3_b16 v125, v125, v132, s23 bitop3:0xec
	v_lshlrev_b32_e32 v125, 16, v125
	v_or_b32_sdwa v139, v139, v125 dst_sel:DWORD dst_unused:UNUSED_PAD src0_sel:WORD_0 src1_sel:DWORD
	v_ashrrev_i32_e32 v125, s19, v133
	;; [unrolled: 33-line block ×3, first 2 shown]
	v_ashrrev_i32_e32 v133, s3, v135
	v_lshlrev_b32_e32 v133, 2, v133
	v_bfe_u32 v132, v125, 24, 2
	v_and_b32_e32 v125, 0x3030303, v125
	v_and_b32_e32 v133, 0x4040404, v133
	v_sub_u16_e32 v134, v125, v133
	v_sub_u16_sdwa v135, v125, v133 dst_sel:BYTE_1 dst_unused:UNUSED_PAD src0_sel:BYTE_1 src1_sel:BYTE_1
	v_sub_u16_sdwa v125, v125, v133 dst_sel:DWORD dst_unused:UNUSED_PAD src0_sel:WORD_1 src1_sel:WORD_1
	v_sub_u16_sdwa v132, v132, v133 dst_sel:BYTE_1 dst_unused:UNUSED_PAD src0_sel:DWORD src1_sel:BYTE_3
	v_bitop3_b16 v134, v134, v135, s23 bitop3:0xec
	v_bitop3_b16 v125, v125, v132, s23 bitop3:0xec
	v_lshlrev_b32_e32 v125, 16, v125
	v_or_b32_sdwa v132, v134, v125 dst_sel:DWORD dst_unused:UNUSED_PAD src0_sel:WORD_0 src1_sel:DWORD
	v_mov_b32_e32 v134, 0
	v_add_u32_e32 v133, s28, v19
	v_add3_u32 v125, s27, v109, v111
	v_dot4c_i32_i8_e32 v134, v130, v6
	v_mov_b32_e32 v6, 0
	ds_read_b32 v125, v125
	v_dot4c_i32_i8_e32 v6, v139, v2
	ds_read_u16 v2, v133 offset:28402
	v_dot4c_i32_i8_e32 v134, v131, v7
	v_dot4c_i32_i8_e32 v134, v137, v8
	;; [unrolled: 1-line block ×5, first 2 shown]
	s_waitcnt lgkmcnt(0)
	v_lshrrev_b16_e32 v3, 8, v2
	v_bfe_i32 v2, v2, 0, 8
	v_dot4c_i32_i8_e32 v6, v132, v5
	v_bfe_i32 v5, v3, 0, 8
	v_mul_lo_u32 v4, v134, v2
	v_mad_u64_u32 v[2:3], s[28:29], v128, v129, v[126:127]
	v_mad_u64_u32 v[4:5], s[28:29], v6, v5, v[4:5]
	v_cvt_f32_i32_e32 v3, v4
	v_cvt_f32_i32_e32 v2, v2
	v_pk_mul_f32 v[6:7], v[122:123], v[124:125] op_sel_hi:[0,1]
	s_add_i32 s3, s3, 1
	v_add_u32_e32 v123, 4, v123
	v_pk_fma_f32 v[40:41], v[6:7], v[2:3], v[40:41]
	s_cmp_lt_u32 s18, 30
	s_mov_b32 s27, s18
	s_cbranch_scc1 .LBB230_35
; %bb.36:                               ;   in Loop: Header=BB230_5 Depth=1
	s_barrier
	s_branch .LBB230_4
.LBB230_37:
	s_mul_i32 s0, s10, s7
	s_waitcnt vmcnt(0)
	v_cmp_gt_i32_e32 vcc, s0, v1
	s_and_saveexec_b64 s[0:1], vcc
	s_cbranch_execz .LBB230_46
; %bb.38:
	v_and_b32_e32 v0, 0x3ff, v0
	v_add_u32_e32 v2, s11, v0
	v_mul_lo_u32 v0, v1, s9
	v_cmp_gt_u32_e32 vcc, s9, v2
	s_and_saveexec_b64 s[0:1], vcc
	s_cbranch_execz .LBB230_40
; %bb.39:
	v_bfe_u32 v1, v42, 16, 1
	s_movk_i32 s2, 0x7fff
	v_add3_u32 v1, v42, v1, s2
	v_cmp_o_f32_e32 vcc, v42, v42
	v_mov_b32_e32 v3, 0x7fc0
	v_add_u32_e32 v4, v0, v2
	v_mov_b32_e32 v5, 0
	v_cndmask_b32_sdwa v1, v3, v1, vcc dst_sel:DWORD dst_unused:UNUSED_PAD src0_sel:DWORD src1_sel:WORD_1
	v_lshl_add_u64 v[4:5], v[4:5], 1, s[16:17]
	global_store_short v[4:5], v1, off
.LBB230_40:
	s_or_b64 exec, exec, s[0:1]
	v_add_u32_e32 v1, 32, v2
	v_cmp_gt_u32_e32 vcc, s9, v1
	s_and_saveexec_b64 s[0:1], vcc
	s_cbranch_execz .LBB230_42
; %bb.41:
	v_bfe_u32 v3, v43, 16, 1
	s_movk_i32 s2, 0x7fff
	v_add3_u32 v3, v43, v3, s2
	v_cmp_o_f32_e32 vcc, v43, v43
	v_mov_b32_e32 v4, 0x7fc0
	v_mov_b32_e32 v5, 0
	v_cndmask_b32_sdwa v3, v4, v3, vcc dst_sel:DWORD dst_unused:UNUSED_PAD src0_sel:DWORD src1_sel:WORD_1
	v_add_u32_e32 v4, v0, v1
	v_lshl_add_u64 v[4:5], v[4:5], 1, s[16:17]
	global_store_short v[4:5], v3, off
.LBB230_42:
	s_or_b64 exec, exec, s[0:1]
	v_add_u32_e32 v1, 64, v2
	v_cmp_gt_u32_e32 vcc, s9, v1
	s_and_saveexec_b64 s[0:1], vcc
	s_cbranch_execz .LBB230_44
; %bb.43:
	v_bfe_u32 v3, v40, 16, 1
	s_movk_i32 s2, 0x7fff
	v_add3_u32 v3, v40, v3, s2
	v_cmp_o_f32_e32 vcc, v40, v40
	v_mov_b32_e32 v4, 0x7fc0
	v_mov_b32_e32 v5, 0
	v_cndmask_b32_sdwa v3, v4, v3, vcc dst_sel:DWORD dst_unused:UNUSED_PAD src0_sel:DWORD src1_sel:WORD_1
	v_add_u32_e32 v4, v0, v1
	v_lshl_add_u64 v[4:5], v[4:5], 1, s[16:17]
	global_store_short v[4:5], v3, off
.LBB230_44:
	s_or_b64 exec, exec, s[0:1]
	v_add_u32_e32 v1, 0x60, v2
	v_cmp_gt_u32_e32 vcc, s9, v1
	s_and_b64 exec, exec, vcc
	s_cbranch_execz .LBB230_46
; %bb.45:
	v_bfe_u32 v2, v41, 16, 1
	s_movk_i32 s0, 0x7fff
	v_add3_u32 v2, v41, v2, s0
	v_cmp_o_f32_e32 vcc, v41, v41
	v_mov_b32_e32 v3, 0x7fc0
	v_add_u32_e32 v0, v0, v1
	v_mov_b32_e32 v1, 0
	v_cndmask_b32_sdwa v2, v3, v2, vcc dst_sel:DWORD dst_unused:UNUSED_PAD src0_sel:DWORD src1_sel:WORD_1
	v_lshl_add_u64 v[0:1], v[0:1], 1, s[16:17]
	global_store_short v[0:1], v2, off
.LBB230_46:
	s_endpgm
	.section	.rodata,"a",@progbits
	.p2align	6, 0x0
	.amdhsa_kernel _ZL8moe_q3_KIN3c108BFloat16ELb1EEvPKvS3_PT_PKiS7_S7_iiiiiii
		.amdhsa_group_segment_fixed_size 31776
		.amdhsa_private_segment_fixed_size 0
		.amdhsa_kernarg_size 76
		.amdhsa_user_sgpr_count 2
		.amdhsa_user_sgpr_dispatch_ptr 0
		.amdhsa_user_sgpr_queue_ptr 0
		.amdhsa_user_sgpr_kernarg_segment_ptr 1
		.amdhsa_user_sgpr_dispatch_id 0
		.amdhsa_user_sgpr_kernarg_preload_length 0
		.amdhsa_user_sgpr_kernarg_preload_offset 0
		.amdhsa_user_sgpr_private_segment_size 0
		.amdhsa_uses_dynamic_stack 0
		.amdhsa_enable_private_segment 0
		.amdhsa_system_sgpr_workgroup_id_x 1
		.amdhsa_system_sgpr_workgroup_id_y 1
		.amdhsa_system_sgpr_workgroup_id_z 0
		.amdhsa_system_sgpr_workgroup_info 0
		.amdhsa_system_vgpr_workitem_id 1
		.amdhsa_next_free_vgpr 152
		.amdhsa_next_free_sgpr 96
		.amdhsa_accum_offset 152
		.amdhsa_reserve_vcc 1
		.amdhsa_float_round_mode_32 0
		.amdhsa_float_round_mode_16_64 0
		.amdhsa_float_denorm_mode_32 3
		.amdhsa_float_denorm_mode_16_64 3
		.amdhsa_dx10_clamp 1
		.amdhsa_ieee_mode 1
		.amdhsa_fp16_overflow 0
		.amdhsa_tg_split 0
		.amdhsa_exception_fp_ieee_invalid_op 0
		.amdhsa_exception_fp_denorm_src 0
		.amdhsa_exception_fp_ieee_div_zero 0
		.amdhsa_exception_fp_ieee_overflow 0
		.amdhsa_exception_fp_ieee_underflow 0
		.amdhsa_exception_fp_ieee_inexact 0
		.amdhsa_exception_int_div_zero 0
	.end_amdhsa_kernel
	.section	.text._ZL8moe_q3_KIN3c108BFloat16ELb1EEvPKvS3_PT_PKiS7_S7_iiiiiii,"axG",@progbits,_ZL8moe_q3_KIN3c108BFloat16ELb1EEvPKvS3_PT_PKiS7_S7_iiiiiii,comdat
.Lfunc_end230:
	.size	_ZL8moe_q3_KIN3c108BFloat16ELb1EEvPKvS3_PT_PKiS7_S7_iiiiiii, .Lfunc_end230-_ZL8moe_q3_KIN3c108BFloat16ELb1EEvPKvS3_PT_PKiS7_S7_iiiiiii
                                        ; -- End function
	.set _ZL8moe_q3_KIN3c108BFloat16ELb1EEvPKvS3_PT_PKiS7_S7_iiiiiii.num_vgpr, 152
	.set _ZL8moe_q3_KIN3c108BFloat16ELb1EEvPKvS3_PT_PKiS7_S7_iiiiiii.num_agpr, 0
	.set _ZL8moe_q3_KIN3c108BFloat16ELb1EEvPKvS3_PT_PKiS7_S7_iiiiiii.numbered_sgpr, 36
	.set _ZL8moe_q3_KIN3c108BFloat16ELb1EEvPKvS3_PT_PKiS7_S7_iiiiiii.num_named_barrier, 0
	.set _ZL8moe_q3_KIN3c108BFloat16ELb1EEvPKvS3_PT_PKiS7_S7_iiiiiii.private_seg_size, 0
	.set _ZL8moe_q3_KIN3c108BFloat16ELb1EEvPKvS3_PT_PKiS7_S7_iiiiiii.uses_vcc, 1
	.set _ZL8moe_q3_KIN3c108BFloat16ELb1EEvPKvS3_PT_PKiS7_S7_iiiiiii.uses_flat_scratch, 0
	.set _ZL8moe_q3_KIN3c108BFloat16ELb1EEvPKvS3_PT_PKiS7_S7_iiiiiii.has_dyn_sized_stack, 0
	.set _ZL8moe_q3_KIN3c108BFloat16ELb1EEvPKvS3_PT_PKiS7_S7_iiiiiii.has_recursion, 0
	.set _ZL8moe_q3_KIN3c108BFloat16ELb1EEvPKvS3_PT_PKiS7_S7_iiiiiii.has_indirect_call, 0
	.section	.AMDGPU.csdata,"",@progbits
; Kernel info:
; codeLenInByte = 20820
; TotalNumSgprs: 42
; NumVgprs: 152
; NumAgprs: 0
; TotalNumVgprs: 152
; ScratchSize: 0
; MemoryBound: 0
; FloatMode: 240
; IeeeMode: 1
; LDSByteSize: 31776 bytes/workgroup (compile time only)
; SGPRBlocks: 12
; VGPRBlocks: 18
; NumSGPRsForWavesPerEU: 102
; NumVGPRsForWavesPerEU: 152
; AccumOffset: 152
; Occupancy: 3
; WaveLimiterHint : 1
; COMPUTE_PGM_RSRC2:SCRATCH_EN: 0
; COMPUTE_PGM_RSRC2:USER_SGPR: 2
; COMPUTE_PGM_RSRC2:TRAP_HANDLER: 0
; COMPUTE_PGM_RSRC2:TGID_X_EN: 1
; COMPUTE_PGM_RSRC2:TGID_Y_EN: 1
; COMPUTE_PGM_RSRC2:TGID_Z_EN: 0
; COMPUTE_PGM_RSRC2:TIDIG_COMP_CNT: 1
; COMPUTE_PGM_RSRC3_GFX90A:ACCUM_OFFSET: 37
; COMPUTE_PGM_RSRC3_GFX90A:TG_SPLIT: 0
	.section	.text._ZL8moe_q4_KIN3c108BFloat16ELb0EEvPKvS3_PT_PKiS7_S7_iiiiiii,"axG",@progbits,_ZL8moe_q4_KIN3c108BFloat16ELb0EEvPKvS3_PT_PKiS7_S7_iiiiiii,comdat
	.globl	_ZL8moe_q4_KIN3c108BFloat16ELb0EEvPKvS3_PT_PKiS7_S7_iiiiiii ; -- Begin function _ZL8moe_q4_KIN3c108BFloat16ELb0EEvPKvS3_PT_PKiS7_S7_iiiiiii
	.p2align	8
	.type	_ZL8moe_q4_KIN3c108BFloat16ELb0EEvPKvS3_PT_PKiS7_S7_iiiiiii,@function
_ZL8moe_q4_KIN3c108BFloat16ELb0EEvPKvS3_PT_PKiS7_S7_iiiiiii: ; @_ZL8moe_q4_KIN3c108BFloat16ELb0EEvPKvS3_PT_PKiS7_S7_iiiiiii
; %bb.0:
	s_load_dwordx4 s[4:7], s[0:1], 0x18
	s_mov_b32 s8, s3
	s_mov_b32 s9, 0
	s_lshl_b64 s[10:11], s[8:9], 2
	s_waitcnt lgkmcnt(0)
	s_add_u32 s6, s6, s10
	s_addc_u32 s7, s7, s11
	s_load_dword s3, s[6:7], 0x0
	s_waitcnt lgkmcnt(0)
	s_cmpk_gt_u32 s3, 0xff
	s_cbranch_scc1 .LBB231_26
; %bb.1:
	s_load_dwordx2 s[6:7], s[0:1], 0x28
	s_waitcnt lgkmcnt(0)
	s_load_dword s7, s[6:7], 0x0
	s_lshl_b32 s6, s8, 3
	s_waitcnt lgkmcnt(0)
	s_cmp_gt_u32 s6, s7
	s_cbranch_scc1 .LBB231_26
; %bb.2:
	v_bfe_u32 v2, v0, 10, 10
	v_mov_b32_e32 v4, s4
	v_mov_b32_e32 v5, s5
	v_add_u32_e32 v30, s6, v2
	v_mov_b32_e32 v31, 0
	v_lshl_add_u64 v[4:5], v[30:31], 2, v[4:5]
	global_load_dword v1, v[4:5], off
	s_load_dwordx2 s[14:15], s[0:1], 0x30
	s_load_dwordx2 s[12:13], s[0:1], 0x10
	s_load_dwordx4 s[4:7], s[0:1], 0x3c
	s_lshl_b32 s22, s2, 7
	v_mov_b32_e32 v30, v31
	s_waitcnt lgkmcnt(0)
	s_cmpk_lt_i32 s15, 0x100
	v_mov_b32_e32 v23, v31
	v_mov_b32_e32 v22, v31
	s_cbranch_scc1 .LBB231_17
; %bb.3:
	s_load_dwordx4 s[8:11], s[0:1], 0x0
	s_ashr_i32 s0, s15, 31
	s_lshr_b32 s0, s0, 24
	s_add_i32 s0, s15, s0
	s_ashr_i32 s23, s0, 8
	s_ashr_i32 s0, s5, 31
	s_lshr_b32 s0, s0, 27
	s_add_i32 s0, s5, s0
	v_and_b32_e32 v24, 0x3ff, v0
	s_ashr_i32 s5, s0, 5
	v_lshlrev_b32_e32 v6, 2, v24
	s_movk_i32 s0, 0x84
	v_mad_u32_u24 v84, v2, s0, v6
	s_lshl_b32 s0, s23, 3
	v_mov_b32_e32 v4, s0
	v_mad_i32_i24 v8, s23, v2, v4
	v_add_u32_e32 v10, s0, v8
	v_add_u32_e32 v12, s0, v10
	;; [unrolled: 1-line block ×11, first 2 shown]
	v_lshl_add_u32 v4, v2, 5, v24
	v_add_u32_e32 v36, s0, v35
	v_and_b32_e32 v5, 0x7f, v4
	v_lshrrev_b32_e32 v4, 3, v4
	v_and_b32_e32 v11, 3, v0
	v_add_u32_e32 v37, s0, v36
	v_mul_i32_i24_e32 v38, s23, v5
	v_and_b32_e32 v4, 12, v4
	v_lshlrev_b32_e32 v5, 2, v5
	s_movk_i32 s0, 0x4e40
	v_add_u32_e32 v13, 0xfe, v11
	v_add3_u32 v85, v5, v4, s0
	v_lshlrev_b32_e32 v4, 3, v2
	v_bfe_u32 v5, v0, 2, 8
	v_and_b32_e32 v13, 0xff, v13
	v_cmp_gt_u32_e32 vcc, 2, v11
	v_add_u32_e32 v9, v5, v4
	v_add_u16_e32 v4, v5, v4
	v_cndmask_b32_e32 v13, v13, v11, vcc
	v_cmp_ne_u32_e32 vcc, 0, v11
	s_mul_i32 s16, s3, s14
	v_cmp_lt_u32_e64 s[2:3], 1, v11
	v_addc_co_u32_e32 v39, vcc, 0, v13, vcc
	v_lshlrev_b32_e32 v87, 1, v13
	v_and_b32_e32 v13, 0x7f, v9
	v_lshlrev_b32_e32 v11, 2, v11
	v_lshrrev_b16_e32 v4, 1, v4
	v_mul_i32_i24_e32 v40, s23, v13
	v_lshl_or_b32 v13, v13, 4, v11
	v_and_b32_e32 v4, 60, v4
	s_movk_i32 s1, 0x4200
	v_add3_u32 v88, v13, v4, s1
	v_mov_b32_e32 v4, 0x7f
	v_bitop3_b32 v4, v9, 64, v4 bitop3:0x6c
	v_lshl_or_b32 v5, v4, 4, v11
	v_mov_b32_e32 v11, 0x4a40
	v_and_b32_e32 v9, 31, v0
	v_lshl_add_u32 v90, v2, 7, v11
	v_bfe_u32 v93, v0, 3, 7
	v_bfe_u32 v3, v0, 5, 5
	v_lshl_add_u32 v91, v9, 2, v90
	v_add_u32_e32 v9, v93, v6
	v_mov_b32_e32 v11, 0x4200
	v_lshl_add_u32 v94, v9, 2, v11
	v_lshlrev_b32_e32 v9, 2, v3
	v_add3_u32 v95, v9, v6, s0
	v_add_u32_e32 v9, 32, v24
	v_lshrrev_b32_e32 v96, 3, v9
	v_lshl_add_u32 v9, v9, 2, v96
	v_lshl_add_u32 v97, v9, 2, v11
	v_and_b32_e32 v9, 60, v96
	v_add3_u32 v98, v6, v9, s0
	v_add_u32_e32 v9, 64, v24
	v_lshrrev_b32_e32 v13, 3, v9
	v_and_b32_e32 v15, 4, v6
	v_lshl_add_u32 v9, v9, 2, v13
	s_abs_i32 s18, s7
	v_cndmask_b32_e64 v86, 0, v15, s[2:3]
	v_lshl_add_u32 v99, v9, 2, v11
	v_and_b32_e32 v9, 60, v13
	v_cvt_f32_u32_e32 v15, s18
	v_add3_u32 v100, v6, v9, s0
	v_add_u32_e32 v9, 0x60, v24
	v_lshrrev_b32_e32 v13, 3, v9
	v_lshl_add_u32 v9, v9, 2, v13
	v_lshl_add_u32 v101, v9, 2, v11
	v_rcp_iflag_f32_e32 v11, v15
	v_and_b32_e32 v9, 60, v13
	v_add3_u32 v102, v6, v9, s0
	s_sub_i32 s0, 0, s18
	v_mul_f32_e32 v9, 0x4f7ffffe, v11
	v_cvt_u32_f32_e32 v9, v9
	s_waitcnt vmcnt(0)
	v_sub_u32_e32 v11, 0, v1
	v_mul_i32_i24_e32 v41, s23, v4
	v_lshrrev_b32_e32 v4, 1, v4
	v_mul_lo_u32 v13, s0, v9
	v_mul_hi_u32 v13, v9, v13
	v_max_i32_e32 v11, v1, v11
	v_add_u32_e32 v9, v9, v13
	s_mul_i32 s14, s23, s22
	v_mov_b32_e32 v23, 0
	v_and_b32_e32 v4, 60, v4
	v_mul_hi_u32 v9, v11, v9
	v_add3_u32 v89, v5, v4, s1
	v_and_b32_e32 v4, 28, v6
	v_mov_b32_e32 v5, v23
	v_mul_lo_u32 v13, v9, s18
	s_mul_hi_i32 s21, s14, 0x90
	s_mul_i32 s20, s14, 0x90
	v_sub_u32_e32 v11, v11, v13
	s_waitcnt lgkmcnt(0)
	v_lshl_add_u64 v[26:27], s[10:11], 0, v[4:5]
	s_movk_i32 s26, 0x90
	v_mov_b64_e32 v[4:5], s[20:21]
	v_add_u32_e32 v13, 1, v9
	v_cmp_le_u32_e64 s[0:1], s18, v11
	v_mad_u64_u32 v[4:5], s[24:25], v3, s26, v[4:5]
	v_and_b32_e32 v22, 0x7c, v6
	v_cndmask_b32_e64 v9, v9, v13, s[0:1]
	v_subrev_u32_e32 v13, s18, v11
	v_mad_u64_u32 v[28:29], s[24:25], v25, s26, v[4:5]
	v_cndmask_b32_e64 v11, v11, v13, s[0:1]
	v_lshl_add_u64 v[30:31], v[28:29], 0, v[22:23]
	v_mad_u64_u32 v[28:29], s[24:25], v32, s26, v[4:5]
	v_add_u32_e32 v74, 0x5050, v6
	v_xor_b32_e32 v6, s7, v1
	v_add_u32_e32 v13, 1, v9
	v_cmp_le_u32_e64 s[0:1], s18, v11
	v_lshl_add_u64 v[52:53], v[28:29], 0, v[22:23]
	v_mad_u64_u32 v[28:29], s[24:25], v33, s26, v[4:5]
	v_ashrrev_i32_e32 v6, 31, v6
	v_cndmask_b32_e64 v9, v9, v13, s[0:1]
	v_lshl_add_u64 v[54:55], v[28:29], 0, v[22:23]
	v_mad_u64_u32 v[28:29], s[24:25], v34, s26, v[4:5]
	v_xor_b32_e32 v9, v9, v6
	v_lshl_add_u64 v[56:57], v[28:29], 0, v[22:23]
	v_mad_u64_u32 v[28:29], s[24:25], v35, s26, v[4:5]
	v_mul_i32_i24_e32 v7, s23, v2
	v_sub_u32_e32 v42, v9, v6
	v_lshl_add_u64 v[58:59], v[28:29], 0, v[22:23]
	v_mad_u64_u32 v[28:29], s[24:25], v36, s26, v[4:5]
	v_cmp_gt_u32_e32 vcc, 4, v24
	v_cmp_gt_i32_e64 s[0:1], s4, v42
	v_mad_u64_u32 v[6:7], s[24:25], v7, s26, v[4:5]
	v_mad_u64_u32 v[8:9], s[24:25], v8, s26, v[4:5]
	;; [unrolled: 1-line block ×8, first 2 shown]
	v_lshl_add_u64 v[60:61], v[28:29], 0, v[22:23]
	v_mad_u64_u32 v[28:29], s[24:25], v37, s26, v[4:5]
	s_ashr_i32 s17, s16, 31
	s_and_b64 s[18:19], vcc, s[0:1]
	v_lshl_add_u64 v[6:7], v[6:7], 0, v[22:23]
	s_mul_i32 s24, s23, 0x78
	v_lshl_add_u64 v[8:9], v[8:9], 0, v[22:23]
	v_mov_b32_e32 v3, s24
	s_add_u32 s20, s8, s20
	v_lshl_add_u64 v[6:7], s[8:9], 0, v[6:7]
	v_lshlrev_b32_e32 v92, 4, v2
	v_lshl_add_u64 v[10:11], v[10:11], 0, v[22:23]
	v_mad_i32_i24 v2, s23, v2, v3
	s_addc_u32 s21, s9, s21
	v_lshl_add_u64 v[34:35], v[6:7], 0, 16
	v_lshl_add_u64 v[6:7], s[8:9], 0, v[8:9]
	;; [unrolled: 1-line block ×3, first 2 shown]
	v_mad_u64_u32 v[2:3], s[24:25], v2, s26, v[4:5]
	v_mov_b64_e32 v[4:5], s[20:21]
	v_lshl_add_u64 v[36:37], v[6:7], 0, 16
	v_lshl_add_u64 v[6:7], s[8:9], 0, v[10:11]
	;; [unrolled: 1-line block ×8, first 2 shown]
	v_mad_u64_u32 v[28:29], s[20:21], v38, s26, v[4:5]
	v_lshlrev_b32_e32 v22, 2, v39
	v_lshl_add_u64 v[38:39], v[6:7], 0, 16
	v_lshl_add_u64 v[6:7], s[8:9], 0, v[12:13]
	v_mad_u64_u32 v[4:5], s[20:21], v40, s26, 0
	v_mov_b32_e32 v25, 0x90
	v_mad_u64_u32 v[32:33], s[20:21], v41, s26, 0
	v_lshl_add_u64 v[40:41], v[6:7], 0, 16
	v_lshl_add_u64 v[6:7], s[8:9], 0, v[14:15]
	v_mad_i64_i32 v[72:73], s[20:21], s14, v25, v[32:33]
	v_mul_lo_u32 v32, v42, s5
	v_lshl_add_u64 v[42:43], v[6:7], 0, 16
	v_lshl_add_u64 v[6:7], s[8:9], 0, v[16:17]
	;; [unrolled: 1-line block ×22, first 2 shown]
	v_cndmask_b32_e64 v2, 0, 1, s[2:3]
	v_mad_i64_i32 v[4:5], s[20:21], s14, v25, v[4:5]
	v_lshl_add_u64 v[62:63], v[6:7], 0, 16
	v_lshlrev_b32_e32 v6, 2, v2
	v_or_b32_e32 v2, v4, v6
	v_mov_b32_e32 v3, v5
	v_lshl_add_u64 v[2:3], s[8:9], 0, v[2:3]
	v_lshl_add_u64 v[66:67], v[2:3], 0, 4
	;; [unrolled: 1-line block ×5, first 2 shown]
	v_or_b32_e32 v2, v72, v6
	v_mov_b32_e32 v3, v73
	v_lshl_add_u64 v[2:3], s[8:9], 0, v[2:3]
	v_lshl_add_u64 v[70:71], v[2:3], 0, 4
	;; [unrolled: 1-line block ×4, first 2 shown]
	v_mul_u32_u24_e32 v112, 0x84, v24
	v_ashrrev_i32_e32 v33, 31, v32
	v_lshl_add_u64 v[72:73], v[2:3], 0, 4
	s_movk_i32 s14, 0x80
	s_mov_b32 s24, 0x30303030
	v_add_u32_e32 v103, v74, v92
	s_mov_b64 s[8:9], 0x90
	v_mov_b32_e32 v22, v23
	v_mov_b32_e32 v30, v23
	v_mov_b32_e32 v31, v23
	v_add_u32_e32 v104, 0x2100, v84
	v_add_u32_e32 v105, 0x2520, v84
	;; [unrolled: 1-line block ×32, first 2 shown]
	s_branch .LBB231_6
.LBB231_4:                              ;   in Loop: Header=BB231_6 Depth=1
	s_or_b64 exec, exec, s[20:21]
	s_waitcnt lgkmcnt(0)
	s_barrier
	ds_read2_b32 v[74:75], v112 offset0:16 offset1:17
	ds_read_b128 v[14:17], v90
	ds_read_b128 v[10:13], v90 offset:16
	ds_read_b128 v[6:9], v90 offset:32
	;; [unrolled: 1-line block ×4, first 2 shown]
	ds_read2_b32 v[76:77], v112 offset0:18 offset1:19
	s_waitcnt lgkmcnt(6)
	v_and_b32_e32 v25, 0xf0f0f0f, v74
	v_mov_b32_e32 v137, 0
	s_waitcnt lgkmcnt(5)
	v_dot4c_i32_i8_e32 v137, v25, v14
	v_and_b32_e32 v25, 0xf0f0f0f, v75
	ds_read2_b32 v[78:79], v112 offset0:20 offset1:21
	ds_read2_b32 v[80:81], v112 offset0:22 offset1:23
	;; [unrolled: 1-line block ×3, first 2 shown]
	v_dot4c_i32_i8_e32 v137, v25, v15
	s_waitcnt lgkmcnt(3)
	v_and_b32_e32 v25, 0xf0f0f0f, v76
	v_dot4c_i32_i8_e32 v137, v25, v16
	v_and_b32_e32 v25, 0xf0f0f0f, v77
	v_dot4c_i32_i8_e32 v137, v25, v17
	s_waitcnt lgkmcnt(2)
	v_and_b32_e32 v25, 0xf0f0f0f, v78
	v_dot4c_i32_i8_e32 v137, v25, v10
	v_and_b32_e32 v25, 0xf0f0f0f, v79
	;; [unrolled: 5-line block ×3, first 2 shown]
	v_dot4c_i32_i8_e32 v137, v25, v13
	v_lshrrev_b32_e32 v25, 4, v74
	v_and_b32_e32 v25, 0xf0f0f0f, v25
	v_mov_b32_e32 v149, 0
	v_dot4c_i32_i8_e32 v149, v25, v6
	v_lshrrev_b32_e32 v25, 4, v75
	v_and_b32_e32 v25, 0xf0f0f0f, v25
	v_dot4c_i32_i8_e32 v149, v25, v7
	v_lshrrev_b32_e32 v25, 4, v76
	v_and_b32_e32 v25, 0xf0f0f0f, v25
	v_dot4c_i32_i8_e32 v149, v25, v8
	v_lshrrev_b32_e32 v25, 4, v77
	v_and_b32_e32 v25, 0xf0f0f0f, v25
	v_add_u32_e32 v74, 0x10c0, v112
	v_dot4c_i32_i8_e32 v149, v25, v9
	v_lshrrev_b32_e32 v25, 4, v78
	ds_read2_b32 v[74:75], v74 offset1:1
	v_and_b32_e32 v25, 0xf0f0f0f, v25
	v_dot4c_i32_i8_e32 v149, v25, v2
	v_lshrrev_b32_e32 v25, 4, v79
	v_and_b32_e32 v25, 0xf0f0f0f, v25
	v_dot4c_i32_i8_e32 v149, v25, v3
	v_lshrrev_b32_e32 v25, 4, v80
	v_and_b32_e32 v25, 0xf0f0f0f, v25
	s_waitcnt lgkmcnt(0)
	v_and_b32_e32 v76, 0xf0f0f0f, v74
	v_mov_b32_e32 v153, 0
	v_dot4c_i32_i8_e32 v149, v25, v4
	v_lshrrev_b32_e32 v25, 4, v81
	v_dot4c_i32_i8_e32 v153, v76, v14
	v_and_b32_e32 v76, 0xf0f0f0f, v75
	v_and_b32_e32 v25, 0xf0f0f0f, v25
	v_dot4c_i32_i8_e32 v153, v76, v15
	v_add_u32_e32 v76, 0x10c8, v112
	v_dot4c_i32_i8_e32 v149, v25, v5
	ds_read_b32 v152, v98 offset:128
	ds_read_b32 v25, v100 offset:256
	;; [unrolled: 1-line block ×3, first 2 shown]
	ds_read2_b32 v[76:77], v76 offset1:1
	v_lshrrev_b32_e32 v74, 4, v74
	v_and_b32_e32 v74, 0xf0f0f0f, v74
	v_mov_b32_e32 v154, 0
	v_dot4c_i32_i8_e32 v154, v74, v6
	v_lshrrev_b32_e32 v74, 4, v75
	v_and_b32_e32 v74, 0xf0f0f0f, v74
	v_add_u32_e32 v78, 0x10d0, v112
	v_add_u32_e32 v80, 0x10d8, v112
	v_add_u32_e32 v82, 0x2140, v112
	v_dot4c_i32_i8_e32 v154, v74, v7
	s_waitcnt lgkmcnt(0)
	v_lshrrev_b32_e32 v74, 4, v76
	ds_read2_b32 v[78:79], v78 offset1:1
	ds_read2_b32 v[80:81], v80 offset1:1
	;; [unrolled: 1-line block ×3, first 2 shown]
	v_and_b32_e32 v74, 0xf0f0f0f, v74
	v_dot4c_i32_i8_e32 v154, v74, v8
	v_lshrrev_b32_e32 v74, 4, v77
	v_and_b32_e32 v74, 0xf0f0f0f, v74
	v_dot4c_i32_i8_e32 v154, v74, v9
	s_waitcnt lgkmcnt(2)
	v_lshrrev_b32_e32 v74, 4, v78
	v_and_b32_e32 v74, 0xf0f0f0f, v74
	v_dot4c_i32_i8_e32 v154, v74, v2
	v_lshrrev_b32_e32 v74, 4, v79
	v_and_b32_e32 v74, 0xf0f0f0f, v74
	v_dot4c_i32_i8_e32 v154, v74, v3
	s_waitcnt lgkmcnt(1)
	v_lshrrev_b32_e32 v74, 4, v80
	v_and_b32_e32 v74, 0xf0f0f0f, v74
	v_dot4c_i32_i8_e32 v154, v74, v4
	v_lshrrev_b32_e32 v74, 4, v81
	v_and_b32_e32 v74, 0xf0f0f0f, v74
	v_and_b32_e32 v140, 0xf0f0f0f, v76
	v_dot4c_i32_i8_e32 v154, v74, v5
	s_waitcnt lgkmcnt(0)
	v_and_b32_e32 v74, 0xf0f0f0f, v82
	v_mov_b32_e32 v75, 0
	v_dot4c_i32_i8_e32 v153, v140, v16
	v_and_b32_e32 v140, 0xf0f0f0f, v77
	v_dot4c_i32_i8_e32 v75, v74, v14
	v_and_b32_e32 v74, 0xf0f0f0f, v83
	;; [unrolled: 2-line block ×3, first 2 shown]
	v_dot4c_i32_i8_e32 v75, v74, v15
	v_add_u32_e32 v74, 0x2148, v112
	v_dot4c_i32_i8_e32 v153, v140, v10
	v_and_b32_e32 v140, 0xf0f0f0f, v79
	ds_read2_b32 v[78:79], v74 offset1:1
	v_lshrrev_b32_e32 v82, 4, v82
	v_dot4c_i32_i8_e32 v153, v140, v11
	v_and_b32_e32 v140, 0xf0f0f0f, v80
	v_and_b32_e32 v82, 0xf0f0f0f, v82
	v_mov_b32_e32 v145, 0
	v_dot4c_i32_i8_e32 v153, v140, v12
	v_and_b32_e32 v140, 0xf0f0f0f, v81
	v_add_u32_e32 v74, 0x2150, v112
	v_dot4c_i32_i8_e32 v145, v82, v6
	v_lshrrev_b32_e32 v82, 4, v83
	v_dot4c_i32_i8_e32 v153, v140, v13
	v_add_u32_e32 v76, 0x2158, v112
	v_add_u32_e32 v77, 0x31c0, v112
	ds_read2_b32 v[80:81], v74 offset1:1
	ds_read2_b32 v[140:141], v76 offset1:1
	ds_read2_b32 v[142:143], v77 offset1:1
	s_waitcnt lgkmcnt(3)
	v_and_b32_e32 v74, 0xf0f0f0f, v78
	v_and_b32_e32 v82, 0xf0f0f0f, v82
	v_lshrrev_b32_e32 v78, 4, v78
	v_dot4c_i32_i8_e32 v145, v82, v7
	v_and_b32_e32 v78, 0xf0f0f0f, v78
	v_dot4c_i32_i8_e32 v145, v78, v8
	v_lshrrev_b32_e32 v78, 4, v79
	v_and_b32_e32 v78, 0xf0f0f0f, v78
	v_dot4c_i32_i8_e32 v75, v74, v16
	v_and_b32_e32 v74, 0xf0f0f0f, v79
	v_dot4c_i32_i8_e32 v145, v78, v9
	s_waitcnt lgkmcnt(2)
	v_lshrrev_b32_e32 v78, 4, v80
	v_dot4c_i32_i8_e32 v75, v74, v17
	v_and_b32_e32 v74, 0xf0f0f0f, v80
	v_and_b32_e32 v78, 0xf0f0f0f, v78
	s_waitcnt lgkmcnt(0)
	v_and_b32_e32 v80, 0xf0f0f0f, v142
	v_mov_b32_e32 v156, 0
	v_dot4c_i32_i8_e32 v145, v78, v2
	v_lshrrev_b32_e32 v78, 4, v81
	v_dot4c_i32_i8_e32 v156, v80, v14
	v_and_b32_e32 v14, 0xf0f0f0f, v143
	ds_read2_b32 v[76:77], v99 offset0:1 offset1:3
	v_and_b32_e32 v78, 0xf0f0f0f, v78
	v_dot4c_i32_i8_e32 v156, v14, v15
	v_add_u32_e32 v14, 0x31c8, v112
	v_dot4c_i32_i8_e32 v145, v78, v3
	v_lshrrev_b32_e32 v78, 4, v140
	ds_read2_b32 v[14:15], v14 offset1:1
	v_and_b32_e32 v78, 0xf0f0f0f, v78
	v_dot4c_i32_i8_e32 v75, v74, v10
	v_and_b32_e32 v74, 0xf0f0f0f, v81
	v_dot4c_i32_i8_e32 v145, v78, v4
	v_lshrrev_b32_e32 v78, 4, v141
	v_dot4c_i32_i8_e32 v75, v74, v11
	v_and_b32_e32 v74, 0xf0f0f0f, v140
	v_and_b32_e32 v78, 0xf0f0f0f, v78
	v_add_u32_e32 v80, 0x31d0, v112
	v_add_u32_e32 v82, 0x31d8, v112
	;; [unrolled: 1-line block ×3, first 2 shown]
	v_dot4c_i32_i8_e32 v75, v74, v12
	v_and_b32_e32 v74, 0xf0f0f0f, v141
	v_dot4c_i32_i8_e32 v145, v78, v5
	s_waitcnt lgkmcnt(1)
	v_bfe_u32 v78, v76, 8, 8
	ds_read2_b32 v[80:81], v80 offset1:1
	ds_read2_b32 v[82:83], v82 offset1:1
	;; [unrolled: 1-line block ×3, first 2 shown]
	v_mul_lo_u32 v78, v145, v78
	s_waitcnt lgkmcnt(3)
	v_and_b32_e32 v145, 0xf0f0f0f, v14
	v_dot4c_i32_i8_e32 v156, v145, v16
	v_and_b32_e32 v16, 0xf0f0f0f, v15
	v_dot4c_i32_i8_e32 v156, v16, v17
	s_waitcnt lgkmcnt(2)
	v_and_b32_e32 v16, 0xf0f0f0f, v80
	v_dot4c_i32_i8_e32 v156, v16, v10
	v_and_b32_e32 v10, 0xf0f0f0f, v81
	v_dot4c_i32_i8_e32 v156, v10, v11
	;; [unrolled: 5-line block ×3, first 2 shown]
	v_lshrrev_b32_e32 v10, 4, v142
	v_and_b32_e32 v10, 0xf0f0f0f, v10
	v_mov_b32_e32 v157, 0
	v_dot4c_i32_i8_e32 v157, v10, v6
	v_lshrrev_b32_e32 v6, 4, v143
	v_and_b32_e32 v6, 0xf0f0f0f, v6
	v_dot4c_i32_i8_e32 v157, v6, v7
	v_lshrrev_b32_e32 v6, 4, v14
	v_and_b32_e32 v6, 0xf0f0f0f, v6
	;; [unrolled: 3-line block ×7, first 2 shown]
	v_dot4c_i32_i8_e32 v75, v74, v13
	v_dot4c_i32_i8_e32 v157, v2, v5
	ds_read_b128 v[10:13], v90 offset:64
	ds_read_b128 v[14:17], v90 offset:80
	;; [unrolled: 1-line block ×4, first 2 shown]
	ds_read2_b32 v[142:143], v112 offset0:26 offset1:27
	v_cvt_f32_f16_e32 v6, v144
	v_cvt_f32_f16_sdwa v8, v144 dst_sel:DWORD dst_unused:UNUSED_PAD src0_sel:WORD_1
	v_and_b32_e32 v7, 0xf0f0f0f, v138
	v_mov_b32_e32 v158, 0
	ds_read_b32 v159, v95
	ds_read2_b32 v[144:145], v112 offset0:28 offset1:29
	ds_read2_b32 v[146:147], v112 offset0:30 offset1:31
	s_waitcnt lgkmcnt(7)
	v_dot4c_i32_i8_e32 v158, v7, v10
	v_and_b32_e32 v7, 0xf0f0f0f, v139
	v_dot4c_i32_i8_e32 v158, v7, v11
	s_waitcnt lgkmcnt(3)
	v_and_b32_e32 v7, 0xf0f0f0f, v142
	v_dot4c_i32_i8_e32 v158, v7, v12
	v_and_b32_e32 v7, 0xf0f0f0f, v143
	v_dot4c_i32_i8_e32 v158, v7, v13
	s_waitcnt lgkmcnt(1)
	v_and_b32_e32 v7, 0xf0f0f0f, v144
	;; [unrolled: 5-line block ×3, first 2 shown]
	v_dot4c_i32_i8_e32 v158, v7, v16
	v_and_b32_e32 v7, 0xf0f0f0f, v147
	v_dot4c_i32_i8_e32 v158, v7, v17
	v_lshrrev_b32_e32 v7, 4, v138
	v_and_b32_e32 v7, 0xf0f0f0f, v7
	v_mov_b32_e32 v160, 0
	v_dot4c_i32_i8_e32 v160, v7, v80
	v_lshrrev_b32_e32 v7, 4, v139
	v_and_b32_e32 v7, 0xf0f0f0f, v7
	v_dot4c_i32_i8_e32 v160, v7, v81
	v_lshrrev_b32_e32 v7, 4, v142
	v_and_b32_e32 v7, 0xf0f0f0f, v7
	;; [unrolled: 3-line block ×7, first 2 shown]
	v_dot4c_i32_i8_e32 v160, v7, v5
	v_and_b32_e32 v7, 0xf0f0f0f, v140
	v_mov_b32_e32 v161, 0
	v_dot4c_i32_i8_e32 v161, v7, v10
	v_and_b32_e32 v7, 0xf0f0f0f, v141
	v_dot4c_i32_i8_e32 v161, v7, v11
	v_add_u32_e32 v7, 0x10e8, v112
	ds_read2_b32 v[138:139], v7 offset1:1
	v_add_u32_e32 v7, 0x10f0, v112
	v_add_u32_e32 v146, 0x2160, v112
	;; [unrolled: 1-line block ×3, first 2 shown]
	ds_read2_b32 v[142:143], v7 offset1:1
	ds_read2_b32 v[144:145], v9 offset1:1
	;; [unrolled: 1-line block ×3, first 2 shown]
	s_waitcnt lgkmcnt(3)
	v_and_b32_e32 v7, 0xf0f0f0f, v138
	v_dot4c_i32_i8_e32 v161, v7, v12
	v_and_b32_e32 v7, 0xf0f0f0f, v139
	v_dot4c_i32_i8_e32 v161, v7, v13
	s_waitcnt lgkmcnt(2)
	v_and_b32_e32 v7, 0xf0f0f0f, v142
	v_dot4c_i32_i8_e32 v161, v7, v14
	v_and_b32_e32 v7, 0xf0f0f0f, v143
	v_dot4c_i32_i8_e32 v161, v7, v15
	s_waitcnt lgkmcnt(1)
	v_and_b32_e32 v7, 0xf0f0f0f, v144
	v_dot4c_i32_i8_e32 v161, v7, v16
	v_and_b32_e32 v7, 0xf0f0f0f, v145
	v_dot4c_i32_i8_e32 v161, v7, v17
	v_lshrrev_b32_e32 v7, 4, v140
	v_and_b32_e32 v7, 0xf0f0f0f, v7
	v_mov_b32_e32 v162, 0
	v_dot4c_i32_i8_e32 v162, v7, v80
	v_lshrrev_b32_e32 v7, 4, v141
	v_and_b32_e32 v7, 0xf0f0f0f, v7
	v_dot4c_i32_i8_e32 v162, v7, v81
	v_lshrrev_b32_e32 v7, 4, v138
	v_and_b32_e32 v7, 0xf0f0f0f, v7
	v_dot4c_i32_i8_e32 v162, v7, v82
	v_lshrrev_b32_e32 v7, 4, v139
	v_and_b32_e32 v7, 0xf0f0f0f, v7
	v_dot4c_i32_i8_e32 v162, v7, v83
	v_lshrrev_b32_e32 v7, 4, v142
	v_and_b32_e32 v7, 0xf0f0f0f, v7
	v_dot4c_i32_i8_e32 v162, v7, v2
	v_lshrrev_b32_e32 v7, 4, v143
	v_and_b32_e32 v7, 0xf0f0f0f, v7
	v_dot4c_i32_i8_e32 v162, v7, v3
	v_lshrrev_b32_e32 v7, 4, v144
	v_and_b32_e32 v7, 0xf0f0f0f, v7
	v_dot4c_i32_i8_e32 v162, v7, v4
	v_lshrrev_b32_e32 v7, 4, v145
	v_and_b32_e32 v7, 0xf0f0f0f, v7
	v_dot4c_i32_i8_e32 v162, v7, v5
	s_waitcnt lgkmcnt(0)
	v_and_b32_e32 v7, 0xf0f0f0f, v146
	v_mov_b32_e32 v9, 0
	v_dot4c_i32_i8_e32 v9, v7, v10
	v_and_b32_e32 v7, 0xf0f0f0f, v147
	v_dot4c_i32_i8_e32 v9, v7, v11
	v_add_u32_e32 v7, 0x2168, v112
	ds_read2_b32 v[138:139], v7 offset1:1
	v_add_u32_e32 v7, 0x2170, v112
	v_add_u32_e32 v142, 0x2178, v112
	;; [unrolled: 1-line block ×3, first 2 shown]
	ds_read2_b32 v[140:141], v7 offset1:1
	ds_read2_b32 v[142:143], v142 offset1:1
	;; [unrolled: 1-line block ×3, first 2 shown]
	s_waitcnt lgkmcnt(3)
	v_and_b32_e32 v7, 0xf0f0f0f, v138
	v_dot4c_i32_i8_e32 v9, v7, v12
	v_and_b32_e32 v7, 0xf0f0f0f, v139
	v_dot4c_i32_i8_e32 v9, v7, v13
	s_waitcnt lgkmcnt(2)
	v_and_b32_e32 v7, 0xf0f0f0f, v140
	v_dot4c_i32_i8_e32 v9, v7, v14
	v_and_b32_e32 v7, 0xf0f0f0f, v141
	v_dot4c_i32_i8_e32 v9, v7, v15
	;; [unrolled: 5-line block ×3, first 2 shown]
	v_bfe_u32 v7, v76, 16, 8
	v_lshrrev_b32_e32 v155, 24, v76
	v_and_b32_e32 v74, 0xff, v76
	v_mul_lo_u32 v7, v9, v7
	v_cvt_f32_i32_e32 v148, v7
	v_lshrrev_b32_e32 v7, 4, v146
	v_and_b32_e32 v7, 0xf0f0f0f, v7
	v_mov_b32_e32 v76, 0
	v_dot4c_i32_i8_e32 v76, v7, v80
	v_lshrrev_b32_e32 v7, 4, v147
	v_and_b32_e32 v7, 0xf0f0f0f, v7
	v_dot4c_i32_i8_e32 v76, v7, v81
	v_lshrrev_b32_e32 v7, 4, v138
	v_and_b32_e32 v7, 0xf0f0f0f, v7
	;; [unrolled: 3-line block ×7, first 2 shown]
	v_dot4c_i32_i8_e32 v76, v7, v5
	s_waitcnt lgkmcnt(0)
	v_and_b32_e32 v7, 0xf0f0f0f, v144
	v_mov_b32_e32 v9, 0
	v_dot4c_i32_i8_e32 v9, v7, v10
	v_and_b32_e32 v7, 0xf0f0f0f, v145
	v_dot4c_i32_i8_e32 v9, v7, v11
	v_add_u32_e32 v7, 0x31e8, v112
	ds_read2_b32 v[10:11], v7 offset1:1
	v_add_u32_e32 v7, 0x31f0, v112
	v_cvt_f32_f16_e32 v138, v18
	v_cvt_f32_f16_sdwa v140, v18 dst_sel:DWORD dst_unused:UNUSED_PAD src0_sel:WORD_1
	v_add_u32_e32 v18, 0x31f8, v112
	ds_read2_b32 v[146:147], v7 offset1:1
	ds_read2_b32 v[150:151], v18 offset1:1
	s_waitcnt lgkmcnt(2)
	v_and_b32_e32 v7, 0xf0f0f0f, v10
	v_dot4c_i32_i8_e32 v9, v7, v12
	v_and_b32_e32 v7, 0xf0f0f0f, v11
	v_dot4c_i32_i8_e32 v9, v7, v13
	ds_read2_b32 v[12:13], v101 offset0:1 offset1:3
	s_waitcnt lgkmcnt(2)
	v_and_b32_e32 v7, 0xf0f0f0f, v146
	v_dot4c_i32_i8_e32 v9, v7, v14
	v_and_b32_e32 v7, 0xf0f0f0f, v147
	v_dot4c_i32_i8_e32 v9, v7, v15
	s_waitcnt lgkmcnt(1)
	v_and_b32_e32 v7, 0xf0f0f0f, v150
	v_dot4c_i32_i8_e32 v9, v7, v16
	v_and_b32_e32 v7, 0xf0f0f0f, v151
	v_dot4c_i32_i8_e32 v9, v7, v17
	s_waitcnt lgkmcnt(0)
	v_and_b32_e32 v7, 0xff, v12
	v_bfe_u32 v14, v12, 16, 8
	v_mul_lo_u32 v7, v156, v7
	v_mul_lo_u32 v9, v9, v14
	v_cvt_f32_i32_e32 v14, v7
	v_lshrrev_b32_e32 v7, 4, v144
	v_cvt_f32_i32_e32 v15, v9
	v_and_b32_e32 v7, 0xf0f0f0f, v7
	v_mov_b32_e32 v9, 0
	v_dot4c_i32_i8_e32 v9, v7, v80
	v_lshrrev_b32_e32 v7, 4, v145
	v_and_b32_e32 v7, 0xf0f0f0f, v7
	v_dot4c_i32_i8_e32 v9, v7, v81
	v_lshrrev_b32_e32 v7, 4, v10
	v_and_b32_e32 v7, 0xf0f0f0f, v7
	;; [unrolled: 3-line block ×7, first 2 shown]
	v_dot4c_i32_i8_e32 v9, v2, v5
	v_lshrrev_b32_e32 v2, 24, v12
	v_bfe_u32 v3, v12, 8, 8
	v_cvt_f32_f16_e32 v139, v20
	v_mul_lo_u32 v4, v157, v3
	v_mul_lo_u32 v2, v9, v2
	v_cvt_f32_f16_e32 v143, v21
	v_cvt_f32_f16_e32 v142, v19
	v_cvt_f32_i32_e32 v3, v2
	v_cvt_f32_i32_e32 v2, v4
	v_cvt_f32_f16_sdwa v141, v20 dst_sel:DWORD dst_unused:UNUSED_PAD src0_sel:WORD_1
	v_cvt_f32_f16_sdwa v17, v21 dst_sel:DWORD dst_unused:UNUSED_PAD src0_sel:WORD_1
	;; [unrolled: 1-line block ×3, first 2 shown]
	v_pk_fma_f32 v[14:15], v[138:139], v[14:15], 0 op_sel_hi:[1,1,0]
	v_cvt_f32_ubyte2_e32 v5, v13
	v_cvt_f32_ubyte0_e32 v4, v13
	v_pk_fma_f32 v[2:3], v[142:143], v[2:3], v[14:15]
	v_cvt_f32_ubyte3_e32 v11, v13
	v_cvt_f32_ubyte1_e32 v10, v13
	ds_read2_b32 v[12:13], v94 offset0:1 offset1:3
	ds_read2_b32 v[14:15], v97 offset0:1 offset1:3
	v_pk_fma_f32 v[4:5], v[140:141], v[4:5], 0 op_sel_hi:[1,1,0]
	v_cvt_f32_f16_sdwa v21, v152 dst_sel:DWORD dst_unused:UNUSED_PAD src0_sel:WORD_1
	v_pk_fma_f32 v[4:5], v[16:17], v[10:11], v[4:5]
	s_waitcnt lgkmcnt(1)
	v_lshrrev_b32_e32 v144, 24, v12
	v_pk_mul_f32 v[4:5], v[4:5], v[8:9] op_sel_hi:[1,0]
	s_waitcnt lgkmcnt(0)
	v_bfe_u32 v8, v14, 8, 8
	v_pk_fma_f32 v[2:3], v[2:3], v[6:7], v[4:5] op_sel_hi:[1,0,1] neg_lo:[0,0,1] neg_hi:[0,0,1]
	v_and_b32_e32 v4, 0xff, v14
	v_and_b32_e32 v5, 0xff, v12
	v_mul_lo_u32 v6, v137, v5
	v_mul_lo_u32 v4, v153, v4
	v_bfe_u32 v9, v12, 8, 8
	v_cvt_f32_i32_e32 v5, v4
	v_cvt_f32_i32_e32 v4, v6
	v_mul_lo_u32 v10, v149, v9
	v_mul_lo_u32 v8, v154, v8
	v_lshrrev_b32_e32 v145, 24, v14
	v_cvt_f32_i32_e32 v9, v8
	v_cvt_f32_i32_e32 v8, v10
	v_cvt_f32_f16_sdwa v20, v159 dst_sel:DWORD dst_unused:UNUSED_PAD src0_sel:WORD_1
	v_bfe_u32 v14, v14, 16, 8
	v_bfe_u32 v12, v12, 16, 8
	v_cvt_f32_ubyte0_e32 v7, v15
	v_cvt_f32_ubyte0_e32 v6, v13
	v_cvt_f32_f16_e32 v19, v152
	v_cvt_f32_f16_e32 v18, v159
	v_mul_lo_u32 v12, v158, v12
	v_mul_lo_u32 v14, v161, v14
	v_cvt_f32_ubyte1_e32 v11, v15
	v_cvt_f32_ubyte1_e32 v10, v13
	v_cvt_f32_i32_e32 v81, v14
	v_cvt_f32_i32_e32 v80, v12
	v_mul_lo_u32 v12, v160, v144
	v_mul_lo_u32 v14, v162, v145
	v_pk_fma_f32 v[6:7], v[140:141], v[6:7], 0 op_sel_hi:[0,1,0]
	v_cvt_f32_i32_e32 v145, v14
	v_cvt_f32_i32_e32 v144, v12
	v_pk_fma_f32 v[4:5], v[138:139], v[4:5], 0 op_sel_hi:[0,1,0]
	v_pk_fma_f32 v[6:7], v[16:17], v[10:11], v[6:7] op_sel_hi:[0,1,1]
	;; [unrolled: 1-line block ×3, first 2 shown]
	v_pk_mul_f32 v[6:7], v[6:7], v[20:21]
	v_cvt_f32_ubyte2_e32 v83, v15
	v_pk_fma_f32 v[4:5], v[4:5], v[18:19], v[6:7] neg_lo:[0,0,1] neg_hi:[0,0,1]
	v_mov_b32_e32 v6, v139
	v_cvt_f32_ubyte2_e32 v82, v13
	v_pk_fma_f32 v[6:7], v[6:7], v[80:81], 0 op_sel_hi:[0,1,0]
	v_mov_b32_e32 v8, v141
	v_mov_b32_e32 v10, v143
	v_cvt_f32_ubyte3_e32 v15, v15
	v_cvt_f32_ubyte3_e32 v14, v13
	v_pk_fma_f32 v[8:9], v[8:9], v[82:83], 0 op_sel_hi:[0,1,0]
	v_pk_fma_f32 v[6:7], v[10:11], v[144:145], v[6:7] op_sel_hi:[0,1,1]
	v_mov_b32_e32 v10, v17
	v_mul_lo_u32 v74, v75, v74
	v_pk_fma_f32 v[8:9], v[10:11], v[14:15], v[8:9] op_sel_hi:[0,1,1]
	v_cvt_f32_i32_e32 v74, v74
	v_pk_mul_f32 v[8:9], v[8:9], v[20:21]
	v_cvt_f32_i32_e32 v78, v78
	v_pk_add_f32 v[4:5], v[22:23], v[4:5]
	v_pk_fma_f32 v[6:7], v[6:7], v[18:19], v[8:9] neg_lo:[0,0,1] neg_hi:[0,0,1]
	v_cvt_f32_ubyte0_e32 v75, v77
	v_pk_add_f32 v[22:23], v[4:5], v[6:7]
	v_cvt_f32_f16_sdwa v7, v25 dst_sel:DWORD dst_unused:UNUSED_PAD src0_sel:WORD_1
	v_mul_lo_u32 v4, v76, v155
	v_cvt_f32_f16_e32 v6, v25
	v_mov_b32_e32 v8, v138
	v_mov_b32_e32 v9, v140
	v_cvt_f32_ubyte1_e32 v79, v77
	v_cvt_f32_i32_e32 v4, v4
	v_pk_fma_f32 v[8:9], v[8:9], v[74:75], 0 op_sel_hi:[1,1,0]
	v_mov_b32_e32 v10, v142
	v_mov_b32_e32 v11, v16
	v_pk_fma_f32 v[8:9], v[10:11], v[78:79], v[8:9]
	v_cvt_f32_ubyte2_e32 v149, v77
	v_mul_f32_e32 v10, v9, v7
	v_mov_b32_e32 v140, v139
	v_cvt_f32_ubyte3_e32 v5, v77
	v_pk_fma_f32 v[8:9], v[8:9], v[6:7], v[10:11] op_sel_hi:[1,1,0] neg_lo:[0,0,1] neg_hi:[0,0,1]
	v_pk_fma_f32 v[10:11], v[140:141], v[148:149], 0 op_sel_hi:[1,1,0]
	v_mov_b32_e32 v16, v143
	v_pk_fma_f32 v[4:5], v[16:17], v[4:5], v[10:11]
	v_mov_b32_e32 v9, v2
	v_mul_f32_e32 v10, v5, v7
	v_pk_fma_f32 v[4:5], v[4:5], v[6:7], v[10:11] op_sel_hi:[1,1,0] neg_lo:[0,0,1] neg_hi:[0,0,1]
	v_pk_add_f32 v[6:7], v[30:31], v[8:9]
	v_mov_b32_e32 v5, v3
	v_pk_add_f32 v[30:31], v[6:7], v[4:5]
	s_barrier
.LBB231_5:                              ;   in Loop: Header=BB231_6 Depth=1
	s_add_i32 s23, s23, -1
	s_addk_i32 s14, 0x100
	v_add_u32_e32 v96, 8, v96
	v_add_u32_e32 v93, 8, v93
	;; [unrolled: 1-line block ×3, first 2 shown]
	v_lshl_add_u64 v[34:35], v[34:35], 0, s[8:9]
	v_lshl_add_u64 v[36:37], v[36:37], 0, s[8:9]
	;; [unrolled: 1-line block ×20, first 2 shown]
	s_cmp_eq_u32 s23, 0
	v_lshl_add_u64 v[72:73], v[72:73], 0, s[8:9]
	s_cbranch_scc1 .LBB231_17
.LBB231_6:                              ; =>This Inner Loop Header: Depth=1
	v_lshl_add_u64 v[2:3], v[34:35], 0, s[16:17]
	global_load_dword v2, v[2:3], off
	s_add_i32 s2, s14, 0xffffff80
	s_cmp_lt_i32 s2, s15
	s_waitcnt vmcnt(0)
	ds_write_b32 v84, v2
	v_lshl_add_u64 v[2:3], v[36:37], 0, s[16:17]
	global_load_dword v2, v[2:3], off
	v_add_u32_e32 v3, 0x420, v84
	s_waitcnt vmcnt(0)
	ds_write_b32 v3, v2
	v_lshl_add_u64 v[2:3], v[38:39], 0, s[16:17]
	global_load_dword v2, v[2:3], off
	v_add_u32_e32 v3, 0x840, v84
	;; [unrolled: 5-line block ×7, first 2 shown]
	s_waitcnt vmcnt(0)
	ds_write_b32 v3, v2
	v_lshl_add_u64 v[2:3], v[50:51], 0, s[16:17]
	global_load_dword v2, v[2:3], off
	s_waitcnt vmcnt(0)
	ds_write_b32 v104, v2
	v_lshl_add_u64 v[2:3], v[52:53], 0, s[16:17]
	global_load_dword v2, v[2:3], off
	;; [unrolled: 4-line block ×10, first 2 shown]
	s_waitcnt vmcnt(0)
	v_ashrrev_i32_e32 v2, v86, v2
	v_and_b32_e32 v4, 0xf0f0f0f, v2
	v_lshl_add_u64 v[2:3], v[66:67], 0, s[16:17]
	global_load_dword v2, v[2:3], off
	s_waitcnt vmcnt(0)
	v_ashrrev_i32_e32 v2, v87, v2
	v_and_or_b32 v2, v2, s24, v4
	ds_write_b32 v88, v2
	v_lshl_add_u64 v[2:3], v[72:73], 0, s[16:17]
	global_load_dword v2, v[2:3], off
	s_waitcnt vmcnt(0)
	v_ashrrev_i32_e32 v2, v86, v2
	v_and_b32_e32 v4, 0xf0f0f0f, v2
	v_lshl_add_u64 v[2:3], v[70:71], 0, s[16:17]
	global_load_dword v2, v[2:3], off
	s_waitcnt vmcnt(0)
	v_ashrrev_i32_e32 v2, v87, v2
	v_and_or_b32 v2, v2, s24, v4
	ds_write_b32 v89, v2
	s_cbranch_scc0 .LBB231_5
; %bb.7:                                ;   in Loop: Header=BB231_6 Depth=1
	v_cmp_gt_i32_e64 s[2:3], s5, v93
	s_and_b64 s[20:21], s[0:1], s[2:3]
	s_and_saveexec_b64 s[2:3], s[20:21]
	s_cbranch_execz .LBB231_9
; %bb.8:                                ;   in Loop: Header=BB231_6 Depth=1
	v_add_u32_e32 v2, v32, v93
	v_mad_i64_i32 v[2:3], s[20:21], v2, 36, v[26:27]
	global_load_dword v2, v[2:3], off offset:4
	s_waitcnt vmcnt(0)
	ds_write_b32 v91, v2
.LBB231_9:                              ;   in Loop: Header=BB231_6 Depth=1
	s_or_b64 exec, exec, s[2:3]
	v_cmp_gt_i32_e64 s[2:3], s5, v24
	s_and_b64 s[20:21], s[18:19], s[2:3]
	s_and_saveexec_b64 s[2:3], s[20:21]
	s_cbranch_execz .LBB231_11
; %bb.10:                               ;   in Loop: Header=BB231_6 Depth=1
	v_add_u32_e32 v2, v32, v24
	v_mad_i64_i32 v[2:3], s[20:21], v2, 36, s[10:11]
	global_load_dword v2, v[2:3], off
	s_waitcnt vmcnt(0)
	ds_write_b32 v103, v2
.LBB231_11:                             ;   in Loop: Header=BB231_6 Depth=1
	s_or_b64 exec, exec, s[2:3]
	s_waitcnt lgkmcnt(0)
	s_barrier
	ds_read2_b32 v[76:77], v112 offset1:1
	ds_read_b128 v[14:17], v90
	ds_read_b128 v[10:13], v90 offset:16
	ds_read_b128 v[6:9], v90 offset:32
	;; [unrolled: 1-line block ×4, first 2 shown]
	ds_read2_b32 v[78:79], v112 offset0:2 offset1:3
	s_waitcnt lgkmcnt(6)
	v_and_b32_e32 v25, 0xf0f0f0f, v76
	v_mov_b32_e32 v137, 0
	s_waitcnt lgkmcnt(5)
	v_dot4c_i32_i8_e32 v137, v25, v14
	v_and_b32_e32 v25, 0xf0f0f0f, v77
	ds_read2_b32 v[80:81], v112 offset0:4 offset1:5
	ds_read2_b32 v[82:83], v112 offset0:6 offset1:7
	;; [unrolled: 1-line block ×3, first 2 shown]
	v_dot4c_i32_i8_e32 v137, v25, v15
	s_waitcnt lgkmcnt(3)
	v_and_b32_e32 v25, 0xf0f0f0f, v78
	v_dot4c_i32_i8_e32 v137, v25, v16
	v_and_b32_e32 v25, 0xf0f0f0f, v79
	v_dot4c_i32_i8_e32 v137, v25, v17
	s_waitcnt lgkmcnt(2)
	v_and_b32_e32 v25, 0xf0f0f0f, v80
	v_dot4c_i32_i8_e32 v137, v25, v10
	v_and_b32_e32 v25, 0xf0f0f0f, v81
	;; [unrolled: 5-line block ×3, first 2 shown]
	v_dot4c_i32_i8_e32 v137, v25, v13
	v_lshrrev_b32_e32 v25, 4, v76
	v_and_b32_e32 v25, 0xf0f0f0f, v25
	v_mov_b32_e32 v157, 0
	v_dot4c_i32_i8_e32 v157, v25, v6
	v_lshrrev_b32_e32 v25, 4, v77
	v_and_b32_e32 v25, 0xf0f0f0f, v25
	v_dot4c_i32_i8_e32 v157, v25, v7
	v_lshrrev_b32_e32 v25, 4, v78
	v_and_b32_e32 v25, 0xf0f0f0f, v25
	;; [unrolled: 3-line block ×5, first 2 shown]
	v_dot4c_i32_i8_e32 v157, v25, v3
	v_lshrrev_b32_e32 v25, 4, v82
	ds_read2_b32 v[78:79], v113 offset1:1
	v_and_b32_e32 v25, 0xf0f0f0f, v25
	v_dot4c_i32_i8_e32 v157, v25, v4
	v_lshrrev_b32_e32 v25, 4, v83
	v_and_b32_e32 v25, 0xf0f0f0f, v25
	ds_read2_b32 v[74:75], v94 offset1:2
	v_dot4c_i32_i8_e32 v157, v25, v5
	ds_read_b32 v158, v98 offset:128
	ds_read_b32 v25, v100 offset:256
	;; [unrolled: 1-line block ×3, first 2 shown]
	ds_read2_b32 v[80:81], v114 offset1:1
	s_waitcnt lgkmcnt(5)
	v_and_b32_e32 v76, 0xf0f0f0f, v78
	v_lshrrev_b32_e32 v78, 4, v78
	v_and_b32_e32 v78, 0xf0f0f0f, v78
	v_mov_b32_e32 v162, 0
	v_dot4c_i32_i8_e32 v162, v78, v6
	v_lshrrev_b32_e32 v78, 4, v79
	v_and_b32_e32 v78, 0xf0f0f0f, v78
	v_dot4c_i32_i8_e32 v162, v78, v7
	s_waitcnt lgkmcnt(0)
	v_lshrrev_b32_e32 v78, 4, v80
	ds_read2_b32 v[82:83], v115 offset1:1
	ds_read2_b32 v[138:139], v116 offset1:1
	;; [unrolled: 1-line block ×3, first 2 shown]
	v_and_b32_e32 v78, 0xf0f0f0f, v78
	v_dot4c_i32_i8_e32 v162, v78, v8
	v_lshrrev_b32_e32 v78, 4, v81
	v_and_b32_e32 v78, 0xf0f0f0f, v78
	v_dot4c_i32_i8_e32 v162, v78, v9
	s_waitcnt lgkmcnt(2)
	v_lshrrev_b32_e32 v78, 4, v82
	v_mov_b32_e32 v159, 0
	v_and_b32_e32 v78, 0xf0f0f0f, v78
	v_dot4c_i32_i8_e32 v159, v76, v14
	v_and_b32_e32 v76, 0xf0f0f0f, v79
	v_dot4c_i32_i8_e32 v162, v78, v2
	v_lshrrev_b32_e32 v78, 4, v83
	v_dot4c_i32_i8_e32 v159, v76, v15
	v_and_b32_e32 v76, 0xf0f0f0f, v80
	v_and_b32_e32 v78, 0xf0f0f0f, v78
	v_dot4c_i32_i8_e32 v159, v76, v16
	v_and_b32_e32 v76, 0xf0f0f0f, v81
	v_dot4c_i32_i8_e32 v162, v78, v3
	s_waitcnt lgkmcnt(1)
	v_lshrrev_b32_e32 v78, 4, v138
	v_dot4c_i32_i8_e32 v159, v76, v17
	v_and_b32_e32 v76, 0xf0f0f0f, v82
	v_and_b32_e32 v78, 0xf0f0f0f, v78
	v_dot4c_i32_i8_e32 v159, v76, v10
	v_and_b32_e32 v76, 0xf0f0f0f, v83
	v_dot4c_i32_i8_e32 v162, v78, v4
	v_lshrrev_b32_e32 v78, 4, v139
	ds_read2_b32 v[82:83], v118 offset1:1
	v_and_b32_e32 v78, 0xf0f0f0f, v78
	v_dot4c_i32_i8_e32 v162, v78, v5
	s_waitcnt lgkmcnt(1)
	v_and_b32_e32 v78, 0xf0f0f0f, v140
	v_lshrrev_b32_e32 v140, 4, v140
	v_mov_b32_e32 v79, 0
	v_and_b32_e32 v140, 0xf0f0f0f, v140
	v_mov_b32_e32 v149, 0
	v_dot4c_i32_i8_e32 v159, v76, v11
	v_and_b32_e32 v144, 0xf0f0f0f, v138
	v_dot4c_i32_i8_e32 v79, v78, v14
	v_and_b32_e32 v78, 0xf0f0f0f, v141
	v_dot4c_i32_i8_e32 v149, v140, v6
	v_lshrrev_b32_e32 v140, 4, v141
	v_dot4c_i32_i8_e32 v159, v144, v12
	v_and_b32_e32 v144, 0xf0f0f0f, v139
	v_dot4c_i32_i8_e32 v79, v78, v15
	s_waitcnt lgkmcnt(0)
	v_and_b32_e32 v78, 0xf0f0f0f, v82
	v_and_b32_e32 v140, 0xf0f0f0f, v140
	v_lshrrev_b32_e32 v82, 4, v82
	ds_read2_b32 v[76:77], v97 offset1:2
	v_dot4c_i32_i8_e32 v159, v144, v13
	ds_read2_b32 v[138:139], v119 offset1:1
	ds_read2_b32 v[144:145], v120 offset1:1
	ds_read2_b32 v[146:147], v121 offset1:1
	v_dot4c_i32_i8_e32 v149, v140, v7
	v_and_b32_e32 v82, 0xf0f0f0f, v82
	v_dot4c_i32_i8_e32 v149, v82, v8
	v_lshrrev_b32_e32 v82, 4, v83
	v_and_b32_e32 v82, 0xf0f0f0f, v82
	v_dot4c_i32_i8_e32 v149, v82, v9
	s_waitcnt lgkmcnt(2)
	v_lshrrev_b32_e32 v82, 4, v138
	v_and_b32_e32 v82, 0xf0f0f0f, v82
	v_dot4c_i32_i8_e32 v79, v78, v16
	v_and_b32_e32 v78, 0xf0f0f0f, v83
	v_dot4c_i32_i8_e32 v149, v82, v2
	v_lshrrev_b32_e32 v82, 4, v139
	v_dot4c_i32_i8_e32 v79, v78, v17
	v_and_b32_e32 v78, 0xf0f0f0f, v138
	ds_read2_b32 v[80:81], v99 offset1:2
	v_and_b32_e32 v82, 0xf0f0f0f, v82
	s_waitcnt lgkmcnt(1)
	v_and_b32_e32 v138, 0xf0f0f0f, v146
	v_mov_b32_e32 v164, 0
	v_dot4c_i32_i8_e32 v79, v78, v10
	v_and_b32_e32 v78, 0xf0f0f0f, v139
	v_dot4c_i32_i8_e32 v149, v82, v3
	v_lshrrev_b32_e32 v82, 4, v144
	v_dot4c_i32_i8_e32 v164, v138, v14
	ds_read2_b32 v[138:139], v122 offset1:1
	v_and_b32_e32 v82, 0xf0f0f0f, v82
	v_dot4c_i32_i8_e32 v149, v82, v4
	v_lshrrev_b32_e32 v82, 4, v145
	v_dot4c_i32_i8_e32 v79, v78, v11
	v_and_b32_e32 v78, 0xf0f0f0f, v144
	v_and_b32_e32 v82, 0xf0f0f0f, v82
	;; [unrolled: 1-line block ×3, first 2 shown]
	v_dot4c_i32_i8_e32 v79, v78, v12
	v_and_b32_e32 v78, 0xf0f0f0f, v145
	v_dot4c_i32_i8_e32 v149, v82, v5
	s_waitcnt lgkmcnt(1)
	v_bfe_u32 v82, v80, 8, 8
	v_dot4c_i32_i8_e32 v164, v14, v15
	ds_read2_b32 v[14:15], v123 offset1:1
	ds_read2_b32 v[140:141], v124 offset1:1
	;; [unrolled: 1-line block ×3, first 2 shown]
	v_mul_lo_u32 v82, v149, v82
	s_waitcnt lgkmcnt(3)
	v_and_b32_e32 v149, 0xf0f0f0f, v138
	v_dot4c_i32_i8_e32 v164, v149, v16
	v_and_b32_e32 v16, 0xf0f0f0f, v139
	v_dot4c_i32_i8_e32 v164, v16, v17
	s_waitcnt lgkmcnt(2)
	v_and_b32_e32 v16, 0xf0f0f0f, v14
	v_dot4c_i32_i8_e32 v164, v16, v10
	v_and_b32_e32 v10, 0xf0f0f0f, v15
	v_dot4c_i32_i8_e32 v164, v10, v11
	;; [unrolled: 5-line block ×3, first 2 shown]
	v_lshrrev_b32_e32 v10, 4, v146
	v_and_b32_e32 v10, 0xf0f0f0f, v10
	v_mov_b32_e32 v165, 0
	v_dot4c_i32_i8_e32 v165, v10, v6
	v_lshrrev_b32_e32 v6, 4, v147
	v_and_b32_e32 v6, 0xf0f0f0f, v6
	v_dot4c_i32_i8_e32 v165, v6, v7
	v_lshrrev_b32_e32 v6, 4, v138
	v_and_b32_e32 v6, 0xf0f0f0f, v6
	;; [unrolled: 3-line block ×6, first 2 shown]
	v_dot4c_i32_i8_e32 v79, v78, v13
	v_dot4c_i32_i8_e32 v165, v2, v4
	v_lshrrev_b32_e32 v2, 4, v141
	ds_read_b128 v[6:9], v90 offset:64
	ds_read_b128 v[10:13], v90 offset:80
	;; [unrolled: 1-line block ×4, first 2 shown]
	ds_read2_b32 v[146:147], v112 offset0:10 offset1:11
	v_and_b32_e32 v2, 0xf0f0f0f, v2
	v_dot4c_i32_i8_e32 v165, v2, v5
	v_cvt_f32_f16_e32 v2, v148
	v_cvt_f32_f16_sdwa v4, v148 dst_sel:DWORD dst_unused:UNUSED_PAD src0_sel:WORD_1
	v_and_b32_e32 v3, 0xf0f0f0f, v142
	v_mov_b32_e32 v166, 0
	ds_read_b32 v167, v95
	ds_read2_b32 v[148:149], v112 offset0:12 offset1:13
	ds_read2_b32 v[150:151], v112 offset0:14 offset1:15
	s_waitcnt lgkmcnt(7)
	v_dot4c_i32_i8_e32 v166, v3, v6
	v_and_b32_e32 v3, 0xf0f0f0f, v143
	v_dot4c_i32_i8_e32 v166, v3, v7
	s_waitcnt lgkmcnt(3)
	v_and_b32_e32 v3, 0xf0f0f0f, v146
	v_dot4c_i32_i8_e32 v166, v3, v8
	v_and_b32_e32 v3, 0xf0f0f0f, v147
	v_dot4c_i32_i8_e32 v166, v3, v9
	s_waitcnt lgkmcnt(1)
	v_and_b32_e32 v3, 0xf0f0f0f, v148
	;; [unrolled: 5-line block ×3, first 2 shown]
	v_dot4c_i32_i8_e32 v166, v3, v12
	v_and_b32_e32 v3, 0xf0f0f0f, v151
	v_dot4c_i32_i8_e32 v166, v3, v13
	v_lshrrev_b32_e32 v3, 4, v142
	v_and_b32_e32 v3, 0xf0f0f0f, v3
	v_mov_b32_e32 v168, 0
	v_dot4c_i32_i8_e32 v168, v3, v14
	v_lshrrev_b32_e32 v3, 4, v143
	v_and_b32_e32 v3, 0xf0f0f0f, v3
	v_dot4c_i32_i8_e32 v168, v3, v15
	v_lshrrev_b32_e32 v3, 4, v146
	v_and_b32_e32 v3, 0xf0f0f0f, v3
	;; [unrolled: 3-line block ×6, first 2 shown]
	ds_read2_b32 v[142:143], v126 offset1:1
	v_dot4c_i32_i8_e32 v168, v3, v140
	v_lshrrev_b32_e32 v3, 4, v151
	v_and_b32_e32 v3, 0xf0f0f0f, v3
	v_dot4c_i32_i8_e32 v168, v3, v141
	v_and_b32_e32 v3, 0xf0f0f0f, v144
	v_mov_b32_e32 v169, 0
	v_dot4c_i32_i8_e32 v169, v3, v6
	v_and_b32_e32 v3, 0xf0f0f0f, v145
	ds_read2_b32 v[146:147], v127 offset1:1
	ds_read2_b32 v[148:149], v128 offset1:1
	ds_read2_b32 v[150:151], v129 offset1:1
	v_dot4c_i32_i8_e32 v169, v3, v7
	s_waitcnt lgkmcnt(3)
	v_and_b32_e32 v3, 0xf0f0f0f, v142
	v_dot4c_i32_i8_e32 v169, v3, v8
	v_and_b32_e32 v3, 0xf0f0f0f, v143
	v_dot4c_i32_i8_e32 v169, v3, v9
	s_waitcnt lgkmcnt(2)
	v_and_b32_e32 v3, 0xf0f0f0f, v146
	v_dot4c_i32_i8_e32 v169, v3, v10
	v_and_b32_e32 v3, 0xf0f0f0f, v147
	;; [unrolled: 5-line block ×3, first 2 shown]
	v_dot4c_i32_i8_e32 v169, v3, v13
	v_lshrrev_b32_e32 v3, 4, v144
	v_and_b32_e32 v3, 0xf0f0f0f, v3
	v_mov_b32_e32 v170, 0
	v_dot4c_i32_i8_e32 v170, v3, v14
	v_lshrrev_b32_e32 v3, 4, v145
	v_and_b32_e32 v3, 0xf0f0f0f, v3
	v_dot4c_i32_i8_e32 v170, v3, v15
	v_lshrrev_b32_e32 v3, 4, v142
	v_and_b32_e32 v3, 0xf0f0f0f, v3
	;; [unrolled: 3-line block ×6, first 2 shown]
	ds_read2_b32 v[142:143], v130 offset1:1
	v_dot4c_i32_i8_e32 v170, v3, v140
	v_lshrrev_b32_e32 v3, 4, v149
	v_and_b32_e32 v3, 0xf0f0f0f, v3
	v_dot4c_i32_i8_e32 v170, v3, v141
	s_waitcnt lgkmcnt(1)
	v_and_b32_e32 v3, 0xf0f0f0f, v150
	v_mov_b32_e32 v5, 0
	v_dot4c_i32_i8_e32 v5, v3, v6
	v_and_b32_e32 v3, 0xf0f0f0f, v151
	ds_read2_b32 v[144:145], v131 offset1:1
	ds_read2_b32 v[146:147], v132 offset1:1
	;; [unrolled: 1-line block ×3, first 2 shown]
	v_dot4c_i32_i8_e32 v5, v3, v7
	s_waitcnt lgkmcnt(3)
	v_and_b32_e32 v3, 0xf0f0f0f, v142
	v_dot4c_i32_i8_e32 v5, v3, v8
	v_and_b32_e32 v3, 0xf0f0f0f, v143
	v_dot4c_i32_i8_e32 v5, v3, v9
	s_waitcnt lgkmcnt(2)
	v_and_b32_e32 v3, 0xf0f0f0f, v144
	v_dot4c_i32_i8_e32 v5, v3, v10
	v_and_b32_e32 v3, 0xf0f0f0f, v145
	v_dot4c_i32_i8_e32 v5, v3, v11
	s_waitcnt lgkmcnt(1)
	v_and_b32_e32 v3, 0xf0f0f0f, v146
	v_dot4c_i32_i8_e32 v5, v3, v12
	v_and_b32_e32 v3, 0xf0f0f0f, v147
	v_dot4c_i32_i8_e32 v5, v3, v13
	v_bfe_u32 v3, v80, 16, 8
	v_lshrrev_b32_e32 v163, 24, v80
	v_and_b32_e32 v78, 0xff, v80
	v_mul_lo_u32 v3, v5, v3
	v_cvt_f32_i32_e32 v152, v3
	v_lshrrev_b32_e32 v3, 4, v150
	v_and_b32_e32 v3, 0xf0f0f0f, v3
	v_mov_b32_e32 v80, 0
	v_dot4c_i32_i8_e32 v80, v3, v14
	v_lshrrev_b32_e32 v3, 4, v151
	v_and_b32_e32 v3, 0xf0f0f0f, v3
	v_dot4c_i32_i8_e32 v80, v3, v15
	v_lshrrev_b32_e32 v3, 4, v142
	v_and_b32_e32 v3, 0xf0f0f0f, v3
	;; [unrolled: 3-line block ×6, first 2 shown]
	v_dot4c_i32_i8_e32 v80, v3, v140
	v_lshrrev_b32_e32 v3, 4, v147
	ds_read2_b32 v[150:151], v134 offset1:1
	v_and_b32_e32 v3, 0xf0f0f0f, v3
	v_dot4c_i32_i8_e32 v80, v3, v141
	s_waitcnt lgkmcnt(1)
	v_and_b32_e32 v3, 0xf0f0f0f, v148
	v_mov_b32_e32 v5, 0
	v_dot4c_i32_i8_e32 v5, v3, v6
	v_and_b32_e32 v3, 0xf0f0f0f, v149
	v_dot4c_i32_i8_e32 v5, v3, v7
	ds_read2_b32 v[6:7], v135 offset1:1
	ds_read2_b32 v[154:155], v136 offset1:1
	s_waitcnt lgkmcnt(2)
	v_and_b32_e32 v3, 0xf0f0f0f, v150
	v_dot4c_i32_i8_e32 v5, v3, v8
	v_and_b32_e32 v3, 0xf0f0f0f, v151
	v_dot4c_i32_i8_e32 v5, v3, v9
	ds_read2_b32 v[8:9], v101 offset1:2
	s_waitcnt lgkmcnt(2)
	v_and_b32_e32 v3, 0xf0f0f0f, v6
	v_dot4c_i32_i8_e32 v5, v3, v10
	v_and_b32_e32 v3, 0xf0f0f0f, v7
	v_dot4c_i32_i8_e32 v5, v3, v11
	s_waitcnt lgkmcnt(1)
	v_and_b32_e32 v3, 0xf0f0f0f, v154
	v_dot4c_i32_i8_e32 v5, v3, v12
	v_and_b32_e32 v3, 0xf0f0f0f, v155
	v_dot4c_i32_i8_e32 v5, v3, v13
	s_waitcnt lgkmcnt(0)
	v_and_b32_e32 v3, 0xff, v8
	v_bfe_u32 v10, v8, 16, 8
	v_mul_lo_u32 v3, v164, v3
	v_mul_lo_u32 v5, v5, v10
	v_cvt_f32_i32_e32 v10, v3
	v_lshrrev_b32_e32 v3, 4, v148
	v_cvt_f32_i32_e32 v11, v5
	v_and_b32_e32 v3, 0xf0f0f0f, v3
	v_mov_b32_e32 v5, 0
	v_dot4c_i32_i8_e32 v5, v3, v14
	v_lshrrev_b32_e32 v3, 4, v149
	v_and_b32_e32 v3, 0xf0f0f0f, v3
	v_dot4c_i32_i8_e32 v5, v3, v15
	v_lshrrev_b32_e32 v3, 4, v150
	v_and_b32_e32 v3, 0xf0f0f0f, v3
	;; [unrolled: 3-line block ×7, first 2 shown]
	v_dot4c_i32_i8_e32 v5, v3, v141
	v_lshrrev_b32_e32 v3, 24, v8
	v_bfe_u32 v6, v8, 8, 8
	v_cvt_f32_f16_e32 v143, v20
	v_cvt_f32_f16_e32 v142, v18
	v_mul_lo_u32 v6, v165, v6
	v_mul_lo_u32 v3, v5, v3
	v_cvt_f32_f16_sdwa v145, v20 dst_sel:DWORD dst_unused:UNUSED_PAD src0_sel:WORD_1
	v_cvt_f32_f16_sdwa v144, v18 dst_sel:DWORD dst_unused:UNUSED_PAD src0_sel:WORD_1
	v_cvt_f32_f16_e32 v147, v21
	v_cvt_f32_f16_e32 v146, v19
	v_cvt_f32_i32_e32 v7, v3
	v_cvt_f32_i32_e32 v6, v6
	v_cvt_f32_f16_sdwa v13, v21 dst_sel:DWORD dst_unused:UNUSED_PAD src0_sel:WORD_1
	v_cvt_f32_f16_sdwa v12, v19 dst_sel:DWORD dst_unused:UNUSED_PAD src0_sel:WORD_1
	v_pk_fma_f32 v[10:11], v[142:143], v[10:11], 0 op_sel_hi:[1,1,0]
	v_cvt_f32_ubyte2_e32 v15, v9
	v_cvt_f32_ubyte0_e32 v14, v9
	v_pk_fma_f32 v[14:15], v[144:145], v[14:15], 0 op_sel_hi:[1,1,0]
	v_pk_fma_f32 v[6:7], v[146:147], v[6:7], v[10:11]
	v_cvt_f32_ubyte3_e32 v11, v9
	v_cvt_f32_ubyte1_e32 v10, v9
	v_pk_fma_f32 v[8:9], v[12:13], v[10:11], v[14:15]
	v_and_b32_e32 v156, 0xff, v74
	v_and_b32_e32 v161, 0xff, v76
	v_pk_mul_f32 v[4:5], v[8:9], v[4:5] op_sel_hi:[1,0]
	v_bfe_u32 v8, v76, 8, 8
	v_pk_fma_f32 v[2:3], v[6:7], v[2:3], v[4:5] op_sel_hi:[1,0,1] neg_lo:[0,0,1] neg_hi:[0,0,1]
	v_mul_lo_u32 v4, v137, v156
	v_mul_lo_u32 v5, v159, v161
	v_bfe_u32 v9, v74, 8, 8
	v_cvt_f32_i32_e32 v5, v5
	v_cvt_f32_i32_e32 v4, v4
	v_mul_lo_u32 v10, v157, v9
	v_mul_lo_u32 v8, v162, v8
	v_cvt_f32_i32_e32 v9, v8
	v_cvt_f32_i32_e32 v8, v10
	v_cvt_f32_f16_sdwa v17, v158 dst_sel:DWORD dst_unused:UNUSED_PAD src0_sel:WORD_1
	v_cvt_f32_f16_sdwa v16, v167 dst_sel:DWORD dst_unused:UNUSED_PAD src0_sel:WORD_1
	v_bfe_u32 v18, v76, 16, 8
	v_bfe_u32 v19, v74, 16, 8
	v_lshrrev_b32_e32 v153, 24, v74
	v_lshrrev_b32_e32 v160, 24, v76
	v_cvt_f32_ubyte0_e32 v7, v77
	v_cvt_f32_ubyte0_e32 v6, v75
	v_cvt_f32_f16_e32 v15, v158
	v_cvt_f32_f16_e32 v14, v167
	v_mul_lo_u32 v20, v166, v19
	v_mul_lo_u32 v18, v169, v18
	v_cvt_f32_ubyte1_e32 v11, v77
	v_cvt_f32_ubyte1_e32 v10, v75
	v_cvt_f32_i32_e32 v19, v18
	v_cvt_f32_i32_e32 v18, v20
	v_mul_lo_u32 v74, v168, v153
	v_mul_lo_u32 v76, v170, v160
	v_pk_fma_f32 v[6:7], v[144:145], v[6:7], 0 op_sel_hi:[0,1,0]
	v_cvt_f32_i32_e32 v139, v76
	v_cvt_f32_i32_e32 v138, v74
	v_pk_fma_f32 v[4:5], v[142:143], v[4:5], 0 op_sel_hi:[0,1,0]
	v_pk_fma_f32 v[6:7], v[12:13], v[10:11], v[6:7] op_sel_hi:[0,1,1]
	;; [unrolled: 1-line block ×3, first 2 shown]
	v_pk_mul_f32 v[6:7], v[6:7], v[16:17]
	v_cvt_f32_ubyte2_e32 v21, v77
	v_pk_fma_f32 v[4:5], v[4:5], v[14:15], v[6:7] neg_lo:[0,0,1] neg_hi:[0,0,1]
	v_mov_b32_e32 v6, v143
	v_cvt_f32_ubyte2_e32 v20, v75
	v_pk_fma_f32 v[6:7], v[6:7], v[18:19], 0 op_sel_hi:[0,1,0]
	v_mov_b32_e32 v8, v145
	v_mov_b32_e32 v10, v147
	v_cvt_f32_ubyte3_e32 v77, v77
	v_cvt_f32_ubyte3_e32 v76, v75
	v_pk_fma_f32 v[8:9], v[8:9], v[20:21], 0 op_sel_hi:[0,1,0]
	v_pk_fma_f32 v[6:7], v[10:11], v[138:139], v[6:7] op_sel_hi:[0,1,1]
	v_mov_b32_e32 v10, v13
	v_mul_lo_u32 v78, v79, v78
	v_pk_fma_f32 v[8:9], v[10:11], v[76:77], v[8:9] op_sel_hi:[0,1,1]
	v_cvt_f32_i32_e32 v78, v78
	v_pk_mul_f32 v[8:9], v[8:9], v[16:17]
	v_cvt_f32_i32_e32 v82, v82
	v_pk_add_f32 v[4:5], v[22:23], v[4:5]
	v_pk_fma_f32 v[6:7], v[6:7], v[14:15], v[8:9] neg_lo:[0,0,1] neg_hi:[0,0,1]
	v_cvt_f32_ubyte0_e32 v79, v81
	v_pk_add_f32 v[22:23], v[4:5], v[6:7]
	v_cvt_f32_f16_sdwa v7, v25 dst_sel:DWORD dst_unused:UNUSED_PAD src0_sel:WORD_1
	v_mul_lo_u32 v4, v80, v163
	v_cvt_f32_f16_e32 v6, v25
	v_mov_b32_e32 v8, v142
	v_mov_b32_e32 v9, v144
	v_cvt_f32_ubyte1_e32 v83, v81
	v_cvt_f32_i32_e32 v4, v4
	v_pk_fma_f32 v[8:9], v[8:9], v[78:79], 0 op_sel_hi:[1,1,0]
	v_mov_b32_e32 v10, v146
	v_mov_b32_e32 v11, v12
	v_pk_fma_f32 v[8:9], v[10:11], v[82:83], v[8:9]
	v_cvt_f32_ubyte2_e32 v153, v81
	v_mul_f32_e32 v10, v9, v7
	v_mov_b32_e32 v144, v143
	v_cvt_f32_ubyte3_e32 v5, v81
	v_pk_fma_f32 v[8:9], v[8:9], v[6:7], v[10:11] op_sel_hi:[1,1,0] neg_lo:[0,0,1] neg_hi:[0,0,1]
	v_pk_fma_f32 v[10:11], v[144:145], v[152:153], 0 op_sel_hi:[1,1,0]
	v_mov_b32_e32 v12, v147
	v_pk_fma_f32 v[4:5], v[12:13], v[4:5], v[10:11]
	v_mov_b32_e32 v9, v2
	v_mul_f32_e32 v10, v5, v7
	v_pk_fma_f32 v[4:5], v[4:5], v[6:7], v[10:11] op_sel_hi:[1,1,0] neg_lo:[0,0,1] neg_hi:[0,0,1]
	v_pk_add_f32 v[6:7], v[30:31], v[8:9]
	v_mov_b32_e32 v5, v3
	v_pk_add_f32 v[30:31], v[6:7], v[4:5]
	s_cmp_ge_i32 s14, s15
	s_barrier
	s_cbranch_scc1 .LBB231_5
; %bb.12:                               ;   in Loop: Header=BB231_6 Depth=1
	v_cmp_gt_i32_e64 s[2:3], s5, v96
	s_and_b64 s[20:21], s[0:1], s[2:3]
	s_and_saveexec_b64 s[2:3], s[20:21]
	s_cbranch_execz .LBB231_14
; %bb.13:                               ;   in Loop: Header=BB231_6 Depth=1
	v_add_u32_e32 v2, v32, v96
	v_mad_i64_i32 v[2:3], s[20:21], v2, 36, v[26:27]
	global_load_dword v2, v[2:3], off offset:4
	s_waitcnt vmcnt(0)
	ds_write_b32 v91, v2
.LBB231_14:                             ;   in Loop: Header=BB231_6 Depth=1
	s_or_b64 exec, exec, s[2:3]
	s_and_saveexec_b64 s[20:21], vcc
	s_cbranch_execz .LBB231_4
; %bb.15:                               ;   in Loop: Header=BB231_6 Depth=1
	v_add_u32_e32 v2, 4, v24
	v_cmp_gt_i32_e64 s[2:3], s5, v2
	s_and_b64 s[2:3], s[0:1], s[2:3]
	s_and_b64 exec, exec, s[2:3]
	s_cbranch_execz .LBB231_4
; %bb.16:                               ;   in Loop: Header=BB231_6 Depth=1
	v_ashrrev_i32_e32 v25, 31, v24
	v_lshl_add_u64 v[2:3], v[32:33], 0, v[24:25]
	v_mad_u64_u32 v[4:5], s[2:3], v2, 36, s[10:11]
	v_mad_i32_i24 v5, v3, 36, v5
	global_load_dword v2, v[4:5], off offset:144
	s_waitcnt vmcnt(0)
	ds_write_b32 v103, v2
	s_branch .LBB231_4
.LBB231_17:
	s_mul_i32 s0, s7, s4
	s_waitcnt vmcnt(0)
	v_cmp_gt_i32_e32 vcc, s0, v1
	s_and_saveexec_b64 s[0:1], vcc
	s_cbranch_execz .LBB231_26
; %bb.18:
	v_and_b32_e32 v0, 0x3ff, v0
	v_add_u32_e32 v2, s22, v0
	v_mul_lo_u32 v0, v1, s6
	v_cmp_gt_u32_e32 vcc, s6, v2
	s_and_saveexec_b64 s[0:1], vcc
	s_cbranch_execz .LBB231_20
; %bb.19:
	v_bfe_u32 v1, v22, 16, 1
	s_movk_i32 s2, 0x7fff
	v_add3_u32 v1, v22, v1, s2
	v_cmp_o_f32_e32 vcc, v22, v22
	v_mov_b32_e32 v3, 0x7fc0
	v_add_u32_e32 v4, v0, v2
	v_mov_b32_e32 v5, 0
	v_cndmask_b32_sdwa v1, v3, v1, vcc dst_sel:DWORD dst_unused:UNUSED_PAD src0_sel:DWORD src1_sel:WORD_1
	v_lshl_add_u64 v[4:5], v[4:5], 1, s[12:13]
	global_store_short v[4:5], v1, off
.LBB231_20:
	s_or_b64 exec, exec, s[0:1]
	v_add_u32_e32 v1, 32, v2
	v_cmp_gt_u32_e32 vcc, s6, v1
	s_and_saveexec_b64 s[0:1], vcc
	s_cbranch_execz .LBB231_22
; %bb.21:
	v_bfe_u32 v3, v23, 16, 1
	s_movk_i32 s2, 0x7fff
	v_add3_u32 v3, v23, v3, s2
	v_cmp_o_f32_e32 vcc, v23, v23
	v_mov_b32_e32 v4, 0x7fc0
	v_mov_b32_e32 v5, 0
	v_cndmask_b32_sdwa v3, v4, v3, vcc dst_sel:DWORD dst_unused:UNUSED_PAD src0_sel:DWORD src1_sel:WORD_1
	v_add_u32_e32 v4, v0, v1
	v_lshl_add_u64 v[4:5], v[4:5], 1, s[12:13]
	global_store_short v[4:5], v3, off
.LBB231_22:
	s_or_b64 exec, exec, s[0:1]
	v_add_u32_e32 v1, 64, v2
	v_cmp_gt_u32_e32 vcc, s6, v1
	s_and_saveexec_b64 s[0:1], vcc
	s_cbranch_execz .LBB231_24
; %bb.23:
	v_bfe_u32 v3, v30, 16, 1
	s_movk_i32 s2, 0x7fff
	v_add3_u32 v3, v30, v3, s2
	v_cmp_o_f32_e32 vcc, v30, v30
	v_mov_b32_e32 v4, 0x7fc0
	v_mov_b32_e32 v5, 0
	v_cndmask_b32_sdwa v3, v4, v3, vcc dst_sel:DWORD dst_unused:UNUSED_PAD src0_sel:DWORD src1_sel:WORD_1
	v_add_u32_e32 v4, v0, v1
	v_lshl_add_u64 v[4:5], v[4:5], 1, s[12:13]
	global_store_short v[4:5], v3, off
.LBB231_24:
	s_or_b64 exec, exec, s[0:1]
	v_add_u32_e32 v1, 0x60, v2
	v_cmp_gt_u32_e32 vcc, s6, v1
	s_and_b64 exec, exec, vcc
	s_cbranch_execz .LBB231_26
; %bb.25:
	v_bfe_u32 v2, v31, 16, 1
	s_movk_i32 s0, 0x7fff
	v_add3_u32 v2, v31, v2, s0
	v_cmp_o_f32_e32 vcc, v31, v31
	v_mov_b32_e32 v3, 0x7fc0
	v_add_u32_e32 v0, v0, v1
	v_mov_b32_e32 v1, 0
	v_cndmask_b32_sdwa v2, v3, v2, vcc dst_sel:DWORD dst_unused:UNUSED_PAD src0_sel:DWORD src1_sel:WORD_1
	v_lshl_add_u64 v[0:1], v[0:1], 1, s[12:13]
	global_store_short v[0:1], v2, off
.LBB231_26:
	s_endpgm
	.section	.rodata,"a",@progbits
	.p2align	6, 0x0
	.amdhsa_kernel _ZL8moe_q4_KIN3c108BFloat16ELb0EEvPKvS3_PT_PKiS7_S7_iiiiiii
		.amdhsa_group_segment_fixed_size 20688
		.amdhsa_private_segment_fixed_size 0
		.amdhsa_kernarg_size 76
		.amdhsa_user_sgpr_count 2
		.amdhsa_user_sgpr_dispatch_ptr 0
		.amdhsa_user_sgpr_queue_ptr 0
		.amdhsa_user_sgpr_kernarg_segment_ptr 1
		.amdhsa_user_sgpr_dispatch_id 0
		.amdhsa_user_sgpr_kernarg_preload_length 0
		.amdhsa_user_sgpr_kernarg_preload_offset 0
		.amdhsa_user_sgpr_private_segment_size 0
		.amdhsa_uses_dynamic_stack 0
		.amdhsa_enable_private_segment 0
		.amdhsa_system_sgpr_workgroup_id_x 1
		.amdhsa_system_sgpr_workgroup_id_y 1
		.amdhsa_system_sgpr_workgroup_id_z 0
		.amdhsa_system_sgpr_workgroup_info 0
		.amdhsa_system_vgpr_workitem_id 1
		.amdhsa_next_free_vgpr 171
		.amdhsa_next_free_sgpr 75
		.amdhsa_accum_offset 172
		.amdhsa_reserve_vcc 1
		.amdhsa_float_round_mode_32 0
		.amdhsa_float_round_mode_16_64 0
		.amdhsa_float_denorm_mode_32 3
		.amdhsa_float_denorm_mode_16_64 3
		.amdhsa_dx10_clamp 1
		.amdhsa_ieee_mode 1
		.amdhsa_fp16_overflow 0
		.amdhsa_tg_split 0
		.amdhsa_exception_fp_ieee_invalid_op 0
		.amdhsa_exception_fp_denorm_src 0
		.amdhsa_exception_fp_ieee_div_zero 0
		.amdhsa_exception_fp_ieee_overflow 0
		.amdhsa_exception_fp_ieee_underflow 0
		.amdhsa_exception_fp_ieee_inexact 0
		.amdhsa_exception_int_div_zero 0
	.end_amdhsa_kernel
	.section	.text._ZL8moe_q4_KIN3c108BFloat16ELb0EEvPKvS3_PT_PKiS7_S7_iiiiiii,"axG",@progbits,_ZL8moe_q4_KIN3c108BFloat16ELb0EEvPKvS3_PT_PKiS7_S7_iiiiiii,comdat
.Lfunc_end231:
	.size	_ZL8moe_q4_KIN3c108BFloat16ELb0EEvPKvS3_PT_PKiS7_S7_iiiiiii, .Lfunc_end231-_ZL8moe_q4_KIN3c108BFloat16ELb0EEvPKvS3_PT_PKiS7_S7_iiiiiii
                                        ; -- End function
	.set _ZL8moe_q4_KIN3c108BFloat16ELb0EEvPKvS3_PT_PKiS7_S7_iiiiiii.num_vgpr, 171
	.set _ZL8moe_q4_KIN3c108BFloat16ELb0EEvPKvS3_PT_PKiS7_S7_iiiiiii.num_agpr, 0
	.set _ZL8moe_q4_KIN3c108BFloat16ELb0EEvPKvS3_PT_PKiS7_S7_iiiiiii.numbered_sgpr, 27
	.set _ZL8moe_q4_KIN3c108BFloat16ELb0EEvPKvS3_PT_PKiS7_S7_iiiiiii.num_named_barrier, 0
	.set _ZL8moe_q4_KIN3c108BFloat16ELb0EEvPKvS3_PT_PKiS7_S7_iiiiiii.private_seg_size, 0
	.set _ZL8moe_q4_KIN3c108BFloat16ELb0EEvPKvS3_PT_PKiS7_S7_iiiiiii.uses_vcc, 1
	.set _ZL8moe_q4_KIN3c108BFloat16ELb0EEvPKvS3_PT_PKiS7_S7_iiiiiii.uses_flat_scratch, 0
	.set _ZL8moe_q4_KIN3c108BFloat16ELb0EEvPKvS3_PT_PKiS7_S7_iiiiiii.has_dyn_sized_stack, 0
	.set _ZL8moe_q4_KIN3c108BFloat16ELb0EEvPKvS3_PT_PKiS7_S7_iiiiiii.has_recursion, 0
	.set _ZL8moe_q4_KIN3c108BFloat16ELb0EEvPKvS3_PT_PKiS7_S7_iiiiiii.has_indirect_call, 0
	.section	.AMDGPU.csdata,"",@progbits
; Kernel info:
; codeLenInByte = 9988
; TotalNumSgprs: 33
; NumVgprs: 171
; NumAgprs: 0
; TotalNumVgprs: 171
; ScratchSize: 0
; MemoryBound: 0
; FloatMode: 240
; IeeeMode: 1
; LDSByteSize: 20688 bytes/workgroup (compile time only)
; SGPRBlocks: 10
; VGPRBlocks: 21
; NumSGPRsForWavesPerEU: 81
; NumVGPRsForWavesPerEU: 171
; AccumOffset: 172
; Occupancy: 2
; WaveLimiterHint : 1
; COMPUTE_PGM_RSRC2:SCRATCH_EN: 0
; COMPUTE_PGM_RSRC2:USER_SGPR: 2
; COMPUTE_PGM_RSRC2:TRAP_HANDLER: 0
; COMPUTE_PGM_RSRC2:TGID_X_EN: 1
; COMPUTE_PGM_RSRC2:TGID_Y_EN: 1
; COMPUTE_PGM_RSRC2:TGID_Z_EN: 0
; COMPUTE_PGM_RSRC2:TIDIG_COMP_CNT: 1
; COMPUTE_PGM_RSRC3_GFX90A:ACCUM_OFFSET: 42
; COMPUTE_PGM_RSRC3_GFX90A:TG_SPLIT: 0
	.section	.text._ZL8moe_q4_KIN3c108BFloat16ELb1EEvPKvS3_PT_PKiS7_S7_iiiiiii,"axG",@progbits,_ZL8moe_q4_KIN3c108BFloat16ELb1EEvPKvS3_PT_PKiS7_S7_iiiiiii,comdat
	.globl	_ZL8moe_q4_KIN3c108BFloat16ELb1EEvPKvS3_PT_PKiS7_S7_iiiiiii ; -- Begin function _ZL8moe_q4_KIN3c108BFloat16ELb1EEvPKvS3_PT_PKiS7_S7_iiiiiii
	.p2align	8
	.type	_ZL8moe_q4_KIN3c108BFloat16ELb1EEvPKvS3_PT_PKiS7_S7_iiiiiii,@function
_ZL8moe_q4_KIN3c108BFloat16ELb1EEvPKvS3_PT_PKiS7_S7_iiiiiii: ; @_ZL8moe_q4_KIN3c108BFloat16ELb1EEvPKvS3_PT_PKiS7_S7_iiiiiii
; %bb.0:
	s_load_dwordx4 s[4:7], s[0:1], 0x18
	s_mov_b32 s8, s3
	s_mov_b32 s9, 0
	s_lshl_b64 s[10:11], s[8:9], 2
	s_waitcnt lgkmcnt(0)
	s_add_u32 s6, s6, s10
	s_addc_u32 s7, s7, s11
	s_load_dword s3, s[6:7], 0x0
	s_waitcnt lgkmcnt(0)
	s_cmpk_gt_u32 s3, 0xff
	s_cbranch_scc1 .LBB232_26
; %bb.1:
	s_load_dwordx2 s[6:7], s[0:1], 0x28
	s_waitcnt lgkmcnt(0)
	s_load_dword s7, s[6:7], 0x0
	s_lshl_b32 s6, s8, 3
	s_waitcnt lgkmcnt(0)
	s_cmp_gt_u32 s6, s7
	s_cbranch_scc1 .LBB232_26
; %bb.2:
	v_bfe_u32 v3, v0, 10, 10
	v_mov_b32_e32 v4, s4
	v_mov_b32_e32 v5, s5
	v_add_u32_e32 v60, s6, v3
	v_mov_b32_e32 v61, 0
	v_lshl_add_u64 v[4:5], v[60:61], 2, v[4:5]
	global_load_dword v1, v[4:5], off
	s_load_dwordx8 s[4:11], s[0:1], 0x30
	s_load_dwordx2 s[16:17], s[0:1], 0x10
	s_waitcnt lgkmcnt(0)
	s_lshl_b32 s11, s2, 7
	v_mov_b32_e32 v60, v61
	v_mov_b32_e32 v25, v61
	s_cmpk_lt_i32 s5, 0x100
	v_mov_b32_e32 v24, v61
	s_cbranch_scc1 .LBB232_17
; %bb.3:
	s_ashr_i32 s2, s5, 31
	s_lshr_b32 s2, s2, 24
	s_add_i32 s2, s5, s2
	s_ashr_i32 s24, s2, 8
	s_not_b32 s2, s11
	s_add_i32 s2, s6, s2
	v_add_u32_e32 v4, 8, v3
	v_min_i32_e32 v43, s2, v4
	v_add_u32_e32 v4, 16, v3
	v_min_i32_e32 v44, s2, v4
	;; [unrolled: 2-line block ×13, first 2 shown]
	v_add_u32_e32 v4, 0x70, v3
	v_and_b32_e32 v22, 0x3ff, v0
	v_min_i32_e32 v56, s2, v4
	v_add_u32_e32 v4, 0x78, v3
	v_min_i32_e32 v58, s2, v4
	v_lshl_add_u32 v4, v3, 5, v22
	v_and_b32_e32 v4, 0x7f, v4
	v_min_i32_e32 v59, s2, v4
	v_ashrrev_i32_e32 v4, 31, v59
	v_lshrrev_b32_e32 v4, 27, v4
	v_add_u32_e32 v4, v59, v4
	v_ashrrev_i32_e32 v4, 5, v4
	v_lshlrev_b32_e32 v4, 2, v4
	v_lshlrev_b32_e32 v5, 2, v59
	s_movk_i32 s23, 0x4e40
	v_and_b32_e32 v62, 3, v0
	v_add3_u32 v116, v4, v5, s23
	v_bfe_u32 v4, v0, 2, 8
	v_add_u32_e32 v5, 0xfe, v62
	v_lshl_add_u32 v4, v3, 3, v4
	v_and_b32_e32 v5, 0xff, v5
	v_cmp_gt_u32_e32 vcc, 2, v62
	v_lshlrev_b32_e32 v7, 2, v62
	s_movk_i32 s6, 0x4200
	v_cndmask_b32_e32 v63, v5, v62, vcc
	v_and_b32_e32 v5, 0x7f, v4
	v_min_i32_e32 v65, s2, v5
	v_ashrrev_i32_e32 v5, 31, v65
	v_lshrrev_b32_e32 v5, 29, v5
	v_add_u32_e32 v5, v65, v5
	v_ashrrev_i32_e32 v5, 3, v5
	v_lshlrev_b32_e32 v5, 2, v5
	v_add3_u32 v66, v5, v7, s6
	v_mov_b32_e32 v5, 0x7f
	v_bitop3_b32 v4, v4, 64, v5 bitop3:0x6c
	v_min_i32_e32 v67, s2, v4
	v_ashrrev_i32_e32 v4, 31, v67
	v_lshrrev_b32_e32 v4, 29, v4
	v_add_u32_e32 v4, v67, v4
	v_ashrrev_i32_e32 v4, 3, v4
	v_lshlrev_b32_e32 v2, 2, v22
	v_lshlrev_b32_e32 v4, 2, v4
	v_bfe_u32 v117, v0, 3, 7
	v_add3_u32 v68, v4, v7, s6
	v_add_u32_e32 v4, v117, v2
	v_mov_b32_e32 v5, 0x4200
	v_lshl_add_u32 v118, v4, 2, v5
	v_add_u32_e32 v4, 32, v22
	v_lshrrev_b32_e32 v119, 3, v4
	v_lshl_add_u32 v4, v4, 2, v119
	v_lshl_add_u32 v120, v4, 2, v5
	v_add_u32_e32 v4, 64, v22
	v_lshrrev_b32_e32 v69, 3, v4
	v_min_i32_e32 v42, s2, v3
	v_lshl_add_u32 v4, v4, 2, v69
	s_abs_i32 s2, s10
	v_lshl_add_u32 v121, v4, 2, v5
	v_cvt_f32_u32_e32 v4, s2
	v_add_u32_e32 v7, 0x60, v22
	v_lshrrev_b32_e32 v70, 3, v7
	s_sub_i32 s6, 0, s2
	v_rcp_iflag_f32_e32 v4, v4
	v_lshl_add_u32 v7, v7, 2, v70
	v_lshl_add_u32 v122, v7, 2, v5
	s_waitcnt vmcnt(0)
	v_sub_u32_e32 v7, 0, v1
	v_mul_f32_e32 v4, 0x4f7ffffe, v4
	v_cvt_u32_f32_e32 v4, v4
	v_max_i32_e32 v7, v1, v7
	v_xor_b32_e32 v5, s10, v1
	s_mul_i32 s22, s24, s11
	v_mul_lo_u32 v9, s6, v4
	v_mul_hi_u32 v9, v4, v9
	v_add_u32_e32 v4, v4, v9
	v_mul_hi_u32 v4, v7, v4
	v_mul_lo_u32 v9, v4, s2
	v_sub_u32_e32 v7, v7, v9
	v_add_u32_e32 v9, 1, v4
	v_cmp_le_u32_e32 vcc, s2, v7
	v_ashrrev_i32_e32 v5, 31, v5
	s_mul_hi_i32 s27, s22, 0x90
	v_cndmask_b32_e32 v4, v4, v9, vcc
	v_subrev_u32_e32 v9, s2, v7
	v_cndmask_b32_e32 v7, v7, v9, vcc
	v_add_u32_e32 v9, 1, v4
	v_cmp_le_u32_e32 vcc, s2, v7
	s_mul_i32 s26, s22, 0x90
	v_bfe_u32 v23, v0, 5, 5
	v_cndmask_b32_e32 v4, v4, v9, vcc
	v_xor_b32_e32 v4, v4, v5
	v_sub_u32_e32 v71, v4, v5
	s_movk_i32 s25, 0x90
	v_mov_b64_e32 v[4:5], s[26:27]
	v_mul_lo_u32 v6, v42, s24
	v_mul_lo_u32 v8, v43, s24
	;; [unrolled: 1-line block ×16, first 2 shown]
	v_mad_u64_u32 v[4:5], s[12:13], v23, s25, v[4:5]
	v_mad_i64_i32 v[6:7], s[12:13], v6, s25, v[4:5]
	v_mad_i64_i32 v[8:9], s[12:13], v8, s25, v[4:5]
	;; [unrolled: 1-line block ×16, first 2 shown]
	s_load_dwordx4 s[12:15], s[0:1], 0x0
	s_ashr_i32 s0, s8, 31
	s_lshr_b32 s0, s0, 27
	s_add_i32 s0, s8, s0
	s_ashr_i32 s6, s0, 5
	s_mul_i32 s18, s3, s4
	v_cmp_gt_u32_e32 vcc, 4, v22
	v_cmp_gt_i32_e64 s[0:1], s7, v71
	s_ashr_i32 s19, s18, 31
	s_and_b64 s[20:21], vcc, s[0:1]
	s_waitcnt lgkmcnt(0)
	s_add_u32 s2, s12, s26
	s_addc_u32 s3, s13, s27
	v_mul_lo_u32 v26, v59, s24
	v_mov_b64_e32 v[24:25], s[2:3]
	v_mad_i64_i32 v[26:27], s[2:3], v26, s25, v[24:25]
	v_and_b32_e32 v24, 0x7c, v2
	v_mov_b32_e32 v25, 0
	v_lshl_add_u64 v[60:61], v[28:29], 0, v[24:25]
	v_cmp_ne_u32_e64 s[2:3], 0, v62
	v_mul_lo_u32 v28, v65, s24
	v_lshl_add_u64 v[6:7], v[6:7], 0, v[24:25]
	v_lshl_add_u64 v[8:9], v[8:9], 0, v[24:25]
	;; [unrolled: 1-line block ×15, first 2 shown]
	v_addc_co_u32_e64 v24, s[2:3], 0, v63, s[2:3]
	v_mad_i64_i32 v[28:29], s[2:3], v28, s25, 0
	v_mov_b32_e32 v30, 0x90
	v_mad_i64_i32 v[100:101], s[2:3], s22, v30, v[28:29]
	v_mul_lo_u32 v28, v67, s24
	v_lshlrev_b32_e32 v23, 2, v23
	v_mad_i64_i32 v[28:29], s[2:3], v28, s25, 0
	v_add3_u32 v127, v23, v2, s23
	v_and_b32_e32 v23, 60, v119
	v_mad_i64_i32 v[104:105], s[2:3], s22, v30, v[28:29]
	v_lshlrev_b32_e32 v28, 4, v65
	v_add3_u32 v128, v2, v23, s23
	v_and_b32_e32 v23, 60, v69
	v_add_u32_e32 v123, v66, v28
	v_lshlrev_b32_e32 v28, 4, v67
	s_movk_i32 s4, 0x84
	v_add3_u32 v129, v2, v23, s23
	v_and_b32_e32 v23, 60, v70
	v_and_b32_e32 v64, 4, v2
	v_add_u32_e32 v124, v68, v28
	v_cmp_lt_u32_e64 s[2:3], 1, v62
	v_add3_u32 v130, v2, v23, s23
	v_mad_u64_u32 v[28:29], s[22:23], v42, s4, v[2:3]
	v_mad_u64_u32 v[30:31], s[22:23], v43, s4, v[2:3]
	;; [unrolled: 1-line block ×16, first 2 shown]
	v_add_u32_e32 v23, 0x5050, v2
	v_and_b32_e32 v62, 28, v2
	v_mov_b32_e32 v2, 0x4a40
	v_lshl_add_u32 v29, v3, 7, v2
	v_and_b32_e32 v2, 31, v0
	v_lshl_add_u32 v31, v2, 2, v29
	v_lshlrev_b32_e32 v33, 4, v3
	v_lshl_add_u64 v[2:3], s[12:13], 0, v[6:7]
	v_lshl_add_u64 v[66:67], v[2:3], 0, 16
	;; [unrolled: 1-line block ×5, first 2 shown]
	v_cndmask_b32_e64 v125, 0, v64, s[2:3]
	v_mul_lo_u32 v64, v71, s6
	v_lshl_add_u64 v[70:71], v[2:3], 0, 16
	v_lshl_add_u64 v[2:3], s[12:13], 0, v[12:13]
	;; [unrolled: 1-line block ×27, first 2 shown]
	v_cndmask_b32_e64 v2, 0, 1, s[2:3]
	v_lshlrev_b32_e32 v4, 2, v2
	v_or_b32_e32 v2, v100, v4
	v_mov_b32_e32 v3, v101
	v_lshlrev_b32_e32 v24, 2, v24
	v_lshl_add_u64 v[2:3], s[12:13], 0, v[2:3]
	v_lshl_add_u64 v[98:99], v[2:3], 0, 4
	v_lshl_add_u64 v[2:3], v[100:101], 0, v[24:25]
	v_lshl_add_u64 v[2:3], s[12:13], 0, v[2:3]
	v_lshl_add_u64 v[100:101], v[2:3], 0, 4
	v_or_b32_e32 v2, v104, v4
	v_mov_b32_e32 v3, v105
	v_lshl_add_u64 v[2:3], s[12:13], 0, v[2:3]
	v_lshl_add_u64 v[102:103], v[2:3], 0, 4
	;; [unrolled: 1-line block ×3, first 2 shown]
	v_lshlrev_b32_e32 v126, 1, v63
	v_mov_b32_e32 v63, v25
	v_lshl_add_u64 v[2:3], s[12:13], 0, v[2:3]
	v_mul_u32_u24_e32 v37, 0x84, v22
	v_lshl_add_u64 v[62:63], s[14:15], 0, v[62:63]
	v_ashrrev_i32_e32 v65, 31, v64
	v_lshl_add_u64 v[104:105], v[2:3], 0, 4
	s_movk_i32 s4, 0x80
	s_mov_b32 s8, 0x30303030
	v_add_u32_e32 v35, v23, v33
	s_mov_b64 s[12:13], 0x90
	v_mov_b32_e32 v24, v25
	v_mov_b32_e32 v60, v25
	;; [unrolled: 1-line block ×3, first 2 shown]
	v_add_u32_e32 v39, 0x2118, v37
	v_add_u32_e32 v41, 0x3180, v37
	;; [unrolled: 1-line block ×17, first 2 shown]
	s_branch .LBB232_6
.LBB232_4:                              ;   in Loop: Header=BB232_6 Depth=1
	s_or_b64 exec, exec, s[22:23]
	s_waitcnt lgkmcnt(0)
	s_barrier
	ds_read2_b32 v[106:107], v37 offset0:16 offset1:17
	ds_read_b128 v[14:17], v29
	ds_read_b128 v[10:13], v29 offset:16
	ds_read_b128 v[6:9], v29 offset:32
	ds_read_b128 v[2:5], v29 offset:48
	ds_read_b128 v[18:21], v33 offset:20560
	ds_read2_b32 v[108:109], v37 offset0:18 offset1:19
	s_waitcnt lgkmcnt(6)
	v_and_b32_e32 v23, 0xf0f0f0f, v106
	v_mov_b32_e32 v137, 0
	s_waitcnt lgkmcnt(5)
	v_dot4c_i32_i8_e32 v137, v23, v14
	v_and_b32_e32 v23, 0xf0f0f0f, v107
	ds_read2_b32 v[110:111], v37 offset0:20 offset1:21
	ds_read2_b32 v[112:113], v37 offset0:22 offset1:23
	;; [unrolled: 1-line block ×3, first 2 shown]
	v_dot4c_i32_i8_e32 v137, v23, v15
	s_waitcnt lgkmcnt(3)
	v_and_b32_e32 v23, 0xf0f0f0f, v108
	v_dot4c_i32_i8_e32 v137, v23, v16
	v_and_b32_e32 v23, 0xf0f0f0f, v109
	v_dot4c_i32_i8_e32 v137, v23, v17
	s_waitcnt lgkmcnt(2)
	v_and_b32_e32 v23, 0xf0f0f0f, v110
	v_dot4c_i32_i8_e32 v137, v23, v10
	v_and_b32_e32 v23, 0xf0f0f0f, v111
	;; [unrolled: 5-line block ×3, first 2 shown]
	v_dot4c_i32_i8_e32 v137, v23, v13
	v_lshrrev_b32_e32 v23, 4, v106
	v_and_b32_e32 v23, 0xf0f0f0f, v23
	v_mov_b32_e32 v149, 0
	v_dot4c_i32_i8_e32 v149, v23, v6
	v_lshrrev_b32_e32 v23, 4, v107
	v_and_b32_e32 v23, 0xf0f0f0f, v23
	v_dot4c_i32_i8_e32 v149, v23, v7
	v_lshrrev_b32_e32 v23, 4, v108
	v_and_b32_e32 v23, 0xf0f0f0f, v23
	v_dot4c_i32_i8_e32 v149, v23, v8
	v_lshrrev_b32_e32 v23, 4, v109
	v_and_b32_e32 v23, 0xf0f0f0f, v23
	v_add_u32_e32 v106, 0x10c0, v37
	v_dot4c_i32_i8_e32 v149, v23, v9
	v_lshrrev_b32_e32 v23, 4, v110
	ds_read2_b32 v[106:107], v106 offset1:1
	v_and_b32_e32 v23, 0xf0f0f0f, v23
	v_dot4c_i32_i8_e32 v149, v23, v2
	v_lshrrev_b32_e32 v23, 4, v111
	v_and_b32_e32 v23, 0xf0f0f0f, v23
	v_dot4c_i32_i8_e32 v149, v23, v3
	v_lshrrev_b32_e32 v23, 4, v112
	v_and_b32_e32 v23, 0xf0f0f0f, v23
	s_waitcnt lgkmcnt(0)
	v_and_b32_e32 v108, 0xf0f0f0f, v106
	v_mov_b32_e32 v153, 0
	v_dot4c_i32_i8_e32 v149, v23, v4
	v_lshrrev_b32_e32 v23, 4, v113
	v_dot4c_i32_i8_e32 v153, v108, v14
	v_and_b32_e32 v108, 0xf0f0f0f, v107
	v_and_b32_e32 v23, 0xf0f0f0f, v23
	v_dot4c_i32_i8_e32 v153, v108, v15
	v_add_u32_e32 v108, 0x10c8, v37
	v_dot4c_i32_i8_e32 v149, v23, v5
	ds_read_b32 v152, v128 offset:128
	ds_read_b32 v23, v129 offset:256
	;; [unrolled: 1-line block ×3, first 2 shown]
	ds_read2_b32 v[108:109], v108 offset1:1
	v_lshrrev_b32_e32 v106, 4, v106
	v_and_b32_e32 v106, 0xf0f0f0f, v106
	v_mov_b32_e32 v154, 0
	v_dot4c_i32_i8_e32 v154, v106, v6
	v_lshrrev_b32_e32 v106, 4, v107
	v_and_b32_e32 v106, 0xf0f0f0f, v106
	v_add_u32_e32 v110, 0x10d0, v37
	v_add_u32_e32 v112, 0x10d8, v37
	;; [unrolled: 1-line block ×3, first 2 shown]
	v_dot4c_i32_i8_e32 v154, v106, v7
	s_waitcnt lgkmcnt(0)
	v_lshrrev_b32_e32 v106, 4, v108
	ds_read2_b32 v[110:111], v110 offset1:1
	ds_read2_b32 v[112:113], v112 offset1:1
	;; [unrolled: 1-line block ×3, first 2 shown]
	v_and_b32_e32 v106, 0xf0f0f0f, v106
	v_dot4c_i32_i8_e32 v154, v106, v8
	v_lshrrev_b32_e32 v106, 4, v109
	v_and_b32_e32 v106, 0xf0f0f0f, v106
	v_dot4c_i32_i8_e32 v154, v106, v9
	s_waitcnt lgkmcnt(2)
	v_lshrrev_b32_e32 v106, 4, v110
	v_and_b32_e32 v106, 0xf0f0f0f, v106
	v_dot4c_i32_i8_e32 v154, v106, v2
	v_lshrrev_b32_e32 v106, 4, v111
	v_and_b32_e32 v106, 0xf0f0f0f, v106
	v_dot4c_i32_i8_e32 v154, v106, v3
	s_waitcnt lgkmcnt(1)
	v_lshrrev_b32_e32 v106, 4, v112
	v_and_b32_e32 v106, 0xf0f0f0f, v106
	v_dot4c_i32_i8_e32 v154, v106, v4
	v_lshrrev_b32_e32 v106, 4, v113
	v_and_b32_e32 v106, 0xf0f0f0f, v106
	v_and_b32_e32 v140, 0xf0f0f0f, v108
	v_dot4c_i32_i8_e32 v154, v106, v5
	s_waitcnt lgkmcnt(0)
	v_and_b32_e32 v106, 0xf0f0f0f, v114
	v_mov_b32_e32 v107, 0
	v_dot4c_i32_i8_e32 v153, v140, v16
	v_and_b32_e32 v140, 0xf0f0f0f, v109
	v_dot4c_i32_i8_e32 v107, v106, v14
	v_and_b32_e32 v106, 0xf0f0f0f, v115
	v_dot4c_i32_i8_e32 v153, v140, v17
	v_and_b32_e32 v140, 0xf0f0f0f, v110
	v_dot4c_i32_i8_e32 v107, v106, v15
	v_add_u32_e32 v106, 0x2148, v37
	v_dot4c_i32_i8_e32 v153, v140, v10
	v_and_b32_e32 v140, 0xf0f0f0f, v111
	ds_read2_b32 v[110:111], v106 offset1:1
	v_lshrrev_b32_e32 v114, 4, v114
	v_dot4c_i32_i8_e32 v153, v140, v11
	v_and_b32_e32 v140, 0xf0f0f0f, v112
	v_and_b32_e32 v114, 0xf0f0f0f, v114
	v_mov_b32_e32 v145, 0
	v_dot4c_i32_i8_e32 v153, v140, v12
	v_and_b32_e32 v140, 0xf0f0f0f, v113
	v_add_u32_e32 v106, 0x2150, v37
	v_dot4c_i32_i8_e32 v145, v114, v6
	v_lshrrev_b32_e32 v114, 4, v115
	v_dot4c_i32_i8_e32 v153, v140, v13
	v_add_u32_e32 v108, 0x2158, v37
	v_add_u32_e32 v109, 0x31c0, v37
	ds_read2_b32 v[112:113], v106 offset1:1
	ds_read2_b32 v[140:141], v108 offset1:1
	;; [unrolled: 1-line block ×3, first 2 shown]
	s_waitcnt lgkmcnt(3)
	v_and_b32_e32 v106, 0xf0f0f0f, v110
	v_and_b32_e32 v114, 0xf0f0f0f, v114
	v_lshrrev_b32_e32 v110, 4, v110
	v_dot4c_i32_i8_e32 v145, v114, v7
	v_and_b32_e32 v110, 0xf0f0f0f, v110
	v_dot4c_i32_i8_e32 v145, v110, v8
	v_lshrrev_b32_e32 v110, 4, v111
	v_and_b32_e32 v110, 0xf0f0f0f, v110
	v_dot4c_i32_i8_e32 v107, v106, v16
	v_and_b32_e32 v106, 0xf0f0f0f, v111
	v_dot4c_i32_i8_e32 v145, v110, v9
	s_waitcnt lgkmcnt(2)
	v_lshrrev_b32_e32 v110, 4, v112
	v_dot4c_i32_i8_e32 v107, v106, v17
	v_and_b32_e32 v106, 0xf0f0f0f, v112
	v_and_b32_e32 v110, 0xf0f0f0f, v110
	s_waitcnt lgkmcnt(0)
	v_and_b32_e32 v112, 0xf0f0f0f, v142
	v_mov_b32_e32 v156, 0
	v_dot4c_i32_i8_e32 v145, v110, v2
	v_lshrrev_b32_e32 v110, 4, v113
	v_dot4c_i32_i8_e32 v156, v112, v14
	v_and_b32_e32 v14, 0xf0f0f0f, v143
	ds_read2_b32 v[108:109], v121 offset0:1 offset1:3
	v_and_b32_e32 v110, 0xf0f0f0f, v110
	v_dot4c_i32_i8_e32 v156, v14, v15
	v_add_u32_e32 v14, 0x31c8, v37
	v_dot4c_i32_i8_e32 v145, v110, v3
	v_lshrrev_b32_e32 v110, 4, v140
	ds_read2_b32 v[14:15], v14 offset1:1
	v_and_b32_e32 v110, 0xf0f0f0f, v110
	v_dot4c_i32_i8_e32 v107, v106, v10
	v_and_b32_e32 v106, 0xf0f0f0f, v113
	v_dot4c_i32_i8_e32 v145, v110, v4
	v_lshrrev_b32_e32 v110, 4, v141
	v_dot4c_i32_i8_e32 v107, v106, v11
	v_and_b32_e32 v106, 0xf0f0f0f, v140
	v_and_b32_e32 v110, 0xf0f0f0f, v110
	v_add_u32_e32 v112, 0x31d0, v37
	v_add_u32_e32 v114, 0x31d8, v37
	;; [unrolled: 1-line block ×3, first 2 shown]
	v_dot4c_i32_i8_e32 v107, v106, v12
	v_and_b32_e32 v106, 0xf0f0f0f, v141
	v_dot4c_i32_i8_e32 v145, v110, v5
	s_waitcnt lgkmcnt(1)
	v_bfe_u32 v110, v108, 8, 8
	ds_read2_b32 v[112:113], v112 offset1:1
	ds_read2_b32 v[114:115], v114 offset1:1
	;; [unrolled: 1-line block ×3, first 2 shown]
	v_mul_lo_u32 v110, v145, v110
	s_waitcnt lgkmcnt(3)
	v_and_b32_e32 v145, 0xf0f0f0f, v14
	v_dot4c_i32_i8_e32 v156, v145, v16
	v_and_b32_e32 v16, 0xf0f0f0f, v15
	v_dot4c_i32_i8_e32 v156, v16, v17
	s_waitcnt lgkmcnt(2)
	v_and_b32_e32 v16, 0xf0f0f0f, v112
	v_dot4c_i32_i8_e32 v156, v16, v10
	v_and_b32_e32 v10, 0xf0f0f0f, v113
	v_dot4c_i32_i8_e32 v156, v10, v11
	;; [unrolled: 5-line block ×3, first 2 shown]
	v_lshrrev_b32_e32 v10, 4, v142
	v_and_b32_e32 v10, 0xf0f0f0f, v10
	v_mov_b32_e32 v157, 0
	v_dot4c_i32_i8_e32 v157, v10, v6
	v_lshrrev_b32_e32 v6, 4, v143
	v_and_b32_e32 v6, 0xf0f0f0f, v6
	v_dot4c_i32_i8_e32 v157, v6, v7
	v_lshrrev_b32_e32 v6, 4, v14
	v_and_b32_e32 v6, 0xf0f0f0f, v6
	;; [unrolled: 3-line block ×7, first 2 shown]
	v_dot4c_i32_i8_e32 v107, v106, v13
	v_dot4c_i32_i8_e32 v157, v2, v5
	ds_read_b128 v[10:13], v29 offset:64
	ds_read_b128 v[14:17], v29 offset:80
	;; [unrolled: 1-line block ×4, first 2 shown]
	ds_read2_b32 v[142:143], v37 offset0:26 offset1:27
	v_cvt_f32_f16_e32 v6, v144
	v_cvt_f32_f16_sdwa v8, v144 dst_sel:DWORD dst_unused:UNUSED_PAD src0_sel:WORD_1
	v_and_b32_e32 v7, 0xf0f0f0f, v138
	v_mov_b32_e32 v158, 0
	ds_read_b32 v159, v127
	ds_read2_b32 v[144:145], v37 offset0:28 offset1:29
	ds_read2_b32 v[146:147], v37 offset0:30 offset1:31
	s_waitcnt lgkmcnt(7)
	v_dot4c_i32_i8_e32 v158, v7, v10
	v_and_b32_e32 v7, 0xf0f0f0f, v139
	v_dot4c_i32_i8_e32 v158, v7, v11
	s_waitcnt lgkmcnt(3)
	v_and_b32_e32 v7, 0xf0f0f0f, v142
	v_dot4c_i32_i8_e32 v158, v7, v12
	v_and_b32_e32 v7, 0xf0f0f0f, v143
	v_dot4c_i32_i8_e32 v158, v7, v13
	s_waitcnt lgkmcnt(1)
	v_and_b32_e32 v7, 0xf0f0f0f, v144
	;; [unrolled: 5-line block ×3, first 2 shown]
	v_dot4c_i32_i8_e32 v158, v7, v16
	v_and_b32_e32 v7, 0xf0f0f0f, v147
	v_dot4c_i32_i8_e32 v158, v7, v17
	v_lshrrev_b32_e32 v7, 4, v138
	v_and_b32_e32 v7, 0xf0f0f0f, v7
	v_mov_b32_e32 v160, 0
	v_dot4c_i32_i8_e32 v160, v7, v112
	v_lshrrev_b32_e32 v7, 4, v139
	v_and_b32_e32 v7, 0xf0f0f0f, v7
	v_dot4c_i32_i8_e32 v160, v7, v113
	v_lshrrev_b32_e32 v7, 4, v142
	v_and_b32_e32 v7, 0xf0f0f0f, v7
	;; [unrolled: 3-line block ×7, first 2 shown]
	v_dot4c_i32_i8_e32 v160, v7, v5
	v_and_b32_e32 v7, 0xf0f0f0f, v140
	v_mov_b32_e32 v161, 0
	v_dot4c_i32_i8_e32 v161, v7, v10
	v_and_b32_e32 v7, 0xf0f0f0f, v141
	v_dot4c_i32_i8_e32 v161, v7, v11
	v_add_u32_e32 v7, 0x10e8, v37
	ds_read2_b32 v[138:139], v7 offset1:1
	v_add_u32_e32 v7, 0x10f0, v37
	v_add_u32_e32 v146, 0x2160, v37
	;; [unrolled: 1-line block ×3, first 2 shown]
	ds_read2_b32 v[142:143], v7 offset1:1
	ds_read2_b32 v[144:145], v9 offset1:1
	;; [unrolled: 1-line block ×3, first 2 shown]
	s_waitcnt lgkmcnt(3)
	v_and_b32_e32 v7, 0xf0f0f0f, v138
	v_dot4c_i32_i8_e32 v161, v7, v12
	v_and_b32_e32 v7, 0xf0f0f0f, v139
	v_dot4c_i32_i8_e32 v161, v7, v13
	s_waitcnt lgkmcnt(2)
	v_and_b32_e32 v7, 0xf0f0f0f, v142
	v_dot4c_i32_i8_e32 v161, v7, v14
	v_and_b32_e32 v7, 0xf0f0f0f, v143
	v_dot4c_i32_i8_e32 v161, v7, v15
	;; [unrolled: 5-line block ×3, first 2 shown]
	v_lshrrev_b32_e32 v7, 4, v140
	v_and_b32_e32 v7, 0xf0f0f0f, v7
	v_mov_b32_e32 v162, 0
	v_dot4c_i32_i8_e32 v162, v7, v112
	v_lshrrev_b32_e32 v7, 4, v141
	v_and_b32_e32 v7, 0xf0f0f0f, v7
	v_dot4c_i32_i8_e32 v162, v7, v113
	v_lshrrev_b32_e32 v7, 4, v138
	v_and_b32_e32 v7, 0xf0f0f0f, v7
	v_dot4c_i32_i8_e32 v162, v7, v114
	v_lshrrev_b32_e32 v7, 4, v139
	v_and_b32_e32 v7, 0xf0f0f0f, v7
	v_dot4c_i32_i8_e32 v162, v7, v115
	v_lshrrev_b32_e32 v7, 4, v142
	v_and_b32_e32 v7, 0xf0f0f0f, v7
	v_dot4c_i32_i8_e32 v162, v7, v2
	v_lshrrev_b32_e32 v7, 4, v143
	v_and_b32_e32 v7, 0xf0f0f0f, v7
	v_dot4c_i32_i8_e32 v162, v7, v3
	v_lshrrev_b32_e32 v7, 4, v144
	v_and_b32_e32 v7, 0xf0f0f0f, v7
	v_dot4c_i32_i8_e32 v162, v7, v4
	v_lshrrev_b32_e32 v7, 4, v145
	v_and_b32_e32 v7, 0xf0f0f0f, v7
	v_dot4c_i32_i8_e32 v162, v7, v5
	s_waitcnt lgkmcnt(0)
	v_and_b32_e32 v7, 0xf0f0f0f, v146
	v_mov_b32_e32 v9, 0
	v_dot4c_i32_i8_e32 v9, v7, v10
	v_and_b32_e32 v7, 0xf0f0f0f, v147
	v_dot4c_i32_i8_e32 v9, v7, v11
	v_add_u32_e32 v7, 0x2168, v37
	ds_read2_b32 v[138:139], v7 offset1:1
	v_add_u32_e32 v7, 0x2170, v37
	v_add_u32_e32 v142, 0x2178, v37
	v_add_u32_e32 v144, 0x31e0, v37
	ds_read2_b32 v[140:141], v7 offset1:1
	ds_read2_b32 v[142:143], v142 offset1:1
	;; [unrolled: 1-line block ×3, first 2 shown]
	s_waitcnt lgkmcnt(3)
	v_and_b32_e32 v7, 0xf0f0f0f, v138
	v_dot4c_i32_i8_e32 v9, v7, v12
	v_and_b32_e32 v7, 0xf0f0f0f, v139
	v_dot4c_i32_i8_e32 v9, v7, v13
	s_waitcnt lgkmcnt(2)
	v_and_b32_e32 v7, 0xf0f0f0f, v140
	v_dot4c_i32_i8_e32 v9, v7, v14
	v_and_b32_e32 v7, 0xf0f0f0f, v141
	v_dot4c_i32_i8_e32 v9, v7, v15
	;; [unrolled: 5-line block ×3, first 2 shown]
	v_bfe_u32 v7, v108, 16, 8
	v_lshrrev_b32_e32 v155, 24, v108
	v_and_b32_e32 v106, 0xff, v108
	v_mul_lo_u32 v7, v9, v7
	v_cvt_f32_i32_e32 v148, v7
	v_lshrrev_b32_e32 v7, 4, v146
	v_and_b32_e32 v7, 0xf0f0f0f, v7
	v_mov_b32_e32 v108, 0
	v_dot4c_i32_i8_e32 v108, v7, v112
	v_lshrrev_b32_e32 v7, 4, v147
	v_and_b32_e32 v7, 0xf0f0f0f, v7
	v_dot4c_i32_i8_e32 v108, v7, v113
	v_lshrrev_b32_e32 v7, 4, v138
	v_and_b32_e32 v7, 0xf0f0f0f, v7
	;; [unrolled: 3-line block ×7, first 2 shown]
	v_dot4c_i32_i8_e32 v108, v7, v5
	s_waitcnt lgkmcnt(0)
	v_and_b32_e32 v7, 0xf0f0f0f, v144
	v_mov_b32_e32 v9, 0
	v_dot4c_i32_i8_e32 v9, v7, v10
	v_and_b32_e32 v7, 0xf0f0f0f, v145
	v_dot4c_i32_i8_e32 v9, v7, v11
	v_add_u32_e32 v7, 0x31e8, v37
	ds_read2_b32 v[10:11], v7 offset1:1
	v_add_u32_e32 v7, 0x31f0, v37
	v_cvt_f32_f16_e32 v138, v18
	v_cvt_f32_f16_sdwa v140, v18 dst_sel:DWORD dst_unused:UNUSED_PAD src0_sel:WORD_1
	v_add_u32_e32 v18, 0x31f8, v37
	ds_read2_b32 v[146:147], v7 offset1:1
	ds_read2_b32 v[150:151], v18 offset1:1
	s_waitcnt lgkmcnt(2)
	v_and_b32_e32 v7, 0xf0f0f0f, v10
	v_dot4c_i32_i8_e32 v9, v7, v12
	v_and_b32_e32 v7, 0xf0f0f0f, v11
	v_dot4c_i32_i8_e32 v9, v7, v13
	ds_read2_b32 v[12:13], v122 offset0:1 offset1:3
	s_waitcnt lgkmcnt(2)
	v_and_b32_e32 v7, 0xf0f0f0f, v146
	v_dot4c_i32_i8_e32 v9, v7, v14
	v_and_b32_e32 v7, 0xf0f0f0f, v147
	v_dot4c_i32_i8_e32 v9, v7, v15
	s_waitcnt lgkmcnt(1)
	v_and_b32_e32 v7, 0xf0f0f0f, v150
	v_dot4c_i32_i8_e32 v9, v7, v16
	v_and_b32_e32 v7, 0xf0f0f0f, v151
	v_dot4c_i32_i8_e32 v9, v7, v17
	s_waitcnt lgkmcnt(0)
	v_and_b32_e32 v7, 0xff, v12
	v_bfe_u32 v14, v12, 16, 8
	v_mul_lo_u32 v7, v156, v7
	v_mul_lo_u32 v9, v9, v14
	v_cvt_f32_i32_e32 v14, v7
	v_lshrrev_b32_e32 v7, 4, v144
	v_cvt_f32_i32_e32 v15, v9
	v_and_b32_e32 v7, 0xf0f0f0f, v7
	v_mov_b32_e32 v9, 0
	v_dot4c_i32_i8_e32 v9, v7, v112
	v_lshrrev_b32_e32 v7, 4, v145
	v_and_b32_e32 v7, 0xf0f0f0f, v7
	v_dot4c_i32_i8_e32 v9, v7, v113
	v_lshrrev_b32_e32 v7, 4, v10
	v_and_b32_e32 v7, 0xf0f0f0f, v7
	;; [unrolled: 3-line block ×7, first 2 shown]
	v_dot4c_i32_i8_e32 v9, v2, v5
	v_lshrrev_b32_e32 v2, 24, v12
	v_bfe_u32 v3, v12, 8, 8
	v_cvt_f32_f16_e32 v139, v20
	v_mul_lo_u32 v4, v157, v3
	v_mul_lo_u32 v2, v9, v2
	v_cvt_f32_f16_e32 v143, v21
	v_cvt_f32_f16_e32 v142, v19
	v_cvt_f32_i32_e32 v3, v2
	v_cvt_f32_i32_e32 v2, v4
	v_cvt_f32_f16_sdwa v141, v20 dst_sel:DWORD dst_unused:UNUSED_PAD src0_sel:WORD_1
	v_cvt_f32_f16_sdwa v17, v21 dst_sel:DWORD dst_unused:UNUSED_PAD src0_sel:WORD_1
	;; [unrolled: 1-line block ×3, first 2 shown]
	v_pk_fma_f32 v[14:15], v[138:139], v[14:15], 0 op_sel_hi:[1,1,0]
	v_cvt_f32_ubyte2_e32 v5, v13
	v_cvt_f32_ubyte0_e32 v4, v13
	v_pk_fma_f32 v[2:3], v[142:143], v[2:3], v[14:15]
	v_cvt_f32_ubyte3_e32 v11, v13
	v_cvt_f32_ubyte1_e32 v10, v13
	ds_read2_b32 v[12:13], v118 offset0:1 offset1:3
	ds_read2_b32 v[14:15], v120 offset0:1 offset1:3
	v_pk_fma_f32 v[4:5], v[140:141], v[4:5], 0 op_sel_hi:[1,1,0]
	v_cvt_f32_f16_sdwa v21, v152 dst_sel:DWORD dst_unused:UNUSED_PAD src0_sel:WORD_1
	v_pk_fma_f32 v[4:5], v[16:17], v[10:11], v[4:5]
	s_waitcnt lgkmcnt(1)
	v_lshrrev_b32_e32 v144, 24, v12
	v_pk_mul_f32 v[4:5], v[4:5], v[8:9] op_sel_hi:[1,0]
	s_waitcnt lgkmcnt(0)
	v_bfe_u32 v8, v14, 8, 8
	v_pk_fma_f32 v[2:3], v[2:3], v[6:7], v[4:5] op_sel_hi:[1,0,1] neg_lo:[0,0,1] neg_hi:[0,0,1]
	v_and_b32_e32 v4, 0xff, v14
	v_and_b32_e32 v5, 0xff, v12
	v_mul_lo_u32 v6, v137, v5
	v_mul_lo_u32 v4, v153, v4
	v_bfe_u32 v9, v12, 8, 8
	v_cvt_f32_i32_e32 v5, v4
	v_cvt_f32_i32_e32 v4, v6
	v_mul_lo_u32 v10, v149, v9
	v_mul_lo_u32 v8, v154, v8
	v_lshrrev_b32_e32 v145, 24, v14
	v_cvt_f32_i32_e32 v9, v8
	v_cvt_f32_i32_e32 v8, v10
	v_cvt_f32_f16_sdwa v20, v159 dst_sel:DWORD dst_unused:UNUSED_PAD src0_sel:WORD_1
	v_bfe_u32 v14, v14, 16, 8
	v_bfe_u32 v12, v12, 16, 8
	v_cvt_f32_ubyte0_e32 v7, v15
	v_cvt_f32_ubyte0_e32 v6, v13
	v_cvt_f32_f16_e32 v19, v152
	v_cvt_f32_f16_e32 v18, v159
	v_mul_lo_u32 v12, v158, v12
	v_mul_lo_u32 v14, v161, v14
	v_cvt_f32_ubyte1_e32 v11, v15
	v_cvt_f32_ubyte1_e32 v10, v13
	v_cvt_f32_i32_e32 v113, v14
	v_cvt_f32_i32_e32 v112, v12
	v_mul_lo_u32 v12, v160, v144
	v_mul_lo_u32 v14, v162, v145
	v_pk_fma_f32 v[6:7], v[140:141], v[6:7], 0 op_sel_hi:[0,1,0]
	v_cvt_f32_i32_e32 v145, v14
	v_cvt_f32_i32_e32 v144, v12
	v_pk_fma_f32 v[4:5], v[138:139], v[4:5], 0 op_sel_hi:[0,1,0]
	v_pk_fma_f32 v[6:7], v[16:17], v[10:11], v[6:7] op_sel_hi:[0,1,1]
	v_pk_fma_f32 v[4:5], v[142:143], v[8:9], v[4:5] op_sel_hi:[0,1,1]
	v_pk_mul_f32 v[6:7], v[6:7], v[20:21]
	v_cvt_f32_ubyte2_e32 v115, v15
	v_pk_fma_f32 v[4:5], v[4:5], v[18:19], v[6:7] neg_lo:[0,0,1] neg_hi:[0,0,1]
	v_mov_b32_e32 v6, v139
	v_cvt_f32_ubyte2_e32 v114, v13
	v_pk_fma_f32 v[6:7], v[6:7], v[112:113], 0 op_sel_hi:[0,1,0]
	v_mov_b32_e32 v8, v141
	v_mov_b32_e32 v10, v143
	v_cvt_f32_ubyte3_e32 v15, v15
	v_cvt_f32_ubyte3_e32 v14, v13
	v_pk_fma_f32 v[8:9], v[8:9], v[114:115], 0 op_sel_hi:[0,1,0]
	v_pk_fma_f32 v[6:7], v[10:11], v[144:145], v[6:7] op_sel_hi:[0,1,1]
	v_mov_b32_e32 v10, v17
	v_mul_lo_u32 v106, v107, v106
	v_pk_fma_f32 v[8:9], v[10:11], v[14:15], v[8:9] op_sel_hi:[0,1,1]
	v_cvt_f32_i32_e32 v106, v106
	v_pk_mul_f32 v[8:9], v[8:9], v[20:21]
	v_cvt_f32_i32_e32 v110, v110
	v_pk_add_f32 v[4:5], v[24:25], v[4:5]
	v_pk_fma_f32 v[6:7], v[6:7], v[18:19], v[8:9] neg_lo:[0,0,1] neg_hi:[0,0,1]
	v_cvt_f32_ubyte0_e32 v107, v109
	v_pk_add_f32 v[24:25], v[4:5], v[6:7]
	v_cvt_f32_f16_sdwa v7, v23 dst_sel:DWORD dst_unused:UNUSED_PAD src0_sel:WORD_1
	v_mul_lo_u32 v4, v108, v155
	v_cvt_f32_f16_e32 v6, v23
	v_mov_b32_e32 v8, v138
	v_mov_b32_e32 v9, v140
	v_cvt_f32_ubyte1_e32 v111, v109
	v_cvt_f32_i32_e32 v4, v4
	v_pk_fma_f32 v[8:9], v[8:9], v[106:107], 0 op_sel_hi:[1,1,0]
	v_mov_b32_e32 v10, v142
	v_mov_b32_e32 v11, v16
	v_pk_fma_f32 v[8:9], v[10:11], v[110:111], v[8:9]
	v_cvt_f32_ubyte2_e32 v149, v109
	v_mul_f32_e32 v10, v9, v7
	v_mov_b32_e32 v140, v139
	v_cvt_f32_ubyte3_e32 v5, v109
	v_pk_fma_f32 v[8:9], v[8:9], v[6:7], v[10:11] op_sel_hi:[1,1,0] neg_lo:[0,0,1] neg_hi:[0,0,1]
	v_pk_fma_f32 v[10:11], v[140:141], v[148:149], 0 op_sel_hi:[1,1,0]
	v_mov_b32_e32 v16, v143
	v_pk_fma_f32 v[4:5], v[16:17], v[4:5], v[10:11]
	v_mov_b32_e32 v9, v2
	v_mul_f32_e32 v10, v5, v7
	v_pk_fma_f32 v[4:5], v[4:5], v[6:7], v[10:11] op_sel_hi:[1,1,0] neg_lo:[0,0,1] neg_hi:[0,0,1]
	v_pk_add_f32 v[6:7], v[60:61], v[8:9]
	v_mov_b32_e32 v5, v3
	v_pk_add_f32 v[60:61], v[6:7], v[4:5]
	s_barrier
.LBB232_5:                              ;   in Loop: Header=BB232_6 Depth=1
	s_add_i32 s24, s24, -1
	s_addk_i32 s4, 0x100
	v_add_u32_e32 v119, 8, v119
	v_add_u32_e32 v117, 8, v117
	;; [unrolled: 1-line block ×3, first 2 shown]
	v_lshl_add_u64 v[66:67], v[66:67], 0, s[12:13]
	v_lshl_add_u64 v[68:69], v[68:69], 0, s[12:13]
	;; [unrolled: 1-line block ×20, first 2 shown]
	s_cmp_eq_u32 s24, 0
	v_lshl_add_u64 v[104:105], v[104:105], 0, s[12:13]
	s_cbranch_scc1 .LBB232_17
.LBB232_6:                              ; =>This Inner Loop Header: Depth=1
	v_lshl_add_u64 v[2:3], v[66:67], 0, s[18:19]
	global_load_dword v4, v[2:3], off
	v_lshl_add_u64 v[2:3], v[68:69], 0, s[18:19]
	global_load_dword v5, v[2:3], off
	;; [unrolled: 2-line block ×21, first 2 shown]
	s_add_i32 s2, s4, 0xffffff80
	s_cmp_lt_i32 s2, s5
	s_waitcnt vmcnt(20)
	ds_write_b32 v28, v4
	s_waitcnt vmcnt(19)
	ds_write_b32 v30, v5
	;; [unrolled: 2-line block ×17, first 2 shown]
	s_waitcnt vmcnt(3)
	v_ashrrev_i32_e32 v3, v125, v21
	v_and_b32_e32 v3, 0xf0f0f0f, v3
	s_waitcnt vmcnt(2)
	v_ashrrev_i32_e32 v4, v126, v23
	v_and_or_b32 v3, v4, s8, v3
	s_waitcnt vmcnt(1)
	v_ashrrev_i32_e32 v5, v125, v106
	v_and_b32_e32 v5, 0xf0f0f0f, v5
	s_waitcnt vmcnt(0)
	v_ashrrev_i32_e32 v2, v126, v2
	v_and_or_b32 v2, v2, s8, v5
	ds_write_b32 v123, v3
	ds_write_b32 v124, v2
	s_cbranch_scc0 .LBB232_5
; %bb.7:                                ;   in Loop: Header=BB232_6 Depth=1
	v_cmp_gt_i32_e64 s[2:3], s6, v117
	s_and_b64 s[22:23], s[0:1], s[2:3]
	s_and_saveexec_b64 s[2:3], s[22:23]
	s_cbranch_execz .LBB232_9
; %bb.8:                                ;   in Loop: Header=BB232_6 Depth=1
	v_add_u32_e32 v2, v64, v117
	v_mad_i64_i32 v[2:3], s[22:23], v2, 36, v[62:63]
	global_load_dword v2, v[2:3], off offset:4
	s_waitcnt vmcnt(0)
	ds_write_b32 v31, v2
.LBB232_9:                              ;   in Loop: Header=BB232_6 Depth=1
	s_or_b64 exec, exec, s[2:3]
	v_cmp_gt_i32_e64 s[2:3], s6, v22
	s_and_b64 s[22:23], s[20:21], s[2:3]
	s_and_saveexec_b64 s[2:3], s[22:23]
	s_cbranch_execz .LBB232_11
; %bb.10:                               ;   in Loop: Header=BB232_6 Depth=1
	v_add_u32_e32 v2, v64, v22
	v_mad_i64_i32 v[2:3], s[22:23], v2, 36, s[14:15]
	global_load_dword v2, v[2:3], off
	s_waitcnt vmcnt(0)
	ds_write_b32 v35, v2
.LBB232_11:                             ;   in Loop: Header=BB232_6 Depth=1
	s_or_b64 exec, exec, s[2:3]
	s_waitcnt lgkmcnt(0)
	s_barrier
	ds_read2_b32 v[108:109], v37 offset1:1
	ds_read_b128 v[14:17], v29
	ds_read_b128 v[10:13], v29 offset:16
	ds_read_b128 v[6:9], v29 offset:32
	;; [unrolled: 1-line block ×4, first 2 shown]
	ds_read2_b32 v[110:111], v37 offset0:2 offset1:3
	s_waitcnt lgkmcnt(6)
	v_and_b32_e32 v23, 0xf0f0f0f, v108
	v_mov_b32_e32 v153, 0
	s_waitcnt lgkmcnt(5)
	v_dot4c_i32_i8_e32 v153, v23, v14
	v_and_b32_e32 v23, 0xf0f0f0f, v109
	ds_read2_b32 v[112:113], v37 offset0:4 offset1:5
	ds_read2_b32 v[114:115], v37 offset0:6 offset1:7
	ds_read2_b32 v[142:143], v37 offset0:8 offset1:9
	v_dot4c_i32_i8_e32 v153, v23, v15
	s_waitcnt lgkmcnt(3)
	v_and_b32_e32 v23, 0xf0f0f0f, v110
	v_dot4c_i32_i8_e32 v153, v23, v16
	v_and_b32_e32 v23, 0xf0f0f0f, v111
	v_dot4c_i32_i8_e32 v153, v23, v17
	s_waitcnt lgkmcnt(2)
	v_and_b32_e32 v23, 0xf0f0f0f, v112
	v_dot4c_i32_i8_e32 v153, v23, v10
	v_and_b32_e32 v23, 0xf0f0f0f, v113
	v_dot4c_i32_i8_e32 v153, v23, v11
	s_waitcnt lgkmcnt(1)
	v_and_b32_e32 v23, 0xf0f0f0f, v114
	v_dot4c_i32_i8_e32 v153, v23, v12
	v_and_b32_e32 v23, 0xf0f0f0f, v115
	v_dot4c_i32_i8_e32 v153, v23, v13
	v_lshrrev_b32_e32 v23, 4, v108
	v_and_b32_e32 v23, 0xf0f0f0f, v23
	v_mov_b32_e32 v157, 0
	v_dot4c_i32_i8_e32 v157, v23, v6
	v_lshrrev_b32_e32 v23, 4, v109
	v_and_b32_e32 v23, 0xf0f0f0f, v23
	v_dot4c_i32_i8_e32 v157, v23, v7
	v_lshrrev_b32_e32 v23, 4, v110
	v_and_b32_e32 v23, 0xf0f0f0f, v23
	;; [unrolled: 3-line block ×5, first 2 shown]
	v_add_u32_e32 v108, 0x1080, v37
	v_dot4c_i32_i8_e32 v157, v23, v3
	v_lshrrev_b32_e32 v23, 4, v114
	ds_read2_b32 v[110:111], v108 offset1:1
	v_and_b32_e32 v23, 0xf0f0f0f, v23
	v_dot4c_i32_i8_e32 v157, v23, v4
	v_lshrrev_b32_e32 v23, 4, v115
	v_and_b32_e32 v23, 0xf0f0f0f, v23
	v_add_u32_e32 v109, 0x1088, v37
	ds_read2_b32 v[106:107], v118 offset1:2
	v_dot4c_i32_i8_e32 v157, v23, v5
	ds_read_b32 v158, v128 offset:128
	ds_read_b32 v23, v129 offset:256
	;; [unrolled: 1-line block ×3, first 2 shown]
	ds_read2_b32 v[112:113], v109 offset1:1
	s_waitcnt lgkmcnt(5)
	v_and_b32_e32 v108, 0xf0f0f0f, v110
	v_lshrrev_b32_e32 v110, 4, v110
	v_and_b32_e32 v110, 0xf0f0f0f, v110
	v_mov_b32_e32 v162, 0
	v_mov_b32_e32 v159, 0
	v_dot4c_i32_i8_e32 v162, v110, v6
	v_lshrrev_b32_e32 v110, 4, v111
	v_dot4c_i32_i8_e32 v159, v108, v14
	v_and_b32_e32 v108, 0xf0f0f0f, v111
	v_and_b32_e32 v110, 0xf0f0f0f, v110
	v_dot4c_i32_i8_e32 v159, v108, v15
	v_add_u32_e32 v108, 0x1090, v37
	v_add_u32_e32 v140, 0x2100, v37
	v_dot4c_i32_i8_e32 v162, v110, v7
	s_waitcnt lgkmcnt(0)
	v_lshrrev_b32_e32 v110, 4, v112
	v_add_u32_e32 v109, 0x1098, v37
	ds_read2_b32 v[114:115], v108 offset1:1
	ds_read2_b32 v[138:139], v109 offset1:1
	;; [unrolled: 1-line block ×3, first 2 shown]
	v_and_b32_e32 v110, 0xf0f0f0f, v110
	v_dot4c_i32_i8_e32 v162, v110, v8
	v_lshrrev_b32_e32 v110, 4, v113
	v_and_b32_e32 v110, 0xf0f0f0f, v110
	v_dot4c_i32_i8_e32 v162, v110, v9
	s_waitcnt lgkmcnt(2)
	v_lshrrev_b32_e32 v110, 4, v114
	v_and_b32_e32 v110, 0xf0f0f0f, v110
	v_dot4c_i32_i8_e32 v162, v110, v2
	v_lshrrev_b32_e32 v110, 4, v115
	v_and_b32_e32 v108, 0xf0f0f0f, v112
	v_and_b32_e32 v110, 0xf0f0f0f, v110
	v_dot4c_i32_i8_e32 v159, v108, v16
	v_and_b32_e32 v108, 0xf0f0f0f, v113
	v_dot4c_i32_i8_e32 v162, v110, v3
	s_waitcnt lgkmcnt(1)
	v_lshrrev_b32_e32 v110, 4, v138
	v_dot4c_i32_i8_e32 v159, v108, v17
	v_and_b32_e32 v108, 0xf0f0f0f, v114
	v_and_b32_e32 v110, 0xf0f0f0f, v110
	v_add_u32_e32 v112, 0x2108, v37
	v_dot4c_i32_i8_e32 v159, v108, v10
	v_and_b32_e32 v108, 0xf0f0f0f, v115
	v_dot4c_i32_i8_e32 v162, v110, v4
	v_lshrrev_b32_e32 v110, 4, v139
	ds_read2_b32 v[114:115], v112 offset1:1
	v_and_b32_e32 v110, 0xf0f0f0f, v110
	v_dot4c_i32_i8_e32 v162, v110, v5
	s_waitcnt lgkmcnt(1)
	v_and_b32_e32 v110, 0xf0f0f0f, v140
	v_mov_b32_e32 v111, 0
	v_lshrrev_b32_e32 v140, 4, v140
	v_dot4c_i32_i8_e32 v159, v108, v11
	v_and_b32_e32 v144, 0xf0f0f0f, v138
	v_dot4c_i32_i8_e32 v111, v110, v14
	v_and_b32_e32 v110, 0xf0f0f0f, v141
	v_and_b32_e32 v140, 0xf0f0f0f, v140
	v_mov_b32_e32 v149, 0
	v_dot4c_i32_i8_e32 v159, v144, v12
	v_and_b32_e32 v144, 0xf0f0f0f, v139
	v_dot4c_i32_i8_e32 v111, v110, v15
	v_add_u32_e32 v110, 0x2110, v37
	v_dot4c_i32_i8_e32 v149, v140, v6
	v_lshrrev_b32_e32 v140, 4, v141
	ds_read2_b32 v[108:109], v120 offset1:2
	v_dot4c_i32_i8_e32 v159, v144, v13
	ds_read2_b32 v[138:139], v110 offset1:1
	ds_read2_b32 v[144:145], v39 offset1:1
	;; [unrolled: 1-line block ×3, first 2 shown]
	s_waitcnt lgkmcnt(4)
	v_and_b32_e32 v110, 0xf0f0f0f, v114
	v_and_b32_e32 v140, 0xf0f0f0f, v140
	v_lshrrev_b32_e32 v114, 4, v114
	v_dot4c_i32_i8_e32 v149, v140, v7
	v_and_b32_e32 v114, 0xf0f0f0f, v114
	v_dot4c_i32_i8_e32 v149, v114, v8
	v_lshrrev_b32_e32 v114, 4, v115
	v_and_b32_e32 v114, 0xf0f0f0f, v114
	v_dot4c_i32_i8_e32 v149, v114, v9
	s_waitcnt lgkmcnt(2)
	v_lshrrev_b32_e32 v114, 4, v138
	v_and_b32_e32 v114, 0xf0f0f0f, v114
	v_dot4c_i32_i8_e32 v111, v110, v16
	v_and_b32_e32 v110, 0xf0f0f0f, v115
	v_dot4c_i32_i8_e32 v149, v114, v2
	v_lshrrev_b32_e32 v114, 4, v139
	v_dot4c_i32_i8_e32 v111, v110, v17
	v_and_b32_e32 v110, 0xf0f0f0f, v138
	ds_read2_b32 v[112:113], v121 offset1:2
	v_and_b32_e32 v114, 0xf0f0f0f, v114
	s_waitcnt lgkmcnt(1)
	v_and_b32_e32 v138, 0xf0f0f0f, v146
	v_mov_b32_e32 v164, 0
	v_dot4c_i32_i8_e32 v111, v110, v10
	v_and_b32_e32 v110, 0xf0f0f0f, v139
	v_dot4c_i32_i8_e32 v149, v114, v3
	v_lshrrev_b32_e32 v114, 4, v144
	v_dot4c_i32_i8_e32 v164, v138, v14
	ds_read2_b32 v[138:139], v43 offset1:1
	v_and_b32_e32 v114, 0xf0f0f0f, v114
	v_dot4c_i32_i8_e32 v149, v114, v4
	v_lshrrev_b32_e32 v114, 4, v145
	v_dot4c_i32_i8_e32 v111, v110, v11
	v_and_b32_e32 v110, 0xf0f0f0f, v144
	v_and_b32_e32 v114, 0xf0f0f0f, v114
	v_and_b32_e32 v14, 0xf0f0f0f, v147
	v_dot4c_i32_i8_e32 v111, v110, v12
	v_and_b32_e32 v110, 0xf0f0f0f, v145
	v_dot4c_i32_i8_e32 v149, v114, v5
	s_waitcnt lgkmcnt(1)
	v_bfe_u32 v114, v112, 8, 8
	v_dot4c_i32_i8_e32 v164, v14, v15
	ds_read2_b32 v[14:15], v45 offset1:1
	ds_read2_b32 v[140:141], v47 offset1:1
	;; [unrolled: 1-line block ×3, first 2 shown]
	v_mul_lo_u32 v114, v149, v114
	s_waitcnt lgkmcnt(3)
	v_and_b32_e32 v149, 0xf0f0f0f, v138
	v_dot4c_i32_i8_e32 v164, v149, v16
	v_and_b32_e32 v16, 0xf0f0f0f, v139
	v_dot4c_i32_i8_e32 v164, v16, v17
	s_waitcnt lgkmcnt(2)
	v_and_b32_e32 v16, 0xf0f0f0f, v14
	v_dot4c_i32_i8_e32 v164, v16, v10
	v_and_b32_e32 v10, 0xf0f0f0f, v15
	v_dot4c_i32_i8_e32 v164, v10, v11
	;; [unrolled: 5-line block ×3, first 2 shown]
	v_lshrrev_b32_e32 v10, 4, v146
	v_and_b32_e32 v10, 0xf0f0f0f, v10
	v_mov_b32_e32 v165, 0
	v_dot4c_i32_i8_e32 v165, v10, v6
	v_lshrrev_b32_e32 v6, 4, v147
	v_and_b32_e32 v6, 0xf0f0f0f, v6
	v_dot4c_i32_i8_e32 v165, v6, v7
	v_lshrrev_b32_e32 v6, 4, v138
	v_and_b32_e32 v6, 0xf0f0f0f, v6
	;; [unrolled: 3-line block ×6, first 2 shown]
	v_dot4c_i32_i8_e32 v111, v110, v13
	v_dot4c_i32_i8_e32 v165, v2, v4
	v_lshrrev_b32_e32 v2, 4, v141
	ds_read_b128 v[6:9], v29 offset:64
	ds_read_b128 v[10:13], v29 offset:80
	;; [unrolled: 1-line block ×4, first 2 shown]
	ds_read2_b32 v[146:147], v37 offset0:10 offset1:11
	v_and_b32_e32 v2, 0xf0f0f0f, v2
	v_dot4c_i32_i8_e32 v165, v2, v5
	v_cvt_f32_f16_e32 v2, v148
	v_cvt_f32_f16_sdwa v4, v148 dst_sel:DWORD dst_unused:UNUSED_PAD src0_sel:WORD_1
	v_and_b32_e32 v3, 0xf0f0f0f, v142
	v_mov_b32_e32 v166, 0
	ds_read_b32 v167, v127
	ds_read2_b32 v[148:149], v37 offset0:12 offset1:13
	ds_read2_b32 v[150:151], v37 offset0:14 offset1:15
	s_waitcnt lgkmcnt(7)
	v_dot4c_i32_i8_e32 v166, v3, v6
	v_and_b32_e32 v3, 0xf0f0f0f, v143
	v_dot4c_i32_i8_e32 v166, v3, v7
	s_waitcnt lgkmcnt(3)
	v_and_b32_e32 v3, 0xf0f0f0f, v146
	v_dot4c_i32_i8_e32 v166, v3, v8
	v_and_b32_e32 v3, 0xf0f0f0f, v147
	v_dot4c_i32_i8_e32 v166, v3, v9
	s_waitcnt lgkmcnt(1)
	v_and_b32_e32 v3, 0xf0f0f0f, v148
	;; [unrolled: 5-line block ×3, first 2 shown]
	v_dot4c_i32_i8_e32 v166, v3, v12
	v_and_b32_e32 v3, 0xf0f0f0f, v151
	v_dot4c_i32_i8_e32 v166, v3, v13
	v_lshrrev_b32_e32 v3, 4, v142
	v_and_b32_e32 v3, 0xf0f0f0f, v3
	v_mov_b32_e32 v168, 0
	v_dot4c_i32_i8_e32 v168, v3, v14
	v_lshrrev_b32_e32 v3, 4, v143
	v_and_b32_e32 v3, 0xf0f0f0f, v3
	v_dot4c_i32_i8_e32 v168, v3, v15
	v_lshrrev_b32_e32 v3, 4, v146
	v_and_b32_e32 v3, 0xf0f0f0f, v3
	;; [unrolled: 3-line block ×6, first 2 shown]
	ds_read2_b32 v[142:143], v51 offset1:1
	v_dot4c_i32_i8_e32 v168, v3, v140
	v_lshrrev_b32_e32 v3, 4, v151
	v_and_b32_e32 v3, 0xf0f0f0f, v3
	v_dot4c_i32_i8_e32 v168, v3, v141
	v_and_b32_e32 v3, 0xf0f0f0f, v144
	v_mov_b32_e32 v169, 0
	v_dot4c_i32_i8_e32 v169, v3, v6
	v_and_b32_e32 v3, 0xf0f0f0f, v145
	ds_read2_b32 v[146:147], v53 offset1:1
	ds_read2_b32 v[148:149], v55 offset1:1
	;; [unrolled: 1-line block ×3, first 2 shown]
	v_dot4c_i32_i8_e32 v169, v3, v7
	s_waitcnt lgkmcnt(3)
	v_and_b32_e32 v3, 0xf0f0f0f, v142
	v_dot4c_i32_i8_e32 v169, v3, v8
	v_and_b32_e32 v3, 0xf0f0f0f, v143
	v_dot4c_i32_i8_e32 v169, v3, v9
	s_waitcnt lgkmcnt(2)
	v_and_b32_e32 v3, 0xf0f0f0f, v146
	v_dot4c_i32_i8_e32 v169, v3, v10
	v_and_b32_e32 v3, 0xf0f0f0f, v147
	;; [unrolled: 5-line block ×3, first 2 shown]
	v_dot4c_i32_i8_e32 v169, v3, v13
	v_lshrrev_b32_e32 v3, 4, v144
	v_and_b32_e32 v3, 0xf0f0f0f, v3
	v_mov_b32_e32 v170, 0
	v_dot4c_i32_i8_e32 v170, v3, v14
	v_lshrrev_b32_e32 v3, 4, v145
	v_and_b32_e32 v3, 0xf0f0f0f, v3
	v_dot4c_i32_i8_e32 v170, v3, v15
	v_lshrrev_b32_e32 v3, 4, v142
	v_and_b32_e32 v3, 0xf0f0f0f, v3
	;; [unrolled: 3-line block ×6, first 2 shown]
	ds_read2_b32 v[142:143], v59 offset1:1
	v_dot4c_i32_i8_e32 v170, v3, v140
	v_lshrrev_b32_e32 v3, 4, v149
	v_and_b32_e32 v3, 0xf0f0f0f, v3
	v_dot4c_i32_i8_e32 v170, v3, v141
	s_waitcnt lgkmcnt(1)
	v_and_b32_e32 v3, 0xf0f0f0f, v150
	v_mov_b32_e32 v5, 0
	v_dot4c_i32_i8_e32 v5, v3, v6
	v_and_b32_e32 v3, 0xf0f0f0f, v151
	ds_read2_b32 v[144:145], v131 offset1:1
	ds_read2_b32 v[146:147], v132 offset1:1
	;; [unrolled: 1-line block ×3, first 2 shown]
	v_dot4c_i32_i8_e32 v5, v3, v7
	s_waitcnt lgkmcnt(3)
	v_and_b32_e32 v3, 0xf0f0f0f, v142
	v_dot4c_i32_i8_e32 v5, v3, v8
	v_and_b32_e32 v3, 0xf0f0f0f, v143
	v_dot4c_i32_i8_e32 v5, v3, v9
	s_waitcnt lgkmcnt(2)
	v_and_b32_e32 v3, 0xf0f0f0f, v144
	v_dot4c_i32_i8_e32 v5, v3, v10
	v_and_b32_e32 v3, 0xf0f0f0f, v145
	;; [unrolled: 5-line block ×3, first 2 shown]
	v_dot4c_i32_i8_e32 v5, v3, v13
	v_bfe_u32 v3, v112, 16, 8
	v_lshrrev_b32_e32 v163, 24, v112
	v_and_b32_e32 v110, 0xff, v112
	v_mul_lo_u32 v3, v5, v3
	v_cvt_f32_i32_e32 v152, v3
	v_lshrrev_b32_e32 v3, 4, v150
	v_and_b32_e32 v3, 0xf0f0f0f, v3
	v_mov_b32_e32 v112, 0
	v_dot4c_i32_i8_e32 v112, v3, v14
	v_lshrrev_b32_e32 v3, 4, v151
	v_and_b32_e32 v3, 0xf0f0f0f, v3
	v_dot4c_i32_i8_e32 v112, v3, v15
	v_lshrrev_b32_e32 v3, 4, v142
	v_and_b32_e32 v3, 0xf0f0f0f, v3
	v_dot4c_i32_i8_e32 v112, v3, v16
	v_lshrrev_b32_e32 v3, 4, v143
	v_and_b32_e32 v3, 0xf0f0f0f, v3
	v_dot4c_i32_i8_e32 v112, v3, v17
	v_lshrrev_b32_e32 v3, 4, v144
	v_and_b32_e32 v3, 0xf0f0f0f, v3
	v_dot4c_i32_i8_e32 v112, v3, v138
	v_lshrrev_b32_e32 v3, 4, v145
	v_and_b32_e32 v3, 0xf0f0f0f, v3
	v_dot4c_i32_i8_e32 v112, v3, v139
	v_lshrrev_b32_e32 v3, 4, v146
	v_and_b32_e32 v3, 0xf0f0f0f, v3
	v_dot4c_i32_i8_e32 v112, v3, v140
	v_lshrrev_b32_e32 v3, 4, v147
	ds_read2_b32 v[150:151], v134 offset1:1
	v_and_b32_e32 v3, 0xf0f0f0f, v3
	v_dot4c_i32_i8_e32 v112, v3, v141
	s_waitcnt lgkmcnt(1)
	v_and_b32_e32 v3, 0xf0f0f0f, v148
	v_mov_b32_e32 v5, 0
	v_dot4c_i32_i8_e32 v5, v3, v6
	v_and_b32_e32 v3, 0xf0f0f0f, v149
	v_dot4c_i32_i8_e32 v5, v3, v7
	ds_read2_b32 v[6:7], v135 offset1:1
	ds_read2_b32 v[154:155], v136 offset1:1
	s_waitcnt lgkmcnt(2)
	v_and_b32_e32 v3, 0xf0f0f0f, v150
	v_dot4c_i32_i8_e32 v5, v3, v8
	v_and_b32_e32 v3, 0xf0f0f0f, v151
	v_dot4c_i32_i8_e32 v5, v3, v9
	ds_read2_b32 v[8:9], v122 offset1:2
	s_waitcnt lgkmcnt(2)
	v_and_b32_e32 v3, 0xf0f0f0f, v6
	v_dot4c_i32_i8_e32 v5, v3, v10
	v_and_b32_e32 v3, 0xf0f0f0f, v7
	v_dot4c_i32_i8_e32 v5, v3, v11
	s_waitcnt lgkmcnt(1)
	v_and_b32_e32 v3, 0xf0f0f0f, v154
	v_dot4c_i32_i8_e32 v5, v3, v12
	v_and_b32_e32 v3, 0xf0f0f0f, v155
	v_dot4c_i32_i8_e32 v5, v3, v13
	s_waitcnt lgkmcnt(0)
	v_and_b32_e32 v3, 0xff, v8
	v_bfe_u32 v10, v8, 16, 8
	v_mul_lo_u32 v3, v164, v3
	v_mul_lo_u32 v5, v5, v10
	v_cvt_f32_i32_e32 v10, v3
	v_lshrrev_b32_e32 v3, 4, v148
	v_cvt_f32_i32_e32 v11, v5
	v_and_b32_e32 v3, 0xf0f0f0f, v3
	v_mov_b32_e32 v5, 0
	v_dot4c_i32_i8_e32 v5, v3, v14
	v_lshrrev_b32_e32 v3, 4, v149
	v_and_b32_e32 v3, 0xf0f0f0f, v3
	v_dot4c_i32_i8_e32 v5, v3, v15
	v_lshrrev_b32_e32 v3, 4, v150
	v_and_b32_e32 v3, 0xf0f0f0f, v3
	;; [unrolled: 3-line block ×7, first 2 shown]
	v_dot4c_i32_i8_e32 v5, v3, v141
	v_lshrrev_b32_e32 v3, 24, v8
	v_bfe_u32 v6, v8, 8, 8
	v_cvt_f32_f16_e32 v143, v20
	v_cvt_f32_f16_e32 v142, v18
	v_mul_lo_u32 v6, v165, v6
	v_mul_lo_u32 v3, v5, v3
	v_cvt_f32_f16_sdwa v145, v20 dst_sel:DWORD dst_unused:UNUSED_PAD src0_sel:WORD_1
	v_cvt_f32_f16_sdwa v144, v18 dst_sel:DWORD dst_unused:UNUSED_PAD src0_sel:WORD_1
	v_cvt_f32_f16_e32 v147, v21
	v_cvt_f32_f16_e32 v146, v19
	v_cvt_f32_i32_e32 v7, v3
	v_cvt_f32_i32_e32 v6, v6
	v_cvt_f32_f16_sdwa v13, v21 dst_sel:DWORD dst_unused:UNUSED_PAD src0_sel:WORD_1
	v_cvt_f32_f16_sdwa v12, v19 dst_sel:DWORD dst_unused:UNUSED_PAD src0_sel:WORD_1
	v_pk_fma_f32 v[10:11], v[142:143], v[10:11], 0 op_sel_hi:[1,1,0]
	v_cvt_f32_ubyte2_e32 v15, v9
	v_cvt_f32_ubyte0_e32 v14, v9
	v_pk_fma_f32 v[14:15], v[144:145], v[14:15], 0 op_sel_hi:[1,1,0]
	v_pk_fma_f32 v[6:7], v[146:147], v[6:7], v[10:11]
	v_cvt_f32_ubyte3_e32 v11, v9
	v_cvt_f32_ubyte1_e32 v10, v9
	v_pk_fma_f32 v[8:9], v[12:13], v[10:11], v[14:15]
	v_and_b32_e32 v156, 0xff, v106
	v_and_b32_e32 v161, 0xff, v108
	v_pk_mul_f32 v[4:5], v[8:9], v[4:5] op_sel_hi:[1,0]
	v_bfe_u32 v8, v108, 8, 8
	v_pk_fma_f32 v[2:3], v[6:7], v[2:3], v[4:5] op_sel_hi:[1,0,1] neg_lo:[0,0,1] neg_hi:[0,0,1]
	v_mul_lo_u32 v4, v153, v156
	v_mul_lo_u32 v5, v159, v161
	v_bfe_u32 v9, v106, 8, 8
	v_cvt_f32_i32_e32 v5, v5
	v_cvt_f32_i32_e32 v4, v4
	v_mul_lo_u32 v10, v157, v9
	v_mul_lo_u32 v8, v162, v8
	v_cvt_f32_i32_e32 v9, v8
	v_cvt_f32_i32_e32 v8, v10
	v_cvt_f32_f16_sdwa v17, v158 dst_sel:DWORD dst_unused:UNUSED_PAD src0_sel:WORD_1
	v_cvt_f32_f16_sdwa v16, v167 dst_sel:DWORD dst_unused:UNUSED_PAD src0_sel:WORD_1
	v_bfe_u32 v18, v108, 16, 8
	v_bfe_u32 v19, v106, 16, 8
	v_lshrrev_b32_e32 v137, 24, v106
	v_lshrrev_b32_e32 v160, 24, v108
	v_cvt_f32_ubyte0_e32 v7, v109
	v_cvt_f32_ubyte0_e32 v6, v107
	v_cvt_f32_f16_e32 v15, v158
	v_cvt_f32_f16_e32 v14, v167
	v_mul_lo_u32 v20, v166, v19
	v_mul_lo_u32 v18, v169, v18
	v_cvt_f32_ubyte1_e32 v11, v109
	v_cvt_f32_ubyte1_e32 v10, v107
	v_cvt_f32_i32_e32 v19, v18
	v_cvt_f32_i32_e32 v18, v20
	v_mul_lo_u32 v106, v168, v137
	v_mul_lo_u32 v108, v170, v160
	v_pk_fma_f32 v[6:7], v[144:145], v[6:7], 0 op_sel_hi:[0,1,0]
	v_cvt_f32_i32_e32 v139, v108
	v_cvt_f32_i32_e32 v138, v106
	v_pk_fma_f32 v[4:5], v[142:143], v[4:5], 0 op_sel_hi:[0,1,0]
	v_pk_fma_f32 v[6:7], v[12:13], v[10:11], v[6:7] op_sel_hi:[0,1,1]
	;; [unrolled: 1-line block ×3, first 2 shown]
	v_pk_mul_f32 v[6:7], v[6:7], v[16:17]
	v_cvt_f32_ubyte2_e32 v21, v109
	v_pk_fma_f32 v[4:5], v[4:5], v[14:15], v[6:7] neg_lo:[0,0,1] neg_hi:[0,0,1]
	v_mov_b32_e32 v6, v143
	v_cvt_f32_ubyte2_e32 v20, v107
	v_pk_fma_f32 v[6:7], v[6:7], v[18:19], 0 op_sel_hi:[0,1,0]
	v_mov_b32_e32 v8, v145
	v_mov_b32_e32 v10, v147
	v_cvt_f32_ubyte3_e32 v109, v109
	v_cvt_f32_ubyte3_e32 v108, v107
	v_pk_fma_f32 v[8:9], v[8:9], v[20:21], 0 op_sel_hi:[0,1,0]
	v_pk_fma_f32 v[6:7], v[10:11], v[138:139], v[6:7] op_sel_hi:[0,1,1]
	v_mov_b32_e32 v10, v13
	v_mul_lo_u32 v110, v111, v110
	v_pk_fma_f32 v[8:9], v[10:11], v[108:109], v[8:9] op_sel_hi:[0,1,1]
	v_cvt_f32_i32_e32 v110, v110
	v_pk_mul_f32 v[8:9], v[8:9], v[16:17]
	v_cvt_f32_i32_e32 v114, v114
	v_pk_add_f32 v[4:5], v[24:25], v[4:5]
	v_pk_fma_f32 v[6:7], v[6:7], v[14:15], v[8:9] neg_lo:[0,0,1] neg_hi:[0,0,1]
	v_cvt_f32_ubyte0_e32 v111, v113
	v_pk_add_f32 v[24:25], v[4:5], v[6:7]
	v_cvt_f32_f16_sdwa v7, v23 dst_sel:DWORD dst_unused:UNUSED_PAD src0_sel:WORD_1
	v_mul_lo_u32 v4, v112, v163
	v_cvt_f32_f16_e32 v6, v23
	v_mov_b32_e32 v8, v142
	v_mov_b32_e32 v9, v144
	v_cvt_f32_ubyte1_e32 v115, v113
	v_cvt_f32_i32_e32 v4, v4
	v_pk_fma_f32 v[8:9], v[8:9], v[110:111], 0 op_sel_hi:[1,1,0]
	v_mov_b32_e32 v10, v146
	v_mov_b32_e32 v11, v12
	v_pk_fma_f32 v[8:9], v[10:11], v[114:115], v[8:9]
	v_cvt_f32_ubyte2_e32 v153, v113
	v_mul_f32_e32 v10, v9, v7
	v_mov_b32_e32 v144, v143
	v_cvt_f32_ubyte3_e32 v5, v113
	v_pk_fma_f32 v[8:9], v[8:9], v[6:7], v[10:11] op_sel_hi:[1,1,0] neg_lo:[0,0,1] neg_hi:[0,0,1]
	v_pk_fma_f32 v[10:11], v[144:145], v[152:153], 0 op_sel_hi:[1,1,0]
	v_mov_b32_e32 v12, v147
	v_pk_fma_f32 v[4:5], v[12:13], v[4:5], v[10:11]
	v_mov_b32_e32 v9, v2
	v_mul_f32_e32 v10, v5, v7
	v_pk_fma_f32 v[4:5], v[4:5], v[6:7], v[10:11] op_sel_hi:[1,1,0] neg_lo:[0,0,1] neg_hi:[0,0,1]
	v_pk_add_f32 v[6:7], v[60:61], v[8:9]
	v_mov_b32_e32 v5, v3
	v_pk_add_f32 v[60:61], v[6:7], v[4:5]
	s_cmp_ge_i32 s4, s5
	s_barrier
	s_cbranch_scc1 .LBB232_5
; %bb.12:                               ;   in Loop: Header=BB232_6 Depth=1
	v_cmp_gt_i32_e64 s[2:3], s6, v119
	s_and_b64 s[22:23], s[0:1], s[2:3]
	s_and_saveexec_b64 s[2:3], s[22:23]
	s_cbranch_execz .LBB232_14
; %bb.13:                               ;   in Loop: Header=BB232_6 Depth=1
	v_add_u32_e32 v2, v64, v119
	v_mad_i64_i32 v[2:3], s[22:23], v2, 36, v[62:63]
	global_load_dword v2, v[2:3], off offset:4
	s_waitcnt vmcnt(0)
	ds_write_b32 v31, v2
.LBB232_14:                             ;   in Loop: Header=BB232_6 Depth=1
	s_or_b64 exec, exec, s[2:3]
	s_and_saveexec_b64 s[22:23], vcc
	s_cbranch_execz .LBB232_4
; %bb.15:                               ;   in Loop: Header=BB232_6 Depth=1
	v_add_u32_e32 v2, 4, v22
	v_cmp_gt_i32_e64 s[2:3], s6, v2
	s_and_b64 s[2:3], s[0:1], s[2:3]
	s_and_b64 exec, exec, s[2:3]
	s_cbranch_execz .LBB232_4
; %bb.16:                               ;   in Loop: Header=BB232_6 Depth=1
	v_ashrrev_i32_e32 v23, 31, v22
	v_lshl_add_u64 v[2:3], v[64:65], 0, v[22:23]
	v_mad_u64_u32 v[4:5], s[2:3], v2, 36, s[14:15]
	v_mad_i32_i24 v5, v3, 36, v5
	global_load_dword v2, v[4:5], off offset:144
	s_waitcnt vmcnt(0)
	ds_write_b32 v35, v2
	s_branch .LBB232_4
.LBB232_17:
	s_mul_i32 s0, s10, s7
	s_waitcnt vmcnt(0)
	v_cmp_gt_i32_e32 vcc, s0, v1
	s_and_saveexec_b64 s[0:1], vcc
	s_cbranch_execz .LBB232_26
; %bb.18:
	v_and_b32_e32 v0, 0x3ff, v0
	v_add_u32_e32 v2, s11, v0
	v_mul_lo_u32 v0, v1, s9
	v_cmp_gt_u32_e32 vcc, s9, v2
	s_and_saveexec_b64 s[0:1], vcc
	s_cbranch_execz .LBB232_20
; %bb.19:
	v_bfe_u32 v1, v24, 16, 1
	s_movk_i32 s2, 0x7fff
	v_add3_u32 v1, v24, v1, s2
	v_cmp_o_f32_e32 vcc, v24, v24
	v_mov_b32_e32 v3, 0x7fc0
	v_add_u32_e32 v4, v0, v2
	v_mov_b32_e32 v5, 0
	v_cndmask_b32_sdwa v1, v3, v1, vcc dst_sel:DWORD dst_unused:UNUSED_PAD src0_sel:DWORD src1_sel:WORD_1
	v_lshl_add_u64 v[4:5], v[4:5], 1, s[16:17]
	global_store_short v[4:5], v1, off
.LBB232_20:
	s_or_b64 exec, exec, s[0:1]
	v_add_u32_e32 v1, 32, v2
	v_cmp_gt_u32_e32 vcc, s9, v1
	s_and_saveexec_b64 s[0:1], vcc
	s_cbranch_execz .LBB232_22
; %bb.21:
	v_bfe_u32 v3, v25, 16, 1
	s_movk_i32 s2, 0x7fff
	v_add3_u32 v3, v25, v3, s2
	v_cmp_o_f32_e32 vcc, v25, v25
	v_mov_b32_e32 v4, 0x7fc0
	v_mov_b32_e32 v5, 0
	v_cndmask_b32_sdwa v3, v4, v3, vcc dst_sel:DWORD dst_unused:UNUSED_PAD src0_sel:DWORD src1_sel:WORD_1
	v_add_u32_e32 v4, v0, v1
	v_lshl_add_u64 v[4:5], v[4:5], 1, s[16:17]
	global_store_short v[4:5], v3, off
.LBB232_22:
	s_or_b64 exec, exec, s[0:1]
	v_add_u32_e32 v1, 64, v2
	v_cmp_gt_u32_e32 vcc, s9, v1
	s_and_saveexec_b64 s[0:1], vcc
	s_cbranch_execz .LBB232_24
; %bb.23:
	v_bfe_u32 v3, v60, 16, 1
	s_movk_i32 s2, 0x7fff
	v_add3_u32 v3, v60, v3, s2
	v_cmp_o_f32_e32 vcc, v60, v60
	v_mov_b32_e32 v4, 0x7fc0
	v_mov_b32_e32 v5, 0
	v_cndmask_b32_sdwa v3, v4, v3, vcc dst_sel:DWORD dst_unused:UNUSED_PAD src0_sel:DWORD src1_sel:WORD_1
	v_add_u32_e32 v4, v0, v1
	v_lshl_add_u64 v[4:5], v[4:5], 1, s[16:17]
	global_store_short v[4:5], v3, off
.LBB232_24:
	s_or_b64 exec, exec, s[0:1]
	v_add_u32_e32 v1, 0x60, v2
	v_cmp_gt_u32_e32 vcc, s9, v1
	s_and_b64 exec, exec, vcc
	s_cbranch_execz .LBB232_26
; %bb.25:
	v_bfe_u32 v2, v61, 16, 1
	s_movk_i32 s0, 0x7fff
	v_add3_u32 v2, v61, v2, s0
	v_cmp_o_f32_e32 vcc, v61, v61
	v_mov_b32_e32 v3, 0x7fc0
	v_add_u32_e32 v0, v0, v1
	v_mov_b32_e32 v1, 0
	v_cndmask_b32_sdwa v2, v3, v2, vcc dst_sel:DWORD dst_unused:UNUSED_PAD src0_sel:DWORD src1_sel:WORD_1
	v_lshl_add_u64 v[0:1], v[0:1], 1, s[16:17]
	global_store_short v[0:1], v2, off
.LBB232_26:
	s_endpgm
	.section	.rodata,"a",@progbits
	.p2align	6, 0x0
	.amdhsa_kernel _ZL8moe_q4_KIN3c108BFloat16ELb1EEvPKvS3_PT_PKiS7_S7_iiiiiii
		.amdhsa_group_segment_fixed_size 20688
		.amdhsa_private_segment_fixed_size 0
		.amdhsa_kernarg_size 76
		.amdhsa_user_sgpr_count 2
		.amdhsa_user_sgpr_dispatch_ptr 0
		.amdhsa_user_sgpr_queue_ptr 0
		.amdhsa_user_sgpr_kernarg_segment_ptr 1
		.amdhsa_user_sgpr_dispatch_id 0
		.amdhsa_user_sgpr_kernarg_preload_length 0
		.amdhsa_user_sgpr_kernarg_preload_offset 0
		.amdhsa_user_sgpr_private_segment_size 0
		.amdhsa_uses_dynamic_stack 0
		.amdhsa_enable_private_segment 0
		.amdhsa_system_sgpr_workgroup_id_x 1
		.amdhsa_system_sgpr_workgroup_id_y 1
		.amdhsa_system_sgpr_workgroup_id_z 0
		.amdhsa_system_sgpr_workgroup_info 0
		.amdhsa_system_vgpr_workitem_id 1
		.amdhsa_next_free_vgpr 171
		.amdhsa_next_free_sgpr 75
		.amdhsa_accum_offset 172
		.amdhsa_reserve_vcc 1
		.amdhsa_float_round_mode_32 0
		.amdhsa_float_round_mode_16_64 0
		.amdhsa_float_denorm_mode_32 3
		.amdhsa_float_denorm_mode_16_64 3
		.amdhsa_dx10_clamp 1
		.amdhsa_ieee_mode 1
		.amdhsa_fp16_overflow 0
		.amdhsa_tg_split 0
		.amdhsa_exception_fp_ieee_invalid_op 0
		.amdhsa_exception_fp_denorm_src 0
		.amdhsa_exception_fp_ieee_div_zero 0
		.amdhsa_exception_fp_ieee_overflow 0
		.amdhsa_exception_fp_ieee_underflow 0
		.amdhsa_exception_fp_ieee_inexact 0
		.amdhsa_exception_int_div_zero 0
	.end_amdhsa_kernel
	.section	.text._ZL8moe_q4_KIN3c108BFloat16ELb1EEvPKvS3_PT_PKiS7_S7_iiiiiii,"axG",@progbits,_ZL8moe_q4_KIN3c108BFloat16ELb1EEvPKvS3_PT_PKiS7_S7_iiiiiii,comdat
.Lfunc_end232:
	.size	_ZL8moe_q4_KIN3c108BFloat16ELb1EEvPKvS3_PT_PKiS7_S7_iiiiiii, .Lfunc_end232-_ZL8moe_q4_KIN3c108BFloat16ELb1EEvPKvS3_PT_PKiS7_S7_iiiiiii
                                        ; -- End function
	.set _ZL8moe_q4_KIN3c108BFloat16ELb1EEvPKvS3_PT_PKiS7_S7_iiiiiii.num_vgpr, 171
	.set _ZL8moe_q4_KIN3c108BFloat16ELb1EEvPKvS3_PT_PKiS7_S7_iiiiiii.num_agpr, 0
	.set _ZL8moe_q4_KIN3c108BFloat16ELb1EEvPKvS3_PT_PKiS7_S7_iiiiiii.numbered_sgpr, 28
	.set _ZL8moe_q4_KIN3c108BFloat16ELb1EEvPKvS3_PT_PKiS7_S7_iiiiiii.num_named_barrier, 0
	.set _ZL8moe_q4_KIN3c108BFloat16ELb1EEvPKvS3_PT_PKiS7_S7_iiiiiii.private_seg_size, 0
	.set _ZL8moe_q4_KIN3c108BFloat16ELb1EEvPKvS3_PT_PKiS7_S7_iiiiiii.uses_vcc, 1
	.set _ZL8moe_q4_KIN3c108BFloat16ELb1EEvPKvS3_PT_PKiS7_S7_iiiiiii.uses_flat_scratch, 0
	.set _ZL8moe_q4_KIN3c108BFloat16ELb1EEvPKvS3_PT_PKiS7_S7_iiiiiii.has_dyn_sized_stack, 0
	.set _ZL8moe_q4_KIN3c108BFloat16ELb1EEvPKvS3_PT_PKiS7_S7_iiiiiii.has_recursion, 0
	.set _ZL8moe_q4_KIN3c108BFloat16ELb1EEvPKvS3_PT_PKiS7_S7_iiiiiii.has_indirect_call, 0
	.section	.AMDGPU.csdata,"",@progbits
; Kernel info:
; codeLenInByte = 10220
; TotalNumSgprs: 34
; NumVgprs: 171
; NumAgprs: 0
; TotalNumVgprs: 171
; ScratchSize: 0
; MemoryBound: 0
; FloatMode: 240
; IeeeMode: 1
; LDSByteSize: 20688 bytes/workgroup (compile time only)
; SGPRBlocks: 10
; VGPRBlocks: 21
; NumSGPRsForWavesPerEU: 81
; NumVGPRsForWavesPerEU: 171
; AccumOffset: 172
; Occupancy: 2
; WaveLimiterHint : 1
; COMPUTE_PGM_RSRC2:SCRATCH_EN: 0
; COMPUTE_PGM_RSRC2:USER_SGPR: 2
; COMPUTE_PGM_RSRC2:TRAP_HANDLER: 0
; COMPUTE_PGM_RSRC2:TGID_X_EN: 1
; COMPUTE_PGM_RSRC2:TGID_Y_EN: 1
; COMPUTE_PGM_RSRC2:TGID_Z_EN: 0
; COMPUTE_PGM_RSRC2:TIDIG_COMP_CNT: 1
; COMPUTE_PGM_RSRC3_GFX90A:ACCUM_OFFSET: 42
; COMPUTE_PGM_RSRC3_GFX90A:TG_SPLIT: 0
	.section	.text._ZL8moe_q5_KIN3c108BFloat16ELb0EEvPKvS3_PT_PKiS7_S7_iiiiiii,"axG",@progbits,_ZL8moe_q5_KIN3c108BFloat16ELb0EEvPKvS3_PT_PKiS7_S7_iiiiiii,comdat
	.globl	_ZL8moe_q5_KIN3c108BFloat16ELb0EEvPKvS3_PT_PKiS7_S7_iiiiiii ; -- Begin function _ZL8moe_q5_KIN3c108BFloat16ELb0EEvPKvS3_PT_PKiS7_S7_iiiiiii
	.p2align	8
	.type	_ZL8moe_q5_KIN3c108BFloat16ELb0EEvPKvS3_PT_PKiS7_S7_iiiiiii,@function
_ZL8moe_q5_KIN3c108BFloat16ELb0EEvPKvS3_PT_PKiS7_S7_iiiiiii: ; @_ZL8moe_q5_KIN3c108BFloat16ELb0EEvPKvS3_PT_PKiS7_S7_iiiiiii
; %bb.0:
	s_load_dwordx4 s[4:7], s[0:1], 0x18
	s_mov_b32 s8, s3
	s_mov_b32 s9, 0
	s_lshl_b64 s[10:11], s[8:9], 2
	s_waitcnt lgkmcnt(0)
	s_add_u32 s6, s6, s10
	s_addc_u32 s7, s7, s11
	s_load_dword s3, s[6:7], 0x0
	s_waitcnt lgkmcnt(0)
	s_cmpk_gt_u32 s3, 0xff
	s_cbranch_scc1 .LBB233_26
; %bb.1:
	s_load_dwordx2 s[6:7], s[0:1], 0x28
	s_waitcnt lgkmcnt(0)
	s_load_dword s7, s[6:7], 0x0
	s_lshl_b32 s6, s8, 3
	s_waitcnt lgkmcnt(0)
	s_cmp_gt_u32 s6, s7
	s_cbranch_scc1 .LBB233_26
; %bb.2:
	v_bfe_u32 v4, v0, 10, 10
	v_mov_b32_e32 v2, s4
	v_mov_b32_e32 v3, s5
	v_add_u32_e32 v82, s6, v4
	v_mov_b32_e32 v83, 0
	v_lshl_add_u64 v[2:3], v[82:83], 2, v[2:3]
	global_load_dword v1, v[2:3], off
	s_load_dwordx2 s[14:15], s[0:1], 0x30
	s_load_dwordx2 s[12:13], s[0:1], 0x10
	s_load_dwordx4 s[4:7], s[0:1], 0x3c
	s_lshl_b32 s22, s2, 7
	v_mov_b32_e32 v82, v83
	s_waitcnt lgkmcnt(0)
	s_cmpk_lt_i32 s15, 0x100
	v_mov_b32_e32 v45, v83
	v_mov_b32_e32 v44, v83
	s_cbranch_scc1 .LBB233_17
; %bb.3:
	s_load_dwordx4 s[8:11], s[0:1], 0x0
	s_ashr_i32 s0, s15, 31
	s_lshr_b32 s0, s0, 24
	s_add_i32 s0, s15, s0
	s_ashr_i32 s23, s0, 8
	s_ashr_i32 s0, s5, 31
	s_lshr_b32 s0, s0, 27
	s_add_i32 s0, s5, s0
	v_and_b32_e32 v18, 0x3ff, v0
	v_and_b32_e32 v8, 7, v0
	s_ashr_i32 s5, s0, 5
	v_lshlrev_b32_e32 v11, 3, v18
	v_lshlrev_b32_e32 v8, 2, v8
	s_movk_i32 s0, 0xc0
	v_mul_u32_u24_e32 v10, 0x41, v4
	v_and_or_b32 v8, v11, s0, v8
	s_lshl_b32 s0, s23, 3
	v_lshl_add_u32 v124, v10, 2, v8
	v_mov_b32_e32 v8, s0
	v_mad_i32_i24 v12, s23, v4, v8
	v_add_u32_e32 v13, s0, v12
	v_add_u32_e32 v14, s0, v13
	;; [unrolled: 1-line block ×11, first 2 shown]
	v_lshl_add_u32 v8, v4, 5, v18
	v_add_u32_e32 v78, s0, v74
	v_and_b32_e32 v10, 0x7f, v8
	v_lshrrev_b32_e32 v8, 3, v8
	v_and_b32_e32 v11, 3, v0
	v_add_u32_e32 v82, s0, v78
	v_mul_i32_i24_e32 v83, s23, v10
	v_and_b32_e32 v8, 12, v8
	v_lshlrev_b32_e32 v10, 2, v10
	s_mov_b32 s0, 0x8e40
	v_add_u32_e32 v20, 0xfe, v11
	v_bfe_u32 v7, v0, 2, 8
	v_add3_u32 v125, v10, v8, s0
	v_lshlrev_b32_e32 v8, 3, v4
	v_and_b32_e32 v20, 0xff, v20
	v_cmp_gt_u32_e32 vcc, 2, v11
	v_and_b32_e32 v122, 6, v7
	v_add_u32_e32 v10, v7, v8
	v_cndmask_b32_e32 v20, v20, v11, vcc
	v_cmp_ne_u32_e32 vcc, 0, v11
	v_add_u16_e32 v7, v7, v8
	s_mul_i32 s16, s3, s14
	v_addc_co_u32_e32 v96, vcc, 0, v20, vcc
	v_cmp_lt_u32_e64 s[2:3], 1, v11
	v_lshlrev_b32_e32 v127, 1, v20
	v_and_b32_e32 v20, 0x7f, v10
	v_lshlrev_b32_e32 v11, 2, v11
	v_lshrrev_b16_e32 v7, 1, v7
	v_mul_i32_i24_e32 v94, s23, v20
	v_lshl_or_b32 v20, v20, 4, v11
	v_and_b32_e32 v7, 60, v7
	s_mov_b32 s1, 0x8200
	v_add3_u32 v128, v20, v7, s1
	v_mov_b32_e32 v7, 0x7f
	v_bitop3_b32 v7, v10, 64, v7 bitop3:0x6c
	v_mul_i32_i24_e32 v98, s23, v7
	v_lshl_or_b32 v8, v7, 4, v11
	v_lshrrev_b32_e32 v7, 1, v7
	v_and_b32_e32 v7, 60, v7
	v_add3_u32 v129, v8, v7, s1
	v_mov_b32_e32 v8, 0x8a40
	v_lshlrev_b32_e32 v6, 2, v18
	v_and_b32_e32 v7, 31, v0
	v_lshl_add_u32 v131, v4, 7, v8
	v_bfe_u32 v134, v0, 3, 7
	v_bfe_u32 v5, v0, 5, 5
	v_lshl_add_u32 v132, v7, 2, v131
	v_add_u32_e32 v7, v134, v6
	v_mov_b32_e32 v8, 0x8200
	v_lshl_add_u32 v135, v7, 2, v8
	v_lshlrev_b32_e32 v7, 2, v5
	v_add3_u32 v137, v7, v6, s0
	v_add_u32_e32 v7, 32, v18
	v_lshrrev_b32_e32 v138, 3, v7
	v_lshl_add_u32 v7, v7, 2, v138
	v_lshl_add_u32 v139, v7, 2, v8
	v_and_b32_e32 v7, 60, v138
	v_add3_u32 v140, v6, v7, s0
	v_add_u32_e32 v7, 64, v18
	v_lshrrev_b32_e32 v10, 3, v7
	v_lshl_add_u32 v7, v7, 2, v10
	s_abs_i32 s18, s7
	v_lshl_add_u32 v141, v7, 2, v8
	v_and_b32_e32 v7, 60, v10
	v_cvt_f32_u32_e32 v11, s18
	v_add3_u32 v142, v6, v7, s0
	v_add_u32_e32 v7, 0x60, v18
	v_lshrrev_b32_e32 v10, 3, v7
	v_lshl_add_u32 v7, v7, 2, v10
	v_lshl_add_u32 v143, v7, 2, v8
	v_rcp_iflag_f32_e32 v8, v11
	v_and_b32_e32 v7, 60, v10
	v_add3_u32 v144, v6, v7, s0
	s_sub_i32 s0, 0, s18
	v_mul_f32_e32 v7, 0x4f7ffffe, v8
	v_cvt_u32_f32_e32 v7, v7
	s_waitcnt vmcnt(0)
	v_sub_u32_e32 v8, 0, v1
	v_max_i32_e32 v8, v1, v8
	v_and_b32_e32 v44, 0x7c, v6
	v_mul_lo_u32 v10, s0, v7
	v_mul_hi_u32 v10, v7, v10
	v_add_u32_e32 v7, v7, v10
	v_mul_hi_u32 v7, v8, v7
	v_mul_lo_u32 v10, v7, s18
	v_sub_u32_e32 v8, v8, v10
	v_add_u32_e32 v10, 1, v7
	v_cmp_le_u32_e64 s[0:1], s18, v8
	v_and_b32_e32 v2, 28, v6
	v_and_b32_e32 v21, 4, v6
	v_cndmask_b32_e64 v7, v7, v10, s[0:1]
	v_subrev_u32_e32 v10, s18, v8
	v_cndmask_b32_e64 v8, v8, v10, s[0:1]
	v_add_u32_e32 v130, 0x9050, v6
	v_xor_b32_e32 v6, s7, v1
	v_add_u32_e32 v10, 1, v7
	v_cmp_le_u32_e64 s[0:1], s18, v8
	v_ashrrev_i32_e32 v6, 31, v6
	s_mul_i32 s14, s23, s22
	v_cndmask_b32_e64 v7, v7, v10, s[0:1]
	v_xor_b32_e32 v7, v7, v6
	v_sub_u32_e32 v6, v7, v6
	s_mul_hi_i32 s21, s14, 0xb0
	s_mul_i32 s20, s14, 0xb0
	v_cmp_gt_i32_e64 s[0:1], s4, v6
	v_mul_lo_u32 v22, v6, s5
	s_movk_i32 s26, 0xb0
	v_mov_b64_e32 v[6:7], s[20:21]
	v_mov_b32_e32 v45, 0
	v_mul_i32_i24_e32 v9, s23, v4
	v_mad_u64_u32 v[6:7], s[24:25], v5, s26, v[6:7]
	v_mov_b32_e32 v3, v45
	v_mad_u64_u32 v[8:9], s[24:25], v9, s26, v[6:7]
	v_lshl_add_u64 v[10:11], v[8:9], 0, v[2:3]
	v_lshl_add_u64 v[8:9], v[8:9], 0, v[44:45]
	s_waitcnt lgkmcnt(0)
	v_lshl_add_u64 v[8:9], s[8:9], 0, v[8:9]
	v_lshl_add_u64 v[10:11], s[8:9], 0, v[10:11]
	v_lshl_add_u64 v[26:27], v[8:9], 0, 48
	v_mad_u64_u32 v[8:9], s[24:25], v12, s26, v[6:7]
	v_lshl_add_u64 v[24:25], v[10:11], 0, 16
	v_lshl_add_u64 v[10:11], v[8:9], 0, v[2:3]
	v_lshl_add_u64 v[8:9], v[8:9], 0, v[44:45]
	v_lshl_add_u64 v[8:9], s[8:9], 0, v[8:9]
	v_lshl_add_u64 v[10:11], s[8:9], 0, v[10:11]
	v_lshl_add_u64 v[30:31], v[8:9], 0, 48
	v_mad_u64_u32 v[8:9], s[24:25], v13, s26, v[6:7]
	v_lshl_add_u64 v[28:29], v[10:11], 0, 16
	v_lshl_add_u64 v[10:11], v[8:9], 0, v[2:3]
	v_lshl_add_u64 v[8:9], v[8:9], 0, v[44:45]
	;; [unrolled: 7-line block ×13, first 2 shown]
	v_lshl_add_u64 v[8:9], s[8:9], 0, v[8:9]
	v_lshl_add_u64 v[80:81], v[8:9], 0, 48
	v_mad_u64_u32 v[8:9], s[24:25], v82, s26, v[6:7]
	s_mul_i32 s24, s23, 0x78
	s_nop 0
	v_mov_b32_e32 v5, s24
	v_lshlrev_b32_e32 v133, 4, v4
	v_mad_i32_i24 v4, s23, v4, v5
	v_lshl_add_u64 v[10:11], s[8:9], 0, v[10:11]
	v_mad_u64_u32 v[4:5], s[24:25], v4, s26, v[6:7]
	v_cndmask_b32_e64 v126, 0, v21, s[2:3]
	v_cmp_gt_u32_e32 vcc, 4, v18
	v_lshl_add_u64 v[20:21], s[10:11], 0, v[2:3]
	v_lshl_add_u64 v[78:79], v[10:11], 0, 16
	;; [unrolled: 1-line block ×4, first 2 shown]
	s_ashr_i32 s17, s16, 31
	s_and_b64 s[18:19], vcc, s[0:1]
	v_lshl_add_u64 v[2:3], s[8:9], 0, v[2:3]
	v_lshl_add_u64 v[88:89], v[2:3], 0, 16
	v_lshl_add_u64 v[2:3], v[4:5], 0, v[44:45]
	s_add_u32 s20, s8, s20
	v_lshl_add_u64 v[2:3], s[8:9], 0, v[2:3]
	s_addc_u32 s21, s9, s21
	v_lshl_add_u64 v[90:91], v[2:3], 0, 48
	v_mov_b64_e32 v[2:3], s[20:21]
	v_mad_u64_u32 v[92:93], s[20:21], v83, s26, v[2:3]
	v_mad_u64_u32 v[2:3], s[20:21], v94, s26, 0
	v_mov_b32_e32 v6, 0xb0
	v_cndmask_b32_e64 v4, 0, 1, s[2:3]
	v_lshl_add_u64 v[8:9], v[8:9], 0, v[44:45]
	v_mad_i64_i32 v[2:3], s[20:21], s14, v6, v[2:3]
	v_lshlrev_b32_e32 v7, 2, v4
	v_lshlrev_b32_e32 v44, 2, v96
	v_or_b32_e32 v4, v2, v7
	v_mov_b32_e32 v5, v3
	v_lshl_add_u64 v[2:3], v[2:3], 0, v[44:45]
	v_lshl_add_u64 v[2:3], s[8:9], 0, v[2:3]
	;; [unrolled: 1-line block ×3, first 2 shown]
	v_mad_u64_u32 v[2:3], s[2:3], v98, s26, 0
	v_lshl_add_u64 v[4:5], s[8:9], 0, v[4:5]
	v_mad_i64_i32 v[2:3], s[2:3], s14, v6, v[2:3]
	v_lshl_add_u64 v[94:95], v[4:5], 0, 4
	v_or_b32_e32 v4, v2, v7
	v_mov_b32_e32 v5, v3
	v_lshl_add_u64 v[2:3], v[2:3], 0, v[44:45]
	v_lshl_add_u64 v[10:11], s[8:9], 0, v[10:11]
	;; [unrolled: 1-line block ×5, first 2 shown]
	v_or_b32_e32 v123, 1, v122
	v_mul_u32_u24_e32 v136, 0x104, v18
	v_ashrrev_i32_e32 v23, 31, v22
	v_lshl_add_u64 v[84:85], v[10:11], 0, 16
	v_lshl_add_u64 v[86:87], v[8:9], 0, 48
	;; [unrolled: 1-line block ×4, first 2 shown]
	s_movk_i32 s14, 0x80
	s_mov_b32 s24, 0x10101010
	s_mov_b32 s25, 0x30303030
	s_mov_b64 s[8:9], 0xb0
	v_add_u32_e32 v145, 0x800, v124
	v_add_u32_e32 v146, 0x1000, v124
	;; [unrolled: 1-line block ×15, first 2 shown]
	v_mov_b32_e32 v44, v45
	v_mov_b32_e32 v82, v45
	;; [unrolled: 1-line block ×3, first 2 shown]
	s_branch .LBB233_6
.LBB233_4:                              ;   in Loop: Header=BB233_6 Depth=1
	s_or_b64 exec, exec, s[20:21]
	s_waitcnt lgkmcnt(0)
	s_barrier
	ds_read_b128 v[14:17], v131
	ds_read_b128 v[10:13], v131 offset:16
	ds_read2_b32 v[102:103], v136 offset0:32 offset1:33
	ds_read_b128 v[6:9], v131 offset:32
	ds_read_b128 v[2:5], v131 offset:48
	ds_read_b32 v19, v137
	ds_read_b128 v[160:163], v133 offset:36944
	ds_read2_b32 v[104:105], v136 offset0:34 offset1:35
	v_mov_b32_e32 v118, 0
	s_waitcnt lgkmcnt(5)
	v_dot4c_i32_i8_e32 v118, v102, v14
	v_dot4c_i32_i8_e32 v118, v103, v15
	ds_read2_b32 v[102:103], v136 offset0:36 offset1:37
	ds_read2_b32 v[106:107], v136 offset0:38 offset1:39
	;; [unrolled: 1-line block ×3, first 2 shown]
	s_waitcnt lgkmcnt(3)
	v_dot4c_i32_i8_e32 v118, v104, v16
	v_dot4c_i32_i8_e32 v118, v105, v17
	s_waitcnt lgkmcnt(2)
	v_dot4c_i32_i8_e32 v118, v102, v10
	v_dot4c_i32_i8_e32 v118, v103, v11
	ds_read2_b32 v[102:103], v136 offset0:42 offset1:43
	v_mov_b32_e32 v121, 0
	s_waitcnt lgkmcnt(1)
	v_dot4c_i32_i8_e32 v121, v108, v6
	v_dot4c_i32_i8_e32 v121, v109, v7
	;; [unrolled: 1-line block ×3, first 2 shown]
	s_waitcnt lgkmcnt(0)
	v_dot4c_i32_i8_e32 v121, v102, v8
	v_add_u32_e32 v102, 0x2100, v136
	v_dot4c_i32_i8_e32 v118, v107, v13
	ds_read2_b32 v[104:105], v136 offset0:44 offset1:45
	ds_read2_b32 v[106:107], v136 offset0:46 offset1:47
	;; [unrolled: 1-line block ×3, first 2 shown]
	v_dot4c_i32_i8_e32 v121, v103, v9
	ds_read2_b32 v[102:103], v102 offset1:1
	v_mov_b32_e32 v165, 0
	ds_read_b32 v182, v140 offset:128
	ds_read_b32 v119, v142 offset:256
	;; [unrolled: 1-line block ×3, first 2 shown]
	s_waitcnt lgkmcnt(6)
	v_dot4c_i32_i8_e32 v121, v104, v2
	v_dot4c_i32_i8_e32 v121, v105, v3
	s_waitcnt lgkmcnt(3)
	v_dot4c_i32_i8_e32 v165, v102, v14
	v_add_u32_e32 v102, 0x2108, v136
	v_dot4c_i32_i8_e32 v165, v103, v15
	ds_read2_b32 v[102:103], v102 offset1:1
	v_dot4c_i32_i8_e32 v121, v106, v4
	v_add_u32_e32 v104, 0x2110, v136
	v_add_u32_e32 v106, 0x2118, v136
	;; [unrolled: 1-line block ×3, first 2 shown]
	v_dot4c_i32_i8_e32 v121, v107, v5
	ds_read2_b32 v[104:105], v104 offset1:1
	ds_read2_b32 v[106:107], v106 offset1:1
	;; [unrolled: 1-line block ×3, first 2 shown]
	s_waitcnt lgkmcnt(3)
	v_dot4c_i32_i8_e32 v165, v102, v16
	v_add_u32_e32 v102, 0x2128, v136
	v_dot4c_i32_i8_e32 v165, v103, v17
	ds_read2_b32 v[102:103], v102 offset1:1
	s_waitcnt lgkmcnt(3)
	v_dot4c_i32_i8_e32 v165, v104, v10
	v_dot4c_i32_i8_e32 v165, v105, v11
	v_mov_b32_e32 v176, 0
	s_waitcnt lgkmcnt(2)
	v_dot4c_i32_i8_e32 v165, v106, v12
	s_waitcnt lgkmcnt(1)
	v_dot4c_i32_i8_e32 v176, v110, v6
	v_add_u32_e32 v104, 0x2130, v136
	v_add_u32_e32 v106, 0x2138, v136
	;; [unrolled: 1-line block ×3, first 2 shown]
	v_dot4c_i32_i8_e32 v165, v107, v13
	v_dot4c_i32_i8_e32 v176, v111, v7
	ds_read2_b32 v[104:105], v104 offset1:1
	ds_read2_b32 v[106:107], v106 offset1:1
	;; [unrolled: 1-line block ×3, first 2 shown]
	s_waitcnt lgkmcnt(3)
	v_dot4c_i32_i8_e32 v176, v102, v8
	v_add_u32_e32 v102, 0x4188, v136
	v_dot4c_i32_i8_e32 v176, v103, v9
	ds_read2_b32 v[102:103], v102 offset1:1
	s_waitcnt lgkmcnt(3)
	v_dot4c_i32_i8_e32 v176, v104, v2
	v_dot4c_i32_i8_e32 v176, v105, v3
	v_mov_b32_e32 v114, 0
	s_waitcnt lgkmcnt(2)
	v_dot4c_i32_i8_e32 v176, v106, v4
	s_waitcnt lgkmcnt(1)
	v_dot4c_i32_i8_e32 v114, v110, v14
	v_add_u32_e32 v104, 0x4190, v136
	v_add_u32_e32 v112, 0x41a0, v136
	v_dot4c_i32_i8_e32 v176, v107, v5
	v_dot4c_i32_i8_e32 v114, v111, v15
	v_add_u32_e32 v105, 0x4198, v136
	ds_read2_b32 v[106:107], v104 offset1:1
	ds_read2_b32 v[110:111], v105 offset1:1
	;; [unrolled: 1-line block ×3, first 2 shown]
	s_waitcnt lgkmcnt(3)
	v_dot4c_i32_i8_e32 v114, v102, v16
	ds_read2_b32 v[104:105], v141 offset0:1 offset1:3
	v_dot4c_i32_i8_e32 v114, v103, v17
	s_waitcnt lgkmcnt(3)
	v_dot4c_i32_i8_e32 v114, v106, v10
	v_add_u32_e32 v106, 0x41a8, v136
	v_dot4c_i32_i8_e32 v114, v107, v11
	ds_read2_b32 v[106:107], v106 offset1:1
	s_waitcnt lgkmcnt(3)
	v_dot4c_i32_i8_e32 v114, v110, v12
	v_dot4c_i32_i8_e32 v114, v111, v13
	s_waitcnt lgkmcnt(1)
	v_and_b32_e32 v102, 0xff, v104
	v_mov_b32_e32 v116, 0
	v_dot4c_i32_i8_e32 v116, v112, v6
	v_mul_lo_u32 v102, v114, v102
	v_add_u32_e32 v110, 0x41b0, v136
	v_add_u32_e32 v112, 0x41b8, v136
	v_add_u32_e32 v114, 0x6200, v136
	v_dot4c_i32_i8_e32 v116, v113, v7
	ds_read2_b32 v[110:111], v110 offset1:1
	ds_read2_b32 v[112:113], v112 offset1:1
	;; [unrolled: 1-line block ×3, first 2 shown]
	s_waitcnt lgkmcnt(3)
	v_dot4c_i32_i8_e32 v116, v106, v8
	v_dot4c_i32_i8_e32 v116, v107, v9
	s_waitcnt lgkmcnt(2)
	v_dot4c_i32_i8_e32 v116, v110, v2
	v_dot4c_i32_i8_e32 v116, v111, v3
	v_mov_b32_e32 v177, 0
	s_waitcnt lgkmcnt(1)
	v_dot4c_i32_i8_e32 v116, v112, v4
	s_waitcnt lgkmcnt(0)
	v_dot4c_i32_i8_e32 v177, v114, v14
	v_add_u32_e32 v14, 0x6208, v136
	v_add_u32_e32 v110, 0x6210, v136
	;; [unrolled: 1-line block ×4, first 2 shown]
	v_dot4c_i32_i8_e32 v116, v113, v5
	v_dot4c_i32_i8_e32 v177, v115, v15
	ds_read2_b32 v[14:15], v14 offset1:1
	ds_read2_b32 v[110:111], v110 offset1:1
	;; [unrolled: 1-line block ×4, first 2 shown]
	v_mov_b32_e32 v178, 0
	v_mov_b32_e32 v184, 0
	v_bfe_u32 v106, v104, 8, 8
	s_waitcnt lgkmcnt(3)
	v_dot4c_i32_i8_e32 v177, v14, v16
	s_waitcnt lgkmcnt(0)
	v_dot4c_i32_i8_e32 v178, v114, v6
	v_add_u32_e32 v6, 0x6228, v136
	v_dot4c_i32_i8_e32 v177, v15, v17
	v_dot4c_i32_i8_e32 v178, v115, v7
	ds_read2_b32 v[6:7], v6 offset1:1
	v_dot4c_i32_i8_e32 v177, v110, v10
	v_dot4c_i32_i8_e32 v177, v111, v11
	;; [unrolled: 1-line block ×3, first 2 shown]
	v_add_u32_e32 v10, 0x6230, v136
	v_add_u32_e32 v12, 0x6238, v136
	v_dot4c_i32_i8_e32 v177, v113, v13
	v_add_u32_e32 v14, 0x6240, v136
	ds_read2_b32 v[10:11], v10 offset1:1
	ds_read2_b32 v[12:13], v12 offset1:1
	;; [unrolled: 1-line block ×3, first 2 shown]
	s_waitcnt lgkmcnt(3)
	v_dot4c_i32_i8_e32 v178, v6, v8
	v_dot4c_i32_i8_e32 v178, v7, v9
	s_waitcnt lgkmcnt(2)
	v_dot4c_i32_i8_e32 v178, v10, v2
	v_dot4c_i32_i8_e32 v178, v11, v3
	;; [unrolled: 3-line block ×3, first 2 shown]
	ds_read_b128 v[14:17], v131 offset:64
	ds_read_b128 v[10:13], v131 offset:80
	;; [unrolled: 1-line block ×4, first 2 shown]
	ds_read2_b32 v[110:111], v136 offset0:50 offset1:51
	s_waitcnt lgkmcnt(4)
	v_dot4c_i32_i8_e32 v184, v108, v14
	v_dot4c_i32_i8_e32 v184, v109, v15
	ds_read2_b32 v[108:109], v136 offset0:52 offset1:53
	ds_read2_b32 v[112:113], v136 offset0:54 offset1:55
	;; [unrolled: 1-line block ×3, first 2 shown]
	v_mul_lo_u32 v106, v116, v106
	s_waitcnt lgkmcnt(3)
	v_dot4c_i32_i8_e32 v184, v110, v16
	v_mov_b32_e32 v110, 0
	v_dot4c_i32_i8_e32 v110, v114, v14
	v_add_u32_e32 v114, 0x6248, v136
	v_dot4c_i32_i8_e32 v184, v111, v17
	v_dot4c_i32_i8_e32 v110, v115, v15
	ds_read2_b32 v[114:115], v114 offset1:1
	s_waitcnt lgkmcnt(3)
	v_dot4c_i32_i8_e32 v184, v108, v10
	v_dot4c_i32_i8_e32 v184, v109, v11
	v_cvt_f32_f16_e32 v116, v117
	v_cvt_f32_f16_sdwa v164, v117 dst_sel:DWORD dst_unused:UNUSED_PAD src0_sel:WORD_1
	s_waitcnt lgkmcnt(2)
	v_dot4c_i32_i8_e32 v184, v112, v12
	v_add_u32_e32 v117, 0x6250, v136
	v_dot4c_i32_i8_e32 v184, v113, v13
	v_cvt_f32_f16_e32 v113, v162
	v_cvt_f32_f16_e32 v112, v160
	v_cvt_f32_f16_sdwa v109, v162 dst_sel:DWORD dst_unused:UNUSED_PAD src0_sel:WORD_1
	v_cvt_f32_f16_sdwa v108, v160 dst_sel:DWORD dst_unused:UNUSED_PAD src0_sel:WORD_1
	v_add_u32_e32 v160, 0x6258, v136
	v_add_u32_e32 v162, 0x6260, v136
	ds_read2_b32 v[168:169], v117 offset1:1
	ds_read2_b32 v[170:171], v160 offset1:1
	ds_read2_b32 v[172:173], v162 offset1:1
	s_waitcnt lgkmcnt(3)
	v_dot4c_i32_i8_e32 v110, v114, v16
	ds_read2_b32 v[174:175], v143 offset0:1 offset1:3
	v_dot4c_i32_i8_e32 v110, v115, v17
	s_waitcnt lgkmcnt(3)
	v_dot4c_i32_i8_e32 v110, v168, v10
	v_dot4c_i32_i8_e32 v110, v169, v11
	s_waitcnt lgkmcnt(2)
	v_dot4c_i32_i8_e32 v110, v170, v12
	v_dot4c_i32_i8_e32 v110, v171, v13
	s_waitcnt lgkmcnt(0)
	v_and_b32_e32 v114, 0xff, v174
	v_bfe_u32 v115, v174, 16, 8
	v_mul_lo_u32 v114, v177, v114
	v_mul_lo_u32 v110, v110, v115
	v_add_u32_e32 v162, 0x6268, v136
	v_cvt_f32_f16_e32 v111, v163
	v_cvt_f32_i32_e32 v169, v110
	v_cvt_f32_i32_e32 v168, v114
	v_cvt_f32_f16_sdwa v115, v163 dst_sel:DWORD dst_unused:UNUSED_PAD src0_sel:WORD_1
	ds_read2_b32 v[162:163], v162 offset1:1
	v_mov_b32_e32 v185, 0
	v_mov_b32_e32 v117, 0
	v_dot4c_i32_i8_e32 v185, v166, v6
	v_dot4c_i32_i8_e32 v117, v172, v6
	v_add_u32_e32 v166, 0x6270, v136
	v_add_u32_e32 v170, 0x6278, v136
	;; [unrolled: 1-line block ×3, first 2 shown]
	v_cvt_f32_f16_e32 v110, v161
	v_cvt_f32_f16_sdwa v114, v161 dst_sel:DWORD dst_unused:UNUSED_PAD src0_sel:WORD_1
	v_pk_fma_f32 v[160:161], v[112:113], v[168:169], 0 op_sel_hi:[1,1,0]
	v_dot4c_i32_i8_e32 v117, v173, v7
	ds_read2_b32 v[168:169], v166 offset1:1
	ds_read2_b32 v[170:171], v170 offset1:1
	ds_read2_b32 v[172:173], v172 offset1:1
	s_waitcnt lgkmcnt(3)
	v_dot4c_i32_i8_e32 v117, v162, v8
	v_dot4c_i32_i8_e32 v117, v163, v9
	s_waitcnt lgkmcnt(2)
	v_dot4c_i32_i8_e32 v117, v168, v2
	v_dot4c_i32_i8_e32 v117, v169, v3
	;; [unrolled: 3-line block ×3, first 2 shown]
	v_lshrrev_b32_e32 v162, 24, v174
	v_bfe_u32 v163, v174, 8, 8
	v_mul_lo_u32 v166, v178, v163
	v_mul_lo_u32 v117, v117, v162
	v_cvt_f32_i32_e32 v163, v117
	v_cvt_f32_i32_e32 v162, v166
	v_cvt_f32_ubyte2_e32 v169, v175
	v_cvt_f32_ubyte0_e32 v168, v175
	v_pk_fma_f32 v[168:169], v[108:109], v[168:169], 0 op_sel_hi:[1,1,0]
	v_pk_fma_f32 v[160:161], v[110:111], v[162:163], v[160:161]
	v_cvt_f32_ubyte3_e32 v163, v175
	v_cvt_f32_ubyte1_e32 v162, v175
	v_pk_fma_f32 v[162:163], v[114:115], v[162:163], v[168:169]
	ds_read2_b32 v[168:169], v135 offset0:1 offset1:3
	ds_read2_b32 v[170:171], v139 offset0:1 offset1:3
	v_pk_mul_f32 v[162:163], v[162:163], v[164:165] op_sel_hi:[1,0]
	v_cvt_f32_f16_e32 v175, v182
	v_pk_fma_f32 v[116:117], v[160:161], v[116:117], v[162:163] op_sel_hi:[1,0,1] neg_lo:[0,0,1] neg_hi:[0,0,1]
	s_waitcnt lgkmcnt(1)
	v_and_b32_e32 v161, 0xff, v168
	s_waitcnt lgkmcnt(0)
	v_and_b32_e32 v160, 0xff, v170
	v_mul_lo_u32 v118, v118, v161
	v_mul_lo_u32 v160, v165, v160
	v_cvt_f32_i32_e32 v161, v160
	v_cvt_f32_i32_e32 v160, v118
	v_bfe_u32 v118, v170, 8, 8
	v_bfe_u32 v164, v168, 8, 8
	v_mul_lo_u32 v121, v121, v164
	v_mul_lo_u32 v118, v176, v118
	v_cvt_f32_i32_e32 v165, v118
	v_cvt_f32_i32_e32 v164, v121
	v_cvt_f32_f16_sdwa v183, v182 dst_sel:DWORD dst_unused:UNUSED_PAD src0_sel:WORD_1
	v_cvt_f32_f16_sdwa v182, v19 dst_sel:DWORD dst_unused:UNUSED_PAD src0_sel:WORD_1
	v_cvt_f32_ubyte0_e32 v163, v171
	v_cvt_f32_ubyte0_e32 v162, v169
	v_cvt_f32_f16_e32 v174, v19
	v_dot4c_i32_i8_e32 v185, v167, v7
	v_cvt_f32_ubyte1_e32 v167, v171
	v_cvt_f32_ubyte1_e32 v166, v169
	v_pk_fma_f32 v[162:163], v[108:109], v[162:163], 0 op_sel_hi:[0,1,0]
	v_pk_fma_f32 v[160:161], v[112:113], v[160:161], 0 op_sel_hi:[0,1,0]
	;; [unrolled: 1-line block ×4, first 2 shown]
	v_pk_mul_f32 v[162:163], v[162:163], v[182:183]
	v_add_u32_e32 v118, 0x2148, v136
	v_pk_fma_f32 v[160:161], v[160:161], v[174:175], v[162:163] neg_lo:[0,0,1] neg_hi:[0,0,1]
	ds_read2_b32 v[176:177], v136 offset0:58 offset1:59
	ds_read2_b32 v[178:179], v136 offset0:60 offset1:61
	;; [unrolled: 1-line block ×3, first 2 shown]
	v_pk_add_f32 v[44:45], v[44:45], v[160:161]
	ds_read2_b32 v[160:161], v118 offset1:1
	v_mov_b32_e32 v19, 0
	v_dot4c_i32_i8_e32 v19, v172, v14
	v_add_u32_e32 v118, 0x2150, v136
	v_add_u32_e32 v166, 0x2160, v136
	v_dot4c_i32_i8_e32 v19, v173, v15
	v_add_u32_e32 v121, 0x2158, v136
	ds_read2_b32 v[162:163], v118 offset1:1
	ds_read2_b32 v[164:165], v121 offset1:1
	;; [unrolled: 1-line block ×3, first 2 shown]
	s_waitcnt lgkmcnt(3)
	v_dot4c_i32_i8_e32 v19, v160, v16
	v_dot4c_i32_i8_e32 v19, v161, v17
	s_waitcnt lgkmcnt(2)
	v_dot4c_i32_i8_e32 v19, v162, v10
	v_dot4c_i32_i8_e32 v19, v163, v11
	;; [unrolled: 3-line block ×3, first 2 shown]
	v_bfe_u32 v118, v170, 16, 8
	v_bfe_u32 v121, v168, 16, 8
	v_mul_lo_u32 v121, v184, v121
	v_mul_lo_u32 v19, v19, v118
	v_cvt_f32_i32_e32 v161, v19
	v_cvt_f32_i32_e32 v160, v121
	v_mov_b32_e32 v118, v113
	v_mov_b32_e32 v19, 0
	v_dot4c_i32_i8_e32 v185, v176, v8
	v_pk_fma_f32 v[160:161], v[118:119], v[160:161], 0 op_sel_hi:[0,1,0]
	v_add_u32_e32 v118, 0x2168, v136
	ds_read2_b32 v[164:165], v118 offset1:1
	s_waitcnt lgkmcnt(1)
	v_dot4c_i32_i8_e32 v19, v166, v6
	v_add_u32_e32 v118, 0x2170, v136
	v_lshrrev_b32_e32 v186, 24, v168
	v_dot4c_i32_i8_e32 v185, v177, v9
	v_dot4c_i32_i8_e32 v19, v167, v7
	v_add_u32_e32 v121, 0x2178, v136
	v_add_u32_e32 v168, 0x41c0, v136
	ds_read2_b32 v[166:167], v118 offset1:1
	ds_read2_b32 v[172:173], v121 offset1:1
	;; [unrolled: 1-line block ×3, first 2 shown]
	s_waitcnt lgkmcnt(3)
	v_dot4c_i32_i8_e32 v19, v164, v8
	v_dot4c_i32_i8_e32 v19, v165, v9
	;; [unrolled: 1-line block ×3, first 2 shown]
	s_waitcnt lgkmcnt(2)
	v_dot4c_i32_i8_e32 v19, v166, v2
	v_dot4c_i32_i8_e32 v185, v179, v3
	v_dot4c_i32_i8_e32 v19, v167, v3
	v_dot4c_i32_i8_e32 v185, v180, v4
	s_waitcnt lgkmcnt(1)
	v_dot4c_i32_i8_e32 v19, v172, v4
	v_lshrrev_b32_e32 v187, 24, v170
	v_dot4c_i32_i8_e32 v185, v181, v5
	v_dot4c_i32_i8_e32 v19, v173, v5
	v_cvt_f32_ubyte2_e32 v163, v171
	v_cvt_f32_ubyte2_e32 v162, v169
	v_mul_lo_u32 v118, v185, v186
	v_mul_lo_u32 v19, v19, v187
	v_cvt_f32_i32_e32 v165, v19
	v_cvt_f32_i32_e32 v164, v118
	v_mov_b32_e32 v118, v109
	v_pk_fma_f32 v[162:163], v[118:119], v[162:163], 0 op_sel_hi:[0,1,0]
	v_mov_b32_e32 v118, v111
	v_pk_fma_f32 v[160:161], v[118:119], v[164:165], v[160:161] op_sel_hi:[0,1,1]
	v_cvt_f32_ubyte3_e32 v165, v171
	v_cvt_f32_ubyte3_e32 v164, v169
	v_mov_b32_e32 v118, v115
	v_mov_b32_e32 v19, 0
	v_pk_fma_f32 v[162:163], v[118:119], v[164:165], v[162:163] op_sel_hi:[0,1,1]
	s_waitcnt lgkmcnt(0)
	v_dot4c_i32_i8_e32 v19, v176, v14
	v_add_u32_e32 v14, 0x41c8, v136
	v_pk_mul_f32 v[162:163], v[162:163], v[182:183]
	v_dot4c_i32_i8_e32 v19, v177, v15
	ds_read2_b32 v[14:15], v14 offset1:1
	v_pk_fma_f32 v[160:161], v[160:161], v[174:175], v[162:163] neg_lo:[0,0,1] neg_hi:[0,0,1]
	v_add_u32_e32 v118, 0x41d0, v136
	v_add_u32_e32 v164, 0x41e0, v136
	v_pk_add_f32 v[44:45], v[44:45], v[160:161]
	v_add_u32_e32 v121, 0x41d8, v136
	ds_read2_b32 v[160:161], v118 offset1:1
	ds_read2_b32 v[162:163], v121 offset1:1
	ds_read2_b32 v[164:165], v164 offset1:1
	s_waitcnt lgkmcnt(3)
	v_dot4c_i32_i8_e32 v19, v14, v16
	v_dot4c_i32_i8_e32 v19, v15, v17
	v_mov_b32_e32 v16, 0
	s_waitcnt lgkmcnt(2)
	v_dot4c_i32_i8_e32 v19, v160, v10
	s_waitcnt lgkmcnt(0)
	v_dot4c_i32_i8_e32 v16, v164, v6
	v_add_u32_e32 v6, 0x41e8, v136
	v_dot4c_i32_i8_e32 v19, v161, v11
	v_dot4c_i32_i8_e32 v16, v165, v7
	ds_read2_b32 v[6:7], v6 offset1:1
	v_dot4c_i32_i8_e32 v19, v162, v12
	v_add_u32_e32 v12, 0x41f0, v136
	v_dot4c_i32_i8_e32 v19, v163, v13
	ds_read2_b32 v[12:13], v12 offset1:1
	v_add_u32_e32 v14, 0x41f8, v136
	ds_read2_b32 v[14:15], v14 offset1:1
	s_waitcnt lgkmcnt(2)
	v_dot4c_i32_i8_e32 v16, v6, v8
	v_dot4c_i32_i8_e32 v16, v7, v9
	s_waitcnt lgkmcnt(1)
	v_dot4c_i32_i8_e32 v16, v12, v2
	v_cvt_f32_i32_e32 v102, v102
	v_dot4c_i32_i8_e32 v16, v13, v3
	v_cvt_f32_i32_e32 v106, v106
	v_bfe_u32 v10, v104, 16, 8
	s_waitcnt lgkmcnt(0)
	v_dot4c_i32_i8_e32 v16, v14, v4
	v_lshrrev_b32_e32 v120, 24, v104
	v_mul_lo_u32 v10, v19, v10
	v_dot4c_i32_i8_e32 v16, v15, v5
	v_cvt_f32_f16_sdwa v5, v119 dst_sel:DWORD dst_unused:UNUSED_PAD src0_sel:WORD_1
	v_cvt_f32_ubyte0_e32 v103, v105
	v_cvt_f32_i32_e32 v10, v10
	v_mul_lo_u32 v2, v16, v120
	v_cvt_f32_f16_e32 v4, v119
	v_mov_b32_e32 v6, v112
	v_mov_b32_e32 v7, v108
	v_cvt_f32_ubyte1_e32 v107, v105
	v_cvt_f32_i32_e32 v2, v2
	v_pk_fma_f32 v[6:7], v[6:7], v[102:103], 0 op_sel_hi:[1,1,0]
	v_mov_b32_e32 v8, v110
	v_mov_b32_e32 v9, v114
	v_pk_fma_f32 v[6:7], v[8:9], v[106:107], v[6:7]
	v_cvt_f32_ubyte2_e32 v11, v105
	v_mul_f32_e32 v8, v7, v5
	v_mov_b32_e32 v108, v113
	v_cvt_f32_ubyte3_e32 v3, v105
	v_pk_fma_f32 v[6:7], v[6:7], v[4:5], v[8:9] op_sel_hi:[1,1,0] neg_lo:[0,0,1] neg_hi:[0,0,1]
	v_pk_fma_f32 v[8:9], v[108:109], v[10:11], 0 op_sel_hi:[1,1,0]
	v_mov_b32_e32 v114, v111
	v_pk_fma_f32 v[2:3], v[114:115], v[2:3], v[8:9]
	v_mov_b32_e32 v7, v116
	v_mul_f32_e32 v8, v3, v5
	v_pk_fma_f32 v[2:3], v[2:3], v[4:5], v[8:9] op_sel_hi:[1,1,0] neg_lo:[0,0,1] neg_hi:[0,0,1]
	v_pk_add_f32 v[4:5], v[82:83], v[6:7]
	v_mov_b32_e32 v3, v117
	v_pk_add_f32 v[82:83], v[4:5], v[2:3]
	s_barrier
.LBB233_5:                              ;   in Loop: Header=BB233_6 Depth=1
	s_add_i32 s23, s23, -1
	s_addk_i32 s14, 0x100
	v_add_u32_e32 v138, 8, v138
	v_add_u32_e32 v134, 8, v134
	;; [unrolled: 1-line block ×3, first 2 shown]
	v_lshl_add_u64 v[24:25], v[24:25], 0, s[8:9]
	v_lshl_add_u64 v[26:27], v[26:27], 0, s[8:9]
	;; [unrolled: 1-line block ×36, first 2 shown]
	s_cmp_eq_u32 s23, 0
	v_lshl_add_u64 v[100:101], v[100:101], 0, s[8:9]
	s_cbranch_scc1 .LBB233_17
.LBB233_6:                              ; =>This Inner Loop Header: Depth=1
	v_lshl_add_u64 v[2:3], v[26:27], 0, s[16:17]
	global_load_dword v12, v[2:3], off
	v_lshl_add_u64 v[2:3], v[24:25], 0, s[16:17]
	global_load_dword v13, v[2:3], off
	;; [unrolled: 2-line block ×12, first 2 shown]
	v_lshl_add_u64 v[2:3], v[52:53], 0, s[16:17]
	v_lshl_add_u64 v[4:5], v[50:51], 0, s[16:17]
	global_load_dword v107, v[2:3], off
	global_load_dword v108, v[4:5], off
	v_lshl_add_u64 v[6:7], v[56:57], 0, s[16:17]
	v_lshl_add_u64 v[8:9], v[54:55], 0, s[16:17]
	;; [unrolled: 1-line block ×5, first 2 shown]
	global_load_dword v6, v[6:7], off
	s_nop 0
	global_load_dword v7, v[8:9], off
	s_nop 0
	global_load_dword v8, v[2:3], off
	global_load_dword v9, v[10:11], off
	s_nop 0
	global_load_dword v4, v[4:5], off
	s_add_i32 s2, s14, 0xffffff80
	s_cmp_lt_i32 s2, s15
	s_waitcnt vmcnt(18)
	v_lshrrev_b32_e32 v3, 4, v12
	v_and_b32_e32 v2, 0xf0f0f0f, v12
	s_waitcnt vmcnt(17)
	v_ashrrev_i32_e32 v5, v122, v13
	v_ashrrev_i32_e32 v10, v123, v13
	s_waitcnt vmcnt(16)
	v_and_b32_e32 v11, 0xf0f0f0f, v14
	v_lshrrev_b32_e32 v12, 4, v14
	s_waitcnt vmcnt(15)
	v_ashrrev_i32_e32 v13, v122, v15
	v_ashrrev_i32_e32 v14, v123, v15
	s_waitcnt vmcnt(14)
	v_and_b32_e32 v15, 0xf0f0f0f, v16
	v_lshrrev_b32_e32 v16, 4, v16
	s_waitcnt vmcnt(13)
	v_ashrrev_i32_e32 v109, v122, v17
	v_ashrrev_i32_e32 v17, v123, v17
	s_waitcnt vmcnt(12)
	v_and_b32_e32 v110, 0xf0f0f0f, v19
	v_lshrrev_b32_e32 v19, 4, v19
	s_waitcnt vmcnt(11)
	v_ashrrev_i32_e32 v111, v122, v102
	v_ashrrev_i32_e32 v102, v123, v102
	v_and_b32_e32 v3, 0xf0f0f0f, v3
	v_lshlrev_b32_e32 v5, 4, v5
	v_lshlrev_b32_e32 v10, 4, v10
	s_waitcnt vmcnt(10)
	v_and_b32_e32 v112, 0xf0f0f0f, v103
	v_lshrrev_b32_e32 v103, 4, v103
	s_waitcnt vmcnt(9)
	v_ashrrev_i32_e32 v113, v122, v104
	v_ashrrev_i32_e32 v104, v123, v104
	v_and_b32_e32 v12, 0xf0f0f0f, v12
	v_lshlrev_b32_e32 v13, 4, v13
	v_lshlrev_b32_e32 v14, 4, v14
	v_and_b32_e32 v16, 0xf0f0f0f, v16
	v_lshlrev_b32_e32 v109, 4, v109
	v_lshlrev_b32_e32 v17, 4, v17
	;; [unrolled: 3-line block ×3, first 2 shown]
	v_and_or_b32 v2, v5, s24, v2
	v_and_or_b32 v3, v10, s24, v3
	v_and_b32_e32 v103, 0xf0f0f0f, v103
	v_lshlrev_b32_e32 v113, 4, v113
	v_lshlrev_b32_e32 v104, 4, v104
	v_and_or_b32 v5, v13, s24, v11
	v_and_or_b32 v10, v14, s24, v12
	;; [unrolled: 1-line block ×6, first 2 shown]
	ds_write2_b32 v124, v2, v3 offset1:8
	ds_write2_b32 v145, v5, v10 offset0:8 offset1:16
	ds_write2_b32 v146, v11, v12 offset0:16 offset1:24
	;; [unrolled: 1-line block ×3, first 2 shown]
	v_lshl_add_u64 v[2:3], v[62:63], 0, s[16:17]
	v_and_or_b32 v5, v113, s24, v112
	global_load_dword v10, v[2:3], off
	v_and_or_b32 v2, v104, s24, v103
	ds_write2_b32 v148, v5, v2 offset0:32 offset1:40
	s_waitcnt vmcnt(9)
	v_lshrrev_b32_e32 v2, 4, v105
	v_and_b32_e32 v11, 0xf0f0f0f, v2
	v_lshl_add_u64 v[2:3], v[68:69], 0, s[16:17]
	global_load_dword v12, v[2:3], off
	v_lshl_add_u64 v[2:3], v[66:67], 0, s[16:17]
	s_waitcnt vmcnt(9)
	v_ashrrev_i32_e32 v13, v122, v106
	global_load_dword v14, v[2:3], off
	v_ashrrev_i32_e32 v3, v123, v106
	v_and_b32_e32 v5, 0xf0f0f0f, v105
	v_lshlrev_b32_e32 v2, 4, v13
	v_lshlrev_b32_e32 v3, 4, v3
	v_and_or_b32 v5, v2, s24, v5
	v_and_or_b32 v11, v3, s24, v11
	v_lshl_add_u64 v[2:3], v[72:73], 0, s[16:17]
	global_load_dword v13, v[2:3], off
	v_lshl_add_u64 v[2:3], v[70:71], 0, s[16:17]
	ds_write2_b32 v149, v5, v11 offset0:40 offset1:48
	global_load_dword v5, v[2:3], off
	s_waitcnt vmcnt(11)
	v_lshrrev_b32_e32 v2, 4, v107
	v_and_b32_e32 v15, 0xf0f0f0f, v2
	s_waitcnt vmcnt(10)
	v_ashrrev_i32_e32 v2, v122, v108
	v_lshlrev_b32_e32 v16, 4, v2
	v_lshl_add_u64 v[2:3], v[76:77], 0, s[16:17]
	global_load_dword v17, v[2:3], off
	v_ashrrev_i32_e32 v19, v123, v108
	v_lshl_add_u64 v[2:3], v[74:75], 0, s[16:17]
	v_and_b32_e32 v11, 0xf0f0f0f, v107
	global_load_dword v102, v[2:3], off
	v_lshlrev_b32_e32 v2, 4, v19
	v_and_or_b32 v3, v16, s24, v11
	v_and_or_b32 v2, v2, s24, v15
	ds_write2_b32 v150, v3, v2 offset0:48 offset1:56
	v_lshl_add_u64 v[2:3], v[80:81], 0, s[16:17]
	global_load_dword v15, v[2:3], off
	v_lshl_add_u64 v[2:3], v[78:79], 0, s[16:17]
	global_load_dword v16, v[2:3], off
	s_waitcnt vmcnt(12)
	v_ashrrev_i32_e32 v2, v122, v7
	v_lshlrev_b32_e32 v19, 4, v2
	v_ashrrev_i32_e32 v2, v123, v7
	v_and_b32_e32 v11, 0xf0f0f0f, v6
	v_lshrrev_b32_e32 v6, 4, v6
	v_lshlrev_b32_e32 v7, 4, v2
	v_lshl_add_u64 v[2:3], v[86:87], 0, s[16:17]
	v_and_b32_e32 v6, 0xf0f0f0f, v6
	global_load_dword v103, v[2:3], off
	v_lshl_add_u64 v[2:3], v[84:85], 0, s[16:17]
	v_and_or_b32 v11, v19, s24, v11
	global_load_dword v19, v[2:3], off
	v_and_or_b32 v2, v7, s24, v6
	ds_write2_b32 v151, v11, v2 offset0:56 offset1:64
	s_waitcnt vmcnt(13)
	v_lshrrev_b32_e32 v2, 4, v8
	v_and_b32_e32 v7, 0xf0f0f0f, v2
	v_lshl_add_u64 v[2:3], v[90:91], 0, s[16:17]
	v_and_b32_e32 v6, 0xf0f0f0f, v8
	global_load_dword v8, v[2:3], off
	s_waitcnt vmcnt(13)
	v_ashrrev_i32_e32 v11, v122, v9
	v_lshl_add_u64 v[2:3], v[88:89], 0, s[16:17]
	global_load_dword v104, v[2:3], off
	v_lshlrev_b32_e32 v2, 4, v11
	v_ashrrev_i32_e32 v3, v123, v9
	v_lshlrev_b32_e32 v9, 4, v3
	v_and_or_b32 v6, v2, s24, v6
	v_lshl_add_u64 v[2:3], v[92:93], 0, s[16:17]
	global_load_dword v11, v[2:3], off
	v_lshl_add_u64 v[2:3], v[96:97], 0, s[16:17]
	global_load_dword v105, v[2:3], off
	;; [unrolled: 2-line block ×3, first 2 shown]
	v_lshl_add_u64 v[2:3], v[100:101], 0, s[16:17]
	v_and_or_b32 v7, v9, s24, v7
	global_load_dword v9, v[2:3], off
	v_lshl_add_u64 v[2:3], v[98:99], 0, s[16:17]
	global_load_dword v2, v[2:3], off
	ds_write2_b32 v152, v6, v7 offset0:64 offset1:72
	s_waitcnt vmcnt(18)
	v_and_b32_e32 v3, 0xf0f0f0f, v4
	v_lshrrev_b32_e32 v4, 4, v4
	v_and_b32_e32 v4, 0xf0f0f0f, v4
	s_waitcnt vmcnt(17)
	v_ashrrev_i32_e32 v6, v122, v10
	v_ashrrev_i32_e32 v7, v123, v10
	v_lshlrev_b32_e32 v6, 4, v6
	v_lshlrev_b32_e32 v7, 4, v7
	v_and_or_b32 v3, v6, s24, v3
	v_and_or_b32 v4, v7, s24, v4
	ds_write2_b32 v153, v3, v4 offset0:72 offset1:80
	s_waitcnt vmcnt(16)
	v_lshrrev_b32_e32 v4, 4, v12
	v_and_b32_e32 v3, 0xf0f0f0f, v12
	s_waitcnt vmcnt(15)
	v_ashrrev_i32_e32 v6, v122, v14
	v_ashrrev_i32_e32 v7, v123, v14
	v_and_b32_e32 v4, 0xf0f0f0f, v4
	v_lshlrev_b32_e32 v6, 4, v6
	v_lshlrev_b32_e32 v7, 4, v7
	v_and_or_b32 v3, v6, s24, v3
	v_and_or_b32 v4, v7, s24, v4
	ds_write2_b32 v154, v3, v4 offset0:80 offset1:88
	s_waitcnt vmcnt(14)
	v_lshrrev_b32_e32 v4, 4, v13
	v_and_b32_e32 v3, 0xf0f0f0f, v13
	v_and_b32_e32 v4, 0xf0f0f0f, v4
	s_waitcnt vmcnt(13)
	v_ashrrev_i32_e32 v6, v122, v5
	v_ashrrev_i32_e32 v5, v123, v5
	v_lshlrev_b32_e32 v6, 4, v6
	v_lshlrev_b32_e32 v5, 4, v5
	v_and_or_b32 v3, v6, s24, v3
	v_and_or_b32 v4, v5, s24, v4
	ds_write2_b32 v155, v3, v4 offset0:88 offset1:96
	s_waitcnt vmcnt(12)
	v_lshrrev_b32_e32 v4, 4, v17
	v_and_b32_e32 v3, 0xf0f0f0f, v17
	v_and_b32_e32 v4, 0xf0f0f0f, v4
	s_waitcnt vmcnt(11)
	v_ashrrev_i32_e32 v5, v122, v102
	v_ashrrev_i32_e32 v6, v123, v102
	v_lshlrev_b32_e32 v5, 4, v5
	v_lshlrev_b32_e32 v6, 4, v6
	v_and_or_b32 v3, v5, s24, v3
	v_and_or_b32 v4, v6, s24, v4
	ds_write2_b32 v156, v3, v4 offset0:96 offset1:104
	s_waitcnt vmcnt(10)
	v_lshrrev_b32_e32 v4, 4, v15
	s_waitcnt vmcnt(9)
	v_ashrrev_i32_e32 v5, v122, v16
	v_ashrrev_i32_e32 v6, v123, v16
	v_and_b32_e32 v3, 0xf0f0f0f, v15
	v_and_b32_e32 v4, 0xf0f0f0f, v4
	v_lshlrev_b32_e32 v5, 4, v5
	v_lshlrev_b32_e32 v6, 4, v6
	v_and_or_b32 v3, v5, s24, v3
	v_and_or_b32 v4, v6, s24, v4
	ds_write2_b32 v157, v3, v4 offset0:104 offset1:112
	s_waitcnt vmcnt(8)
	v_lshrrev_b32_e32 v4, 4, v103
	v_and_b32_e32 v3, 0xf0f0f0f, v103
	v_and_b32_e32 v4, 0xf0f0f0f, v4
	s_waitcnt vmcnt(7)
	v_ashrrev_i32_e32 v5, v122, v19
	v_ashrrev_i32_e32 v6, v123, v19
	v_lshlrev_b32_e32 v5, 4, v5
	v_lshlrev_b32_e32 v6, 4, v6
	v_and_or_b32 v3, v5, s24, v3
	v_and_or_b32 v4, v6, s24, v4
	ds_write2_b32 v158, v3, v4 offset0:112 offset1:120
	s_waitcnt vmcnt(6)
	v_lshrrev_b32_e32 v4, 4, v8
	v_and_b32_e32 v3, 0xf0f0f0f, v8
	v_and_b32_e32 v4, 0xf0f0f0f, v4
	s_waitcnt vmcnt(5)
	v_ashrrev_i32_e32 v5, v122, v104
	v_ashrrev_i32_e32 v6, v123, v104
	v_lshlrev_b32_e32 v5, 4, v5
	v_lshlrev_b32_e32 v6, 4, v6
	v_and_or_b32 v3, v5, s24, v3
	v_and_or_b32 v4, v6, s24, v4
	ds_write2_b32 v159, v3, v4 offset0:120 offset1:128
	s_waitcnt vmcnt(4)
	ds_write_b32 v125, v11
	s_waitcnt vmcnt(3)
	v_ashrrev_i32_e32 v3, v126, v105
	v_and_b32_e32 v3, 0xf0f0f0f, v3
	s_waitcnt vmcnt(2)
	v_ashrrev_i32_e32 v4, v127, v106
	v_and_or_b32 v3, v4, s25, v3
	ds_write_b32 v128, v3
	s_waitcnt vmcnt(1)
	v_ashrrev_i32_e32 v3, v126, v9
	v_and_b32_e32 v3, 0xf0f0f0f, v3
	s_waitcnt vmcnt(0)
	v_ashrrev_i32_e32 v2, v127, v2
	v_and_or_b32 v2, v2, s25, v3
	ds_write_b32 v129, v2
	s_cbranch_scc0 .LBB233_5
; %bb.7:                                ;   in Loop: Header=BB233_6 Depth=1
	v_cmp_gt_i32_e64 s[2:3], s5, v134
	s_and_b64 s[20:21], s[0:1], s[2:3]
	s_and_saveexec_b64 s[2:3], s[20:21]
	s_cbranch_execz .LBB233_9
; %bb.8:                                ;   in Loop: Header=BB233_6 Depth=1
	v_add_u32_e32 v2, v22, v134
	v_mad_i64_i32 v[2:3], s[20:21], v2, 36, v[20:21]
	global_load_dword v2, v[2:3], off offset:4
	s_waitcnt vmcnt(0)
	ds_write_b32 v132, v2
.LBB233_9:                              ;   in Loop: Header=BB233_6 Depth=1
	s_or_b64 exec, exec, s[2:3]
	v_cmp_gt_i32_e64 s[2:3], s5, v18
	s_and_b64 s[20:21], s[18:19], s[2:3]
	s_and_saveexec_b64 s[2:3], s[20:21]
	s_cbranch_execz .LBB233_11
; %bb.10:                               ;   in Loop: Header=BB233_6 Depth=1
	v_add_u32_e32 v2, v22, v18
	v_mad_i64_i32 v[2:3], s[20:21], v2, 36, s[10:11]
	global_load_dword v2, v[2:3], off
	v_add_u32_e32 v3, v130, v133
	s_waitcnt vmcnt(0)
	ds_write_b32 v3, v2
.LBB233_11:                             ;   in Loop: Header=BB233_6 Depth=1
	s_or_b64 exec, exec, s[2:3]
	s_waitcnt lgkmcnt(0)
	s_barrier
	ds_read_b128 v[14:17], v131
	ds_read_b128 v[10:13], v131 offset:16
	ds_read2_b32 v[102:103], v136 offset1:1
	ds_read_b128 v[6:9], v131 offset:32
	ds_read_b128 v[2:5], v131 offset:48
	;; [unrolled: 1-line block ×3, first 2 shown]
	ds_read2_b32 v[104:105], v136 offset0:2 offset1:3
	v_mov_b32_e32 v19, 0
	s_waitcnt lgkmcnt(4)
	v_dot4c_i32_i8_e32 v19, v102, v14
	v_dot4c_i32_i8_e32 v19, v103, v15
	ds_read2_b32 v[102:103], v136 offset0:4 offset1:5
	ds_read2_b32 v[106:107], v136 offset0:6 offset1:7
	;; [unrolled: 1-line block ×3, first 2 shown]
	s_waitcnt lgkmcnt(3)
	v_dot4c_i32_i8_e32 v19, v104, v16
	v_dot4c_i32_i8_e32 v19, v105, v17
	s_waitcnt lgkmcnt(2)
	v_dot4c_i32_i8_e32 v19, v102, v10
	v_dot4c_i32_i8_e32 v19, v103, v11
	ds_read2_b32 v[102:103], v136 offset0:10 offset1:11
	v_mov_b32_e32 v179, 0
	s_waitcnt lgkmcnt(1)
	v_dot4c_i32_i8_e32 v179, v108, v6
	v_dot4c_i32_i8_e32 v179, v109, v7
	v_dot4c_i32_i8_e32 v19, v106, v12
	s_waitcnt lgkmcnt(0)
	v_dot4c_i32_i8_e32 v179, v102, v8
	v_add_u32_e32 v102, 0x2080, v136
	ds_read2_b32 v[104:105], v135 offset1:2
	v_dot4c_i32_i8_e32 v19, v107, v13
	ds_read2_b32 v[106:107], v136 offset0:12 offset1:13
	ds_read2_b32 v[108:109], v136 offset0:14 offset1:15
	;; [unrolled: 1-line block ×3, first 2 shown]
	v_dot4c_i32_i8_e32 v179, v103, v9
	ds_read2_b32 v[102:103], v102 offset1:1
	v_mov_b32_e32 v180, 0
	ds_read_b32 v181, v140 offset:128
	ds_read_b32 v160, v142 offset:256
	;; [unrolled: 1-line block ×3, first 2 shown]
	s_waitcnt lgkmcnt(6)
	v_dot4c_i32_i8_e32 v179, v106, v2
	v_dot4c_i32_i8_e32 v179, v107, v3
	s_waitcnt lgkmcnt(3)
	v_dot4c_i32_i8_e32 v180, v102, v14
	v_add_u32_e32 v102, 0x2088, v136
	v_dot4c_i32_i8_e32 v180, v103, v15
	ds_read2_b32 v[102:103], v102 offset1:1
	v_dot4c_i32_i8_e32 v179, v108, v4
	v_add_u32_e32 v106, 0x2090, v136
	v_add_u32_e32 v108, 0x2098, v136
	v_dot4c_i32_i8_e32 v179, v109, v5
	v_add_u32_e32 v110, 0x20a0, v136
	ds_read2_b32 v[106:107], v106 offset1:1
	ds_read2_b32 v[108:109], v108 offset1:1
	;; [unrolled: 1-line block ×3, first 2 shown]
	s_waitcnt lgkmcnt(3)
	v_dot4c_i32_i8_e32 v180, v102, v16
	v_add_u32_e32 v102, 0x20a8, v136
	v_dot4c_i32_i8_e32 v180, v103, v17
	ds_read2_b32 v[102:103], v102 offset1:1
	s_waitcnt lgkmcnt(3)
	v_dot4c_i32_i8_e32 v180, v106, v10
	v_dot4c_i32_i8_e32 v180, v107, v11
	v_mov_b32_e32 v184, 0
	s_waitcnt lgkmcnt(2)
	v_dot4c_i32_i8_e32 v180, v108, v12
	s_waitcnt lgkmcnt(1)
	v_dot4c_i32_i8_e32 v184, v114, v6
	v_add_u32_e32 v106, 0x20b0, v136
	v_add_u32_e32 v108, 0x20b8, v136
	v_add_u32_e32 v114, 0x4100, v136
	ds_read2_b32 v[110:111], v139 offset1:2
	v_dot4c_i32_i8_e32 v180, v109, v13
	v_dot4c_i32_i8_e32 v184, v115, v7
	ds_read2_b32 v[106:107], v106 offset1:1
	ds_read2_b32 v[108:109], v108 offset1:1
	;; [unrolled: 1-line block ×3, first 2 shown]
	s_waitcnt lgkmcnt(4)
	v_dot4c_i32_i8_e32 v184, v102, v8
	v_add_u32_e32 v102, 0x4108, v136
	v_dot4c_i32_i8_e32 v184, v103, v9
	ds_read2_b32 v[102:103], v102 offset1:1
	s_waitcnt lgkmcnt(3)
	v_dot4c_i32_i8_e32 v184, v106, v2
	v_dot4c_i32_i8_e32 v184, v107, v3
	v_mov_b32_e32 v118, 0
	s_waitcnt lgkmcnt(2)
	v_dot4c_i32_i8_e32 v184, v108, v4
	s_waitcnt lgkmcnt(1)
	v_dot4c_i32_i8_e32 v118, v114, v14
	v_add_u32_e32 v106, 0x4110, v136
	v_add_u32_e32 v116, 0x4120, v136
	v_dot4c_i32_i8_e32 v184, v109, v5
	v_dot4c_i32_i8_e32 v118, v115, v15
	v_add_u32_e32 v107, 0x4118, v136
	ds_read2_b32 v[108:109], v106 offset1:1
	ds_read2_b32 v[114:115], v107 offset1:1
	;; [unrolled: 1-line block ×3, first 2 shown]
	s_waitcnt lgkmcnt(3)
	v_dot4c_i32_i8_e32 v118, v102, v16
	ds_read2_b32 v[106:107], v141 offset1:2
	v_dot4c_i32_i8_e32 v118, v103, v17
	s_waitcnt lgkmcnt(3)
	v_dot4c_i32_i8_e32 v118, v108, v10
	v_add_u32_e32 v108, 0x4128, v136
	v_dot4c_i32_i8_e32 v118, v109, v11
	ds_read2_b32 v[108:109], v108 offset1:1
	s_waitcnt lgkmcnt(3)
	v_dot4c_i32_i8_e32 v118, v114, v12
	v_dot4c_i32_i8_e32 v118, v115, v13
	s_waitcnt lgkmcnt(1)
	v_and_b32_e32 v102, 0xff, v106
	v_mov_b32_e32 v120, 0
	v_dot4c_i32_i8_e32 v120, v116, v6
	v_mul_lo_u32 v102, v118, v102
	v_add_u32_e32 v114, 0x4130, v136
	v_add_u32_e32 v116, 0x4138, v136
	;; [unrolled: 1-line block ×3, first 2 shown]
	v_dot4c_i32_i8_e32 v120, v117, v7
	ds_read2_b32 v[114:115], v114 offset1:1
	ds_read2_b32 v[116:117], v116 offset1:1
	;; [unrolled: 1-line block ×3, first 2 shown]
	s_waitcnt lgkmcnt(3)
	v_dot4c_i32_i8_e32 v120, v108, v8
	v_dot4c_i32_i8_e32 v120, v109, v9
	s_waitcnt lgkmcnt(2)
	v_dot4c_i32_i8_e32 v120, v114, v2
	v_dot4c_i32_i8_e32 v120, v115, v3
	v_mov_b32_e32 v167, 0
	s_waitcnt lgkmcnt(1)
	v_dot4c_i32_i8_e32 v120, v116, v4
	s_waitcnt lgkmcnt(0)
	v_dot4c_i32_i8_e32 v167, v118, v14
	v_add_u32_e32 v14, 0x6188, v136
	v_add_u32_e32 v114, 0x6190, v136
	;; [unrolled: 1-line block ×4, first 2 shown]
	v_dot4c_i32_i8_e32 v120, v117, v5
	v_dot4c_i32_i8_e32 v167, v119, v15
	ds_read2_b32 v[14:15], v14 offset1:1
	ds_read2_b32 v[114:115], v114 offset1:1
	;; [unrolled: 1-line block ×4, first 2 shown]
	v_mov_b32_e32 v186, 0
	v_mov_b32_e32 v187, 0
	v_bfe_u32 v108, v106, 8, 8
	s_waitcnt lgkmcnt(3)
	v_dot4c_i32_i8_e32 v167, v14, v16
	s_waitcnt lgkmcnt(0)
	v_dot4c_i32_i8_e32 v186, v118, v6
	v_add_u32_e32 v6, 0x61a8, v136
	v_dot4c_i32_i8_e32 v167, v15, v17
	v_dot4c_i32_i8_e32 v186, v119, v7
	ds_read2_b32 v[6:7], v6 offset1:1
	v_dot4c_i32_i8_e32 v167, v114, v10
	v_dot4c_i32_i8_e32 v167, v115, v11
	;; [unrolled: 1-line block ×3, first 2 shown]
	v_add_u32_e32 v10, 0x61b0, v136
	v_add_u32_e32 v12, 0x61b8, v136
	v_dot4c_i32_i8_e32 v167, v117, v13
	v_add_u32_e32 v14, 0x61c0, v136
	ds_read2_b32 v[10:11], v10 offset1:1
	ds_read2_b32 v[12:13], v12 offset1:1
	;; [unrolled: 1-line block ×3, first 2 shown]
	s_waitcnt lgkmcnt(3)
	v_dot4c_i32_i8_e32 v186, v6, v8
	v_dot4c_i32_i8_e32 v186, v7, v9
	s_waitcnt lgkmcnt(2)
	v_dot4c_i32_i8_e32 v186, v10, v2
	v_dot4c_i32_i8_e32 v186, v11, v3
	;; [unrolled: 3-line block ×3, first 2 shown]
	ds_read_b128 v[14:17], v131 offset:64
	ds_read_b128 v[10:13], v131 offset:80
	;; [unrolled: 1-line block ×4, first 2 shown]
	ds_read2_b32 v[114:115], v136 offset0:18 offset1:19
	s_waitcnt lgkmcnt(4)
	v_dot4c_i32_i8_e32 v187, v112, v14
	v_dot4c_i32_i8_e32 v187, v113, v15
	ds_read2_b32 v[112:113], v136 offset0:20 offset1:21
	ds_read2_b32 v[116:117], v136 offset0:22 offset1:23
	;; [unrolled: 1-line block ×3, first 2 shown]
	v_mul_lo_u32 v108, v120, v108
	s_waitcnt lgkmcnt(3)
	v_dot4c_i32_i8_e32 v187, v114, v16
	v_mov_b32_e32 v114, 0
	v_dot4c_i32_i8_e32 v114, v118, v14
	v_add_u32_e32 v118, 0x61c8, v136
	v_dot4c_i32_i8_e32 v187, v115, v17
	v_dot4c_i32_i8_e32 v114, v119, v15
	ds_read2_b32 v[118:119], v118 offset1:1
	s_waitcnt lgkmcnt(3)
	v_dot4c_i32_i8_e32 v187, v112, v10
	v_dot4c_i32_i8_e32 v187, v113, v11
	v_cvt_f32_f16_e32 v120, v121
	v_cvt_f32_f16_sdwa v166, v121 dst_sel:DWORD dst_unused:UNUSED_PAD src0_sel:WORD_1
	s_waitcnt lgkmcnt(2)
	v_dot4c_i32_i8_e32 v187, v116, v12
	v_add_u32_e32 v121, 0x61d0, v136
	v_dot4c_i32_i8_e32 v187, v117, v13
	v_cvt_f32_f16_e32 v117, v164
	v_cvt_f32_f16_e32 v116, v162
	v_cvt_f32_f16_sdwa v113, v164 dst_sel:DWORD dst_unused:UNUSED_PAD src0_sel:WORD_1
	v_cvt_f32_f16_sdwa v112, v162 dst_sel:DWORD dst_unused:UNUSED_PAD src0_sel:WORD_1
	v_add_u32_e32 v162, 0x61d8, v136
	v_add_u32_e32 v164, 0x61e0, v136
	ds_read2_b32 v[170:171], v121 offset1:1
	ds_read2_b32 v[172:173], v162 offset1:1
	ds_read2_b32 v[174:175], v164 offset1:1
	s_waitcnt lgkmcnt(3)
	v_dot4c_i32_i8_e32 v114, v118, v16
	ds_read2_b32 v[176:177], v143 offset1:2
	v_dot4c_i32_i8_e32 v114, v119, v17
	s_waitcnt lgkmcnt(3)
	v_dot4c_i32_i8_e32 v114, v170, v10
	v_dot4c_i32_i8_e32 v114, v171, v11
	s_waitcnt lgkmcnt(2)
	v_dot4c_i32_i8_e32 v114, v172, v12
	v_dot4c_i32_i8_e32 v114, v173, v13
	s_waitcnt lgkmcnt(0)
	v_and_b32_e32 v118, 0xff, v176
	v_bfe_u32 v119, v176, 16, 8
	v_mul_lo_u32 v118, v167, v118
	v_mul_lo_u32 v114, v114, v119
	v_add_u32_e32 v164, 0x61e8, v136
	v_cvt_f32_f16_e32 v115, v165
	v_cvt_f32_i32_e32 v171, v114
	v_cvt_f32_i32_e32 v170, v118
	v_cvt_f32_f16_sdwa v119, v165 dst_sel:DWORD dst_unused:UNUSED_PAD src0_sel:WORD_1
	ds_read2_b32 v[164:165], v164 offset1:1
	v_mov_b32_e32 v121, 0
	v_mov_b32_e32 v188, 0
	v_dot4c_i32_i8_e32 v121, v174, v6
	v_add_u32_e32 v167, 0x61f0, v136
	v_add_u32_e32 v174, 0x20c0, v136
	v_dot4c_i32_i8_e32 v188, v168, v6
	v_cvt_f32_f16_e32 v114, v163
	v_cvt_f32_f16_sdwa v118, v163 dst_sel:DWORD dst_unused:UNUSED_PAD src0_sel:WORD_1
	v_pk_fma_f32 v[162:163], v[116:117], v[170:171], 0 op_sel_hi:[1,1,0]
	v_dot4c_i32_i8_e32 v121, v175, v7
	v_add_u32_e32 v168, 0x61f8, v136
	ds_read2_b32 v[170:171], v167 offset1:1
	ds_read2_b32 v[172:173], v168 offset1:1
	;; [unrolled: 1-line block ×3, first 2 shown]
	s_waitcnt lgkmcnt(3)
	v_dot4c_i32_i8_e32 v121, v164, v8
	v_dot4c_i32_i8_e32 v121, v165, v9
	s_waitcnt lgkmcnt(2)
	v_dot4c_i32_i8_e32 v121, v170, v2
	v_dot4c_i32_i8_e32 v121, v171, v3
	;; [unrolled: 3-line block ×3, first 2 shown]
	v_lshrrev_b32_e32 v164, 24, v176
	v_bfe_u32 v165, v176, 8, 8
	v_mul_lo_u32 v167, v186, v165
	v_mul_lo_u32 v121, v121, v164
	v_cvt_f32_i32_e32 v165, v121
	v_cvt_f32_i32_e32 v164, v167
	v_cvt_f32_ubyte2_e32 v171, v177
	v_cvt_f32_ubyte0_e32 v170, v177
	v_pk_fma_f32 v[170:171], v[112:113], v[170:171], 0 op_sel_hi:[1,1,0]
	v_pk_fma_f32 v[162:163], v[114:115], v[164:165], v[162:163]
	v_cvt_f32_ubyte3_e32 v165, v177
	v_cvt_f32_ubyte1_e32 v164, v177
	v_pk_fma_f32 v[164:165], v[118:119], v[164:165], v[170:171]
	v_and_b32_e32 v178, 0xff, v104
	v_pk_mul_f32 v[164:165], v[164:165], v[166:167] op_sel_hi:[1,0]
	v_and_b32_e32 v183, 0xff, v110
	v_pk_fma_f32 v[120:121], v[162:163], v[120:121], v[164:165] op_sel_hi:[1,0,1] neg_lo:[0,0,1] neg_hi:[0,0,1]
	ds_read2_b32 v[162:163], v136 offset0:26 offset1:27
	v_dot4c_i32_i8_e32 v188, v169, v7
	ds_read_b32 v186, v137
	ds_read2_b32 v[164:165], v136 offset0:28 offset1:29
	ds_read2_b32 v[166:167], v136 offset0:30 offset1:31
	v_mul_lo_u32 v19, v19, v178
	v_cvt_f32_i32_e32 v168, v19
	s_waitcnt lgkmcnt(3)
	v_dot4c_i32_i8_e32 v188, v162, v8
	v_mul_lo_u32 v162, v180, v183
	v_cvt_f32_i32_e32 v169, v162
	v_bfe_u32 v19, v110, 8, 8
	v_bfe_u32 v162, v104, 8, 8
	v_mul_lo_u32 v162, v179, v162
	v_mul_lo_u32 v19, v184, v19
	v_cvt_f32_i32_e32 v173, v19
	v_cvt_f32_i32_e32 v172, v162
	v_cvt_f32_f16_e32 v179, v181
	v_cvt_f32_f16_sdwa v181, v181 dst_sel:DWORD dst_unused:UNUSED_PAD src0_sel:WORD_1
	s_waitcnt lgkmcnt(2)
	v_cvt_f32_f16_sdwa v180, v186 dst_sel:DWORD dst_unused:UNUSED_PAD src0_sel:WORD_1
	v_cvt_f32_ubyte0_e32 v171, v111
	v_cvt_f32_ubyte0_e32 v170, v105
	v_cvt_f32_f16_e32 v178, v186
	v_cvt_f32_ubyte1_e32 v177, v111
	v_cvt_f32_ubyte1_e32 v176, v105
	v_pk_fma_f32 v[170:171], v[112:113], v[170:171], 0 op_sel_hi:[0,1,0]
	v_add_u32_e32 v162, 0x20c8, v136
	v_pk_fma_f32 v[168:169], v[116:117], v[168:169], 0 op_sel_hi:[0,1,0]
	v_pk_fma_f32 v[170:171], v[118:119], v[176:177], v[170:171] op_sel_hi:[0,1,1]
	v_dot4c_i32_i8_e32 v188, v163, v9
	ds_read2_b32 v[162:163], v162 offset1:1
	v_pk_fma_f32 v[168:169], v[114:115], v[172:173], v[168:169] op_sel_hi:[0,1,1]
	v_pk_mul_f32 v[170:171], v[170:171], v[180:181]
	v_mov_b32_e32 v19, 0
	v_pk_fma_f32 v[168:169], v[168:169], v[178:179], v[170:171] neg_lo:[0,0,1] neg_hi:[0,0,1]
	s_waitcnt lgkmcnt(2)
	v_dot4c_i32_i8_e32 v188, v164, v2
	v_pk_add_f32 v[44:45], v[44:45], v[168:169]
	v_dot4c_i32_i8_e32 v19, v174, v14
	v_add_u32_e32 v164, 0x20d0, v136
	v_add_u32_e32 v168, 0x20d8, v136
	;; [unrolled: 1-line block ×3, first 2 shown]
	v_dot4c_i32_i8_e32 v188, v165, v3
	v_dot4c_i32_i8_e32 v19, v175, v15
	ds_read2_b32 v[164:165], v164 offset1:1
	ds_read2_b32 v[168:169], v168 offset1:1
	;; [unrolled: 1-line block ×3, first 2 shown]
	s_waitcnt lgkmcnt(3)
	v_dot4c_i32_i8_e32 v19, v162, v16
	v_dot4c_i32_i8_e32 v19, v163, v17
	s_waitcnt lgkmcnt(2)
	v_dot4c_i32_i8_e32 v19, v164, v10
	v_dot4c_i32_i8_e32 v19, v165, v11
	s_waitcnt lgkmcnt(1)
	v_dot4c_i32_i8_e32 v19, v168, v12
	v_lshrrev_b32_e32 v161, 24, v104
	v_lshrrev_b32_e32 v182, 24, v110
	v_dot4c_i32_i8_e32 v19, v169, v13
	v_bfe_u32 v110, v110, 16, 8
	v_bfe_u32 v104, v104, 16, 8
	v_mul_lo_u32 v104, v187, v104
	v_mul_lo_u32 v19, v19, v110
	v_cvt_f32_i32_e32 v163, v19
	v_cvt_f32_i32_e32 v162, v104
	v_mov_b32_e32 v104, v117
	v_dot4c_i32_i8_e32 v188, v166, v4
	v_dot4c_i32_i8_e32 v188, v167, v5
	v_pk_fma_f32 v[162:163], v[104:105], v[162:163], 0 op_sel_hi:[0,1,0]
	v_add_u32_e32 v104, 0x20e8, v136
	ds_read2_b32 v[166:167], v104 offset1:1
	v_mov_b32_e32 v19, 0
	s_waitcnt lgkmcnt(1)
	v_dot4c_i32_i8_e32 v19, v170, v6
	v_add_u32_e32 v104, 0x20f0, v136
	v_add_u32_e32 v172, 0x4140, v136
	v_dot4c_i32_i8_e32 v19, v171, v7
	v_add_u32_e32 v110, 0x20f8, v136
	ds_read2_b32 v[168:169], v104 offset1:1
	ds_read2_b32 v[170:171], v110 offset1:1
	;; [unrolled: 1-line block ×3, first 2 shown]
	s_waitcnt lgkmcnt(3)
	v_dot4c_i32_i8_e32 v19, v166, v8
	v_dot4c_i32_i8_e32 v19, v167, v9
	s_waitcnt lgkmcnt(2)
	v_dot4c_i32_i8_e32 v19, v168, v2
	v_dot4c_i32_i8_e32 v19, v169, v3
	s_waitcnt lgkmcnt(1)
	v_dot4c_i32_i8_e32 v19, v170, v4
	v_dot4c_i32_i8_e32 v19, v171, v5
	v_mul_lo_u32 v104, v188, v161
	v_cvt_f32_i32_e32 v166, v104
	v_cvt_f32_ubyte2_e32 v165, v111
	v_mul_lo_u32 v19, v19, v182
	v_cvt_f32_i32_e32 v167, v19
	v_cvt_f32_ubyte2_e32 v164, v105
	v_mov_b32_e32 v104, v113
	v_pk_fma_f32 v[164:165], v[104:105], v[164:165], 0 op_sel_hi:[0,1,0]
	v_mov_b32_e32 v104, v115
	v_pk_fma_f32 v[162:163], v[104:105], v[166:167], v[162:163] op_sel_hi:[0,1,1]
	v_cvt_f32_ubyte3_e32 v111, v111
	v_cvt_f32_ubyte3_e32 v110, v105
	v_mov_b32_e32 v104, v119
	v_pk_fma_f32 v[104:105], v[104:105], v[110:111], v[164:165] op_sel_hi:[0,1,1]
	v_mov_b32_e32 v19, 0
	v_pk_mul_f32 v[104:105], v[104:105], v[180:181]
	s_waitcnt lgkmcnt(0)
	v_dot4c_i32_i8_e32 v19, v172, v14
	v_add_u32_e32 v14, 0x4148, v136
	v_pk_fma_f32 v[104:105], v[162:163], v[178:179], v[104:105] neg_lo:[0,0,1] neg_hi:[0,0,1]
	v_dot4c_i32_i8_e32 v19, v173, v15
	ds_read2_b32 v[14:15], v14 offset1:1
	v_pk_add_f32 v[44:45], v[44:45], v[104:105]
	v_add_u32_e32 v104, 0x4150, v136
	v_add_u32_e32 v110, 0x4158, v136
	;; [unrolled: 1-line block ×3, first 2 shown]
	ds_read2_b32 v[104:105], v104 offset1:1
	ds_read2_b32 v[110:111], v110 offset1:1
	;; [unrolled: 1-line block ×3, first 2 shown]
	s_waitcnt lgkmcnt(3)
	v_dot4c_i32_i8_e32 v19, v14, v16
	v_dot4c_i32_i8_e32 v19, v15, v17
	v_mov_b32_e32 v16, 0
	s_waitcnt lgkmcnt(2)
	v_dot4c_i32_i8_e32 v19, v104, v10
	s_waitcnt lgkmcnt(0)
	v_dot4c_i32_i8_e32 v16, v162, v6
	v_add_u32_e32 v6, 0x4168, v136
	v_dot4c_i32_i8_e32 v19, v105, v11
	v_dot4c_i32_i8_e32 v16, v163, v7
	ds_read2_b32 v[6:7], v6 offset1:1
	v_dot4c_i32_i8_e32 v19, v110, v12
	v_add_u32_e32 v12, 0x4170, v136
	v_dot4c_i32_i8_e32 v19, v111, v13
	ds_read2_b32 v[12:13], v12 offset1:1
	v_add_u32_e32 v14, 0x4178, v136
	ds_read2_b32 v[14:15], v14 offset1:1
	s_waitcnt lgkmcnt(2)
	v_dot4c_i32_i8_e32 v16, v6, v8
	v_dot4c_i32_i8_e32 v16, v7, v9
	s_waitcnt lgkmcnt(1)
	v_dot4c_i32_i8_e32 v16, v12, v2
	v_cvt_f32_i32_e32 v102, v102
	v_dot4c_i32_i8_e32 v16, v13, v3
	v_cvt_f32_i32_e32 v108, v108
	v_bfe_u32 v10, v106, 16, 8
	s_waitcnt lgkmcnt(0)
	v_dot4c_i32_i8_e32 v16, v14, v4
	v_lshrrev_b32_e32 v185, 24, v106
	v_mul_lo_u32 v10, v19, v10
	v_dot4c_i32_i8_e32 v16, v15, v5
	v_cvt_f32_f16_sdwa v5, v160 dst_sel:DWORD dst_unused:UNUSED_PAD src0_sel:WORD_1
	v_cvt_f32_ubyte0_e32 v103, v107
	v_cvt_f32_i32_e32 v10, v10
	v_mul_lo_u32 v2, v16, v185
	v_cvt_f32_f16_e32 v4, v160
	v_mov_b32_e32 v6, v116
	v_mov_b32_e32 v7, v112
	v_cvt_f32_ubyte1_e32 v109, v107
	v_cvt_f32_i32_e32 v2, v2
	v_pk_fma_f32 v[6:7], v[6:7], v[102:103], 0 op_sel_hi:[1,1,0]
	v_mov_b32_e32 v8, v114
	v_mov_b32_e32 v9, v118
	v_pk_fma_f32 v[6:7], v[8:9], v[108:109], v[6:7]
	v_cvt_f32_ubyte2_e32 v11, v107
	v_mul_f32_e32 v8, v7, v5
	v_mov_b32_e32 v112, v117
	v_cvt_f32_ubyte3_e32 v3, v107
	v_pk_fma_f32 v[6:7], v[6:7], v[4:5], v[8:9] op_sel_hi:[1,1,0] neg_lo:[0,0,1] neg_hi:[0,0,1]
	v_pk_fma_f32 v[8:9], v[112:113], v[10:11], 0 op_sel_hi:[1,1,0]
	v_mov_b32_e32 v118, v115
	v_pk_fma_f32 v[2:3], v[118:119], v[2:3], v[8:9]
	v_mov_b32_e32 v7, v120
	v_mul_f32_e32 v8, v3, v5
	v_pk_fma_f32 v[2:3], v[2:3], v[4:5], v[8:9] op_sel_hi:[1,1,0] neg_lo:[0,0,1] neg_hi:[0,0,1]
	v_pk_add_f32 v[4:5], v[82:83], v[6:7]
	v_mov_b32_e32 v3, v121
	v_pk_add_f32 v[82:83], v[4:5], v[2:3]
	s_cmp_ge_i32 s14, s15
	s_barrier
	s_cbranch_scc1 .LBB233_5
; %bb.12:                               ;   in Loop: Header=BB233_6 Depth=1
	v_cmp_gt_i32_e64 s[2:3], s5, v138
	s_and_b64 s[20:21], s[0:1], s[2:3]
	s_and_saveexec_b64 s[2:3], s[20:21]
	s_cbranch_execz .LBB233_14
; %bb.13:                               ;   in Loop: Header=BB233_6 Depth=1
	v_add_u32_e32 v2, v22, v138
	v_mad_i64_i32 v[2:3], s[20:21], v2, 36, v[20:21]
	global_load_dword v2, v[2:3], off offset:4
	s_waitcnt vmcnt(0)
	ds_write_b32 v132, v2
.LBB233_14:                             ;   in Loop: Header=BB233_6 Depth=1
	s_or_b64 exec, exec, s[2:3]
	s_and_saveexec_b64 s[20:21], vcc
	s_cbranch_execz .LBB233_4
; %bb.15:                               ;   in Loop: Header=BB233_6 Depth=1
	v_add_u32_e32 v2, 4, v18
	v_cmp_gt_i32_e64 s[2:3], s5, v2
	s_and_b64 s[2:3], s[0:1], s[2:3]
	s_and_b64 exec, exec, s[2:3]
	s_cbranch_execz .LBB233_4
; %bb.16:                               ;   in Loop: Header=BB233_6 Depth=1
	v_ashrrev_i32_e32 v19, 31, v18
	v_lshl_add_u64 v[2:3], v[22:23], 0, v[18:19]
	v_mad_u64_u32 v[4:5], s[2:3], v2, 36, s[10:11]
	v_mad_i32_i24 v5, v3, 36, v5
	global_load_dword v2, v[4:5], off offset:144
	v_add_u32_e32 v3, v130, v133
	s_waitcnt vmcnt(0)
	ds_write_b32 v3, v2
	s_branch .LBB233_4
.LBB233_17:
	s_mul_i32 s0, s7, s4
	s_waitcnt vmcnt(0)
	v_cmp_gt_i32_e32 vcc, s0, v1
	s_and_saveexec_b64 s[0:1], vcc
	s_cbranch_execz .LBB233_26
; %bb.18:
	v_and_b32_e32 v0, 0x3ff, v0
	v_add_u32_e32 v2, s22, v0
	v_mul_lo_u32 v0, v1, s6
	v_cmp_gt_u32_e32 vcc, s6, v2
	s_and_saveexec_b64 s[0:1], vcc
	s_cbranch_execz .LBB233_20
; %bb.19:
	v_bfe_u32 v1, v44, 16, 1
	s_movk_i32 s2, 0x7fff
	v_add3_u32 v1, v44, v1, s2
	v_cmp_o_f32_e32 vcc, v44, v44
	v_mov_b32_e32 v3, 0x7fc0
	v_add_u32_e32 v4, v0, v2
	v_mov_b32_e32 v5, 0
	v_cndmask_b32_sdwa v1, v3, v1, vcc dst_sel:DWORD dst_unused:UNUSED_PAD src0_sel:DWORD src1_sel:WORD_1
	v_lshl_add_u64 v[4:5], v[4:5], 1, s[12:13]
	global_store_short v[4:5], v1, off
.LBB233_20:
	s_or_b64 exec, exec, s[0:1]
	v_add_u32_e32 v1, 32, v2
	v_cmp_gt_u32_e32 vcc, s6, v1
	s_and_saveexec_b64 s[0:1], vcc
	s_cbranch_execz .LBB233_22
; %bb.21:
	v_bfe_u32 v3, v45, 16, 1
	s_movk_i32 s2, 0x7fff
	v_add3_u32 v3, v45, v3, s2
	v_cmp_o_f32_e32 vcc, v45, v45
	v_mov_b32_e32 v4, 0x7fc0
	v_mov_b32_e32 v5, 0
	v_cndmask_b32_sdwa v3, v4, v3, vcc dst_sel:DWORD dst_unused:UNUSED_PAD src0_sel:DWORD src1_sel:WORD_1
	v_add_u32_e32 v4, v0, v1
	v_lshl_add_u64 v[4:5], v[4:5], 1, s[12:13]
	global_store_short v[4:5], v3, off
.LBB233_22:
	s_or_b64 exec, exec, s[0:1]
	v_add_u32_e32 v1, 64, v2
	v_cmp_gt_u32_e32 vcc, s6, v1
	s_and_saveexec_b64 s[0:1], vcc
	s_cbranch_execz .LBB233_24
; %bb.23:
	v_bfe_u32 v3, v82, 16, 1
	s_movk_i32 s2, 0x7fff
	v_add3_u32 v3, v82, v3, s2
	v_cmp_o_f32_e32 vcc, v82, v82
	v_mov_b32_e32 v4, 0x7fc0
	v_mov_b32_e32 v5, 0
	v_cndmask_b32_sdwa v3, v4, v3, vcc dst_sel:DWORD dst_unused:UNUSED_PAD src0_sel:DWORD src1_sel:WORD_1
	v_add_u32_e32 v4, v0, v1
	v_lshl_add_u64 v[4:5], v[4:5], 1, s[12:13]
	global_store_short v[4:5], v3, off
.LBB233_24:
	s_or_b64 exec, exec, s[0:1]
	v_add_u32_e32 v1, 0x60, v2
	v_cmp_gt_u32_e32 vcc, s6, v1
	s_and_b64 exec, exec, vcc
	s_cbranch_execz .LBB233_26
; %bb.25:
	v_bfe_u32 v2, v83, 16, 1
	s_movk_i32 s0, 0x7fff
	v_add3_u32 v2, v83, v2, s0
	v_cmp_o_f32_e32 vcc, v83, v83
	v_mov_b32_e32 v3, 0x7fc0
	v_add_u32_e32 v0, v0, v1
	v_mov_b32_e32 v1, 0
	v_cndmask_b32_sdwa v2, v3, v2, vcc dst_sel:DWORD dst_unused:UNUSED_PAD src0_sel:DWORD src1_sel:WORD_1
	v_lshl_add_u64 v[0:1], v[0:1], 1, s[12:13]
	global_store_short v[0:1], v2, off
.LBB233_26:
	s_endpgm
	.section	.rodata,"a",@progbits
	.p2align	6, 0x0
	.amdhsa_kernel _ZL8moe_q5_KIN3c108BFloat16ELb0EEvPKvS3_PT_PKiS7_S7_iiiiiii
		.amdhsa_group_segment_fixed_size 37072
		.amdhsa_private_segment_fixed_size 0
		.amdhsa_kernarg_size 76
		.amdhsa_user_sgpr_count 2
		.amdhsa_user_sgpr_dispatch_ptr 0
		.amdhsa_user_sgpr_queue_ptr 0
		.amdhsa_user_sgpr_kernarg_segment_ptr 1
		.amdhsa_user_sgpr_dispatch_id 0
		.amdhsa_user_sgpr_kernarg_preload_length 0
		.amdhsa_user_sgpr_kernarg_preload_offset 0
		.amdhsa_user_sgpr_private_segment_size 0
		.amdhsa_uses_dynamic_stack 0
		.amdhsa_enable_private_segment 0
		.amdhsa_system_sgpr_workgroup_id_x 1
		.amdhsa_system_sgpr_workgroup_id_y 1
		.amdhsa_system_sgpr_workgroup_id_z 0
		.amdhsa_system_sgpr_workgroup_info 0
		.amdhsa_system_vgpr_workitem_id 1
		.amdhsa_next_free_vgpr 189
		.amdhsa_next_free_sgpr 96
		.amdhsa_accum_offset 192
		.amdhsa_reserve_vcc 1
		.amdhsa_float_round_mode_32 0
		.amdhsa_float_round_mode_16_64 0
		.amdhsa_float_denorm_mode_32 3
		.amdhsa_float_denorm_mode_16_64 3
		.amdhsa_dx10_clamp 1
		.amdhsa_ieee_mode 1
		.amdhsa_fp16_overflow 0
		.amdhsa_tg_split 0
		.amdhsa_exception_fp_ieee_invalid_op 0
		.amdhsa_exception_fp_denorm_src 0
		.amdhsa_exception_fp_ieee_div_zero 0
		.amdhsa_exception_fp_ieee_overflow 0
		.amdhsa_exception_fp_ieee_underflow 0
		.amdhsa_exception_fp_ieee_inexact 0
		.amdhsa_exception_int_div_zero 0
	.end_amdhsa_kernel
	.section	.text._ZL8moe_q5_KIN3c108BFloat16ELb0EEvPKvS3_PT_PKiS7_S7_iiiiiii,"axG",@progbits,_ZL8moe_q5_KIN3c108BFloat16ELb0EEvPKvS3_PT_PKiS7_S7_iiiiiii,comdat
.Lfunc_end233:
	.size	_ZL8moe_q5_KIN3c108BFloat16ELb0EEvPKvS3_PT_PKiS7_S7_iiiiiii, .Lfunc_end233-_ZL8moe_q5_KIN3c108BFloat16ELb0EEvPKvS3_PT_PKiS7_S7_iiiiiii
                                        ; -- End function
	.set _ZL8moe_q5_KIN3c108BFloat16ELb0EEvPKvS3_PT_PKiS7_S7_iiiiiii.num_vgpr, 189
	.set _ZL8moe_q5_KIN3c108BFloat16ELb0EEvPKvS3_PT_PKiS7_S7_iiiiiii.num_agpr, 0
	.set _ZL8moe_q5_KIN3c108BFloat16ELb0EEvPKvS3_PT_PKiS7_S7_iiiiiii.numbered_sgpr, 27
	.set _ZL8moe_q5_KIN3c108BFloat16ELb0EEvPKvS3_PT_PKiS7_S7_iiiiiii.num_named_barrier, 0
	.set _ZL8moe_q5_KIN3c108BFloat16ELb0EEvPKvS3_PT_PKiS7_S7_iiiiiii.private_seg_size, 0
	.set _ZL8moe_q5_KIN3c108BFloat16ELb0EEvPKvS3_PT_PKiS7_S7_iiiiiii.uses_vcc, 1
	.set _ZL8moe_q5_KIN3c108BFloat16ELb0EEvPKvS3_PT_PKiS7_S7_iiiiiii.uses_flat_scratch, 0
	.set _ZL8moe_q5_KIN3c108BFloat16ELb0EEvPKvS3_PT_PKiS7_S7_iiiiiii.has_dyn_sized_stack, 0
	.set _ZL8moe_q5_KIN3c108BFloat16ELb0EEvPKvS3_PT_PKiS7_S7_iiiiiii.has_recursion, 0
	.set _ZL8moe_q5_KIN3c108BFloat16ELb0EEvPKvS3_PT_PKiS7_S7_iiiiiii.has_indirect_call, 0
	.section	.AMDGPU.csdata,"",@progbits
; Kernel info:
; codeLenInByte = 10228
; TotalNumSgprs: 33
; NumVgprs: 189
; NumAgprs: 0
; TotalNumVgprs: 189
; ScratchSize: 0
; MemoryBound: 0
; FloatMode: 240
; IeeeMode: 1
; LDSByteSize: 37072 bytes/workgroup (compile time only)
; SGPRBlocks: 12
; VGPRBlocks: 23
; NumSGPRsForWavesPerEU: 102
; NumVGPRsForWavesPerEU: 189
; AccumOffset: 192
; Occupancy: 2
; WaveLimiterHint : 1
; COMPUTE_PGM_RSRC2:SCRATCH_EN: 0
; COMPUTE_PGM_RSRC2:USER_SGPR: 2
; COMPUTE_PGM_RSRC2:TRAP_HANDLER: 0
; COMPUTE_PGM_RSRC2:TGID_X_EN: 1
; COMPUTE_PGM_RSRC2:TGID_Y_EN: 1
; COMPUTE_PGM_RSRC2:TGID_Z_EN: 0
; COMPUTE_PGM_RSRC2:TIDIG_COMP_CNT: 1
; COMPUTE_PGM_RSRC3_GFX90A:ACCUM_OFFSET: 47
; COMPUTE_PGM_RSRC3_GFX90A:TG_SPLIT: 0
	.section	.text._ZL8moe_q5_KIN3c108BFloat16ELb1EEvPKvS3_PT_PKiS7_S7_iiiiiii,"axG",@progbits,_ZL8moe_q5_KIN3c108BFloat16ELb1EEvPKvS3_PT_PKiS7_S7_iiiiiii,comdat
	.globl	_ZL8moe_q5_KIN3c108BFloat16ELb1EEvPKvS3_PT_PKiS7_S7_iiiiiii ; -- Begin function _ZL8moe_q5_KIN3c108BFloat16ELb1EEvPKvS3_PT_PKiS7_S7_iiiiiii
	.p2align	8
	.type	_ZL8moe_q5_KIN3c108BFloat16ELb1EEvPKvS3_PT_PKiS7_S7_iiiiiii,@function
_ZL8moe_q5_KIN3c108BFloat16ELb1EEvPKvS3_PT_PKiS7_S7_iiiiiii: ; @_ZL8moe_q5_KIN3c108BFloat16ELb1EEvPKvS3_PT_PKiS7_S7_iiiiiii
; %bb.0:
	s_load_dwordx4 s[4:7], s[0:1], 0x18
	s_mov_b32 s8, s3
	s_mov_b32 s9, 0
	s_lshl_b64 s[10:11], s[8:9], 2
	s_waitcnt lgkmcnt(0)
	s_add_u32 s6, s6, s10
	s_addc_u32 s7, s7, s11
	s_load_dword s3, s[6:7], 0x0
	s_waitcnt lgkmcnt(0)
	s_cmpk_gt_u32 s3, 0xff
	s_cbranch_scc1 .LBB234_26
; %bb.1:
	s_load_dwordx2 s[6:7], s[0:1], 0x28
	s_waitcnt lgkmcnt(0)
	s_load_dword s7, s[6:7], 0x0
	s_lshl_b32 s6, s8, 3
	s_waitcnt lgkmcnt(0)
	s_cmp_gt_u32 s6, s7
	s_cbranch_scc1 .LBB234_26
; %bb.2:
	v_bfe_u32 v2, v0, 10, 10
	v_mov_b32_e32 v4, s4
	v_mov_b32_e32 v5, s5
	v_add_u32_e32 v72, s6, v2
	v_mov_b32_e32 v73, 0
	v_lshl_add_u64 v[4:5], v[72:73], 2, v[4:5]
	global_load_dword v1, v[4:5], off
	s_load_dwordx8 s[4:11], s[0:1], 0x30
	s_load_dwordx2 s[16:17], s[0:1], 0x10
	s_waitcnt lgkmcnt(0)
	s_lshl_b32 s11, s2, 7
	v_mov_b32_e32 v72, v73
	v_mov_b32_e32 v53, v73
	s_cmpk_lt_i32 s5, 0x100
	v_mov_b32_e32 v52, v73
	s_cbranch_scc1 .LBB234_17
; %bb.3:
	s_load_dwordx4 s[12:15], s[0:1], 0x0
	s_ashr_i32 s0, s5, 31
	s_lshr_b32 s0, s0, 24
	s_add_i32 s0, s5, s0
	s_ashr_i32 s24, s0, 8
	s_ashr_i32 s0, s8, 31
	s_lshr_b32 s0, s0, 27
	s_add_i32 s0, s8, s0
	s_ashr_i32 s8, s0, 5
	s_not_b32 s0, s11
	v_lshlrev_b32_e32 v4, 1, v0
	v_and_b32_e32 v5, 7, v0
	s_add_i32 s2, s6, s0
	v_and_or_b32 v4, v4, 48, v5
	s_mul_i32 s18, s3, s4
	v_min_i32_e32 v5, s2, v2
	v_lshlrev_b32_e32 v4, 2, v4
	s_movk_i32 s3, 0x104
	v_mul_lo_u32 v6, v5, s24
	v_mad_u64_u32 v[20:21], s[0:1], v5, s3, v[4:5]
	v_add_u32_e32 v5, 8, v2
	v_min_i32_e32 v5, s2, v5
	v_mul_lo_u32 v10, v5, s24
	v_mad_u64_u32 v[22:23], s[0:1], v5, s3, v[4:5]
	v_add_u32_e32 v5, 16, v2
	v_min_i32_e32 v5, s2, v5
	;; [unrolled: 4-line block ×14, first 2 shown]
	v_mul_lo_u32 v47, v5, s24
	v_mad_u64_u32 v[48:49], s[0:1], v5, s3, v[4:5]
	v_add_u32_e32 v5, 0x78, v2
	v_and_b32_e32 v18, 0x3ff, v0
	v_min_i32_e32 v5, s2, v5
	v_mad_u64_u32 v[50:51], s[0:1], v5, s3, v[4:5]
	v_lshl_add_u32 v4, v2, 5, v18
	v_and_b32_e32 v4, 0x7f, v4
	v_min_i32_e32 v4, s2, v4
	v_mul_lo_u32 v49, v5, s24
	v_ashrrev_i32_e32 v5, 31, v4
	v_lshrrev_b32_e32 v5, 27, v5
	v_add_u32_e32 v5, v4, v5
	v_ashrrev_i32_e32 v5, 5, v5
	v_mul_lo_u32 v51, v4, s24
	v_lshlrev_b32_e32 v5, 2, v5
	v_lshlrev_b32_e32 v4, 2, v4
	s_mov_b32 s6, 0x8e40
	v_and_b32_e32 v91, 3, v0
	v_bfe_u32 v90, v0, 2, 8
	v_add3_u32 v21, v5, v4, s6
	v_add_u32_e32 v5, 0xfe, v91
	v_lshl_add_u32 v4, v2, 3, v90
	v_and_b32_e32 v5, 0xff, v5
	v_cmp_gt_u32_e32 vcc, 2, v91
	v_lshlrev_b32_e32 v7, 2, v91
	s_mov_b32 s0, 0x8200
	v_cndmask_b32_e32 v94, v5, v91, vcc
	v_and_b32_e32 v5, 0x7f, v4
	v_min_i32_e32 v98, s2, v5
	v_ashrrev_i32_e32 v5, 31, v98
	v_lshrrev_b32_e32 v5, 29, v5
	v_add_u32_e32 v5, v98, v5
	v_ashrrev_i32_e32 v5, 3, v5
	v_lshlrev_b32_e32 v5, 2, v5
	v_add3_u32 v99, v5, v7, s0
	v_mov_b32_e32 v5, 0x7f
	v_bitop3_b32 v4, v4, 64, v5 bitop3:0x6c
	v_min_i32_e32 v102, s2, v4
	v_ashrrev_i32_e32 v4, 31, v102
	v_lshrrev_b32_e32 v4, 29, v4
	v_add_u32_e32 v4, v102, v4
	v_ashrrev_i32_e32 v4, 3, v4
	v_lshlrev_b32_e32 v19, 2, v18
	v_lshlrev_b32_e32 v4, 2, v4
	v_bfe_u32 v23, v0, 3, 7
	v_add3_u32 v103, v4, v7, s0
	v_add_u32_e32 v4, v23, v19
	v_mov_b32_e32 v5, 0x8200
	v_lshl_add_u32 v25, v4, 2, v5
	v_add_u32_e32 v4, 32, v18
	v_lshrrev_b32_e32 v27, 3, v4
	v_lshl_add_u32 v4, v4, 2, v27
	v_lshl_add_u32 v29, v4, 2, v5
	v_add_u32_e32 v4, 64, v18
	v_lshrrev_b32_e32 v106, 3, v4
	v_lshl_add_u32 v4, v4, 2, v106
	s_abs_i32 s2, s10
	v_lshl_add_u32 v31, v4, 2, v5
	v_cvt_f32_u32_e32 v4, s2
	v_add_u32_e32 v7, 0x60, v18
	v_lshrrev_b32_e32 v107, 3, v7
	s_sub_i32 s0, 0, s2
	v_rcp_iflag_f32_e32 v4, v4
	v_lshl_add_u32 v7, v7, 2, v107
	v_lshl_add_u32 v33, v7, 2, v5
	s_waitcnt vmcnt(0)
	v_sub_u32_e32 v7, 0, v1
	v_mul_f32_e32 v4, 0x4f7ffffe, v4
	v_cvt_u32_f32_e32 v4, v4
	v_max_i32_e32 v7, v1, v7
	v_xor_b32_e32 v5, s10, v1
	v_ashrrev_i32_e32 v5, 31, v5
	v_mul_lo_u32 v8, s0, v4
	v_mul_hi_u32 v8, v4, v8
	v_add_u32_e32 v4, v4, v8
	v_mul_hi_u32 v4, v7, v4
	v_mul_lo_u32 v8, v4, s2
	v_sub_u32_e32 v7, v7, v8
	v_add_u32_e32 v8, 1, v4
	v_cmp_le_u32_e64 s[0:1], s2, v7
	s_mul_i32 s4, s24, s11
	v_cmp_ne_u32_e32 vcc, 0, v91
	v_cndmask_b32_e64 v4, v4, v8, s[0:1]
	v_subrev_u32_e32 v8, s2, v7
	v_cndmask_b32_e64 v7, v7, v8, s[0:1]
	v_add_u32_e32 v8, 1, v4
	v_cmp_le_u32_e64 s[0:1], s2, v7
	v_addc_co_u32_e32 v86, vcc, 0, v94, vcc
	s_nop 0
	v_cndmask_b32_e64 v4, v4, v8, s[0:1]
	v_xor_b32_e32 v4, v4, v5
	v_sub_u32_e32 v134, v4, v5
	s_mul_hi_i32 s3, s4, 0xb0
	s_mul_i32 s2, s4, 0xb0
	v_bfe_u32 v3, v0, 5, 5
	v_cmp_gt_u32_e32 vcc, 4, v18
	v_cmp_gt_i32_e64 s[0:1], s7, v134
	s_movk_i32 s25, 0xb0
	v_mov_b64_e32 v[4:5], s[2:3]
	s_ashr_i32 s19, s18, 31
	s_and_b64 s[20:21], vcc, s[0:1]
	v_mad_u64_u32 v[4:5], s[22:23], v3, s25, v[4:5]
	v_lshlrev_b32_e32 v3, 2, v3
	v_mad_i64_i32 v[78:79], s[22:23], v45, s25, v[4:5]
	s_waitcnt lgkmcnt(0)
	s_add_u32 s2, s12, s2
	v_add3_u32 v45, v3, v19, s6
	v_and_b32_e32 v3, 60, v27
	v_and_b32_e32 v52, 0x7c, v19
	v_mov_b32_e32 v53, 0
	v_mad_i64_i32 v[6:7], s[22:23], v6, s25, v[4:5]
	v_mad_i64_i32 v[10:11], s[22:23], v10, s25, v[4:5]
	;; [unrolled: 1-line block ×15, first 2 shown]
	s_addc_u32 s3, s13, s3
	v_mul_lo_u32 v35, v98, s24
	v_add3_u32 v47, v19, v3, s6
	v_and_b32_e32 v3, 60, v106
	v_lshl_add_u64 v[8:9], v[6:7], 0, v[52:53]
	v_lshl_add_u64 v[12:13], v[10:11], 0, v[52:53]
	;; [unrolled: 1-line block ×15, first 2 shown]
	v_mov_b64_e32 v[54:55], s[2:3]
	v_lshl_add_u64 v[124:125], v[4:5], 0, v[52:53]
	v_lshlrev_b32_e32 v52, 2, v86
	v_mad_i64_i32 v[86:87], s[2:3], v35, s25, 0
	v_mov_b32_e32 v35, 0xb0
	v_mul_lo_u32 v37, v102, s24
	v_add3_u32 v49, v19, v3, s6
	v_and_b32_e32 v3, 60, v107
	v_mad_i64_i32 v[54:55], s[2:3], v51, s25, v[54:55]
	v_mad_i64_i32 v[128:129], s[2:3], s4, v35, v[86:87]
	;; [unrolled: 1-line block ×3, first 2 shown]
	v_add3_u32 v51, v19, v3, s6
	v_mov_b32_e32 v3, 0x8a40
	v_mad_i64_i32 v[132:133], s[2:3], s4, v35, v[86:87]
	v_and_b32_e32 v86, 28, v19
	v_mov_b32_e32 v87, v53
	v_lshl_add_u32 v155, v2, 7, v3
	v_and_b32_e32 v3, 31, v0
	v_lshl_add_u32 v156, v3, 2, v155
	v_lshlrev_b32_e32 v157, 4, v2
	v_lshl_add_u64 v[2:3], v[6:7], 0, v[86:87]
	v_and_b32_e32 v95, 4, v19
	v_cmp_lt_u32_e64 s[2:3], 1, v91
	v_lshl_add_u64 v[2:3], s[12:13], 0, v[2:3]
	v_lshlrev_b32_e32 v35, 4, v98
	v_cndmask_b32_e64 v41, 0, v95, s[2:3]
	v_lshlrev_b32_e32 v43, 1, v94
	v_lshl_add_u64 v[6:7], v[10:11], 0, v[86:87]
	v_lshl_add_u64 v[94:95], v[60:61], 0, v[86:87]
	v_lshl_add_u64 v[60:61], v[2:3], 0, 16
	v_lshl_add_u64 v[2:3], s[12:13], 0, v[8:9]
	v_add_u32_e32 v35, v99, v35
	v_lshlrev_b32_e32 v37, 4, v102
	v_lshl_add_u64 v[98:99], v[62:63], 0, v[86:87]
	v_lshl_add_u64 v[62:63], v[2:3], 0, 48
	;; [unrolled: 1-line block ×3, first 2 shown]
	v_add_u32_e32 v37, v103, v37
	v_lshl_add_u64 v[10:11], v[14:15], 0, v[86:87]
	v_lshl_add_u64 v[102:103], v[64:65], 0, v[86:87]
	;; [unrolled: 1-line block ×14, first 2 shown]
	v_and_b32_e32 v39, 6, v90
	v_lshl_add_u64 v[90:91], v[58:59], 0, v[86:87]
	v_lshl_add_u64 v[118:119], v[74:75], 0, v[86:87]
	;; [unrolled: 1-line block ×58, first 2 shown]
	v_cndmask_b32_e64 v2, 0, 1, s[2:3]
	v_lshlrev_b32_e32 v4, 2, v2
	v_or_b32_e32 v2, v128, v4
	v_mov_b32_e32 v3, v129
	v_lshl_add_u64 v[2:3], s[12:13], 0, v[2:3]
	v_lshl_add_u64 v[126:127], v[2:3], 0, 4
	;; [unrolled: 1-line block ×5, first 2 shown]
	v_or_b32_e32 v2, v132, v4
	v_mov_b32_e32 v3, v133
	v_lshl_add_u64 v[2:3], s[12:13], 0, v[2:3]
	v_lshl_add_u64 v[130:131], v[2:3], 0, 4
	;; [unrolled: 1-line block ×3, first 2 shown]
	v_mul_lo_u32 v58, v134, s8
	v_lshl_add_u64 v[2:3], s[12:13], 0, v[2:3]
	v_add_u32_e32 v154, 0x9050, v19
	v_ashrrev_i32_e32 v59, 31, v58
	v_lshl_add_u64 v[132:133], v[2:3], 0, 4
	s_movk_i32 s4, 0x80
	s_mov_b32 s6, 0x10101010
	s_mov_b32 s25, 0x30303030
	s_mov_b64 s[12:13], 0xb0
	v_mov_b32_e32 v52, v53
	v_mov_b32_e32 v72, v53
	;; [unrolled: 1-line block ×3, first 2 shown]
	v_or_b32_e32 v158, 1, v39
	v_mul_u32_u24_e32 v159, 0x104, v18
	s_branch .LBB234_6
.LBB234_4:                              ;   in Loop: Header=BB234_6 Depth=1
	s_or_b64 exec, exec, s[22:23]
	s_waitcnt lgkmcnt(0)
	s_barrier
	ds_read_b128 v[14:17], v155
	ds_read_b128 v[10:13], v155 offset:16
	ds_read2_b32 v[134:135], v159 offset0:32 offset1:33
	ds_read_b128 v[6:9], v155 offset:32
	ds_read_b128 v[2:5], v155 offset:48
	ds_read_b32 v19, v45
	ds_read_b128 v[160:163], v157 offset:36944
	ds_read2_b32 v[136:137], v159 offset0:34 offset1:35
	v_mov_b32_e32 v150, 0
	s_waitcnt lgkmcnt(5)
	v_dot4c_i32_i8_e32 v150, v134, v14
	v_dot4c_i32_i8_e32 v150, v135, v15
	ds_read2_b32 v[134:135], v159 offset0:36 offset1:37
	ds_read2_b32 v[138:139], v159 offset0:38 offset1:39
	;; [unrolled: 1-line block ×3, first 2 shown]
	s_waitcnt lgkmcnt(3)
	v_dot4c_i32_i8_e32 v150, v136, v16
	v_dot4c_i32_i8_e32 v150, v137, v17
	s_waitcnt lgkmcnt(2)
	v_dot4c_i32_i8_e32 v150, v134, v10
	v_dot4c_i32_i8_e32 v150, v135, v11
	ds_read2_b32 v[134:135], v159 offset0:42 offset1:43
	v_mov_b32_e32 v153, 0
	s_waitcnt lgkmcnt(1)
	v_dot4c_i32_i8_e32 v153, v140, v6
	v_dot4c_i32_i8_e32 v153, v141, v7
	;; [unrolled: 1-line block ×3, first 2 shown]
	s_waitcnt lgkmcnt(0)
	v_dot4c_i32_i8_e32 v153, v134, v8
	v_add_u32_e32 v134, 0x2100, v159
	v_dot4c_i32_i8_e32 v150, v139, v13
	ds_read2_b32 v[136:137], v159 offset0:44 offset1:45
	ds_read2_b32 v[138:139], v159 offset0:46 offset1:47
	;; [unrolled: 1-line block ×3, first 2 shown]
	v_dot4c_i32_i8_e32 v153, v135, v9
	ds_read2_b32 v[134:135], v134 offset1:1
	v_mov_b32_e32 v165, 0
	ds_read_b32 v182, v47 offset:128
	ds_read_b32 v151, v49 offset:256
	;; [unrolled: 1-line block ×3, first 2 shown]
	s_waitcnt lgkmcnt(6)
	v_dot4c_i32_i8_e32 v153, v136, v2
	v_dot4c_i32_i8_e32 v153, v137, v3
	s_waitcnt lgkmcnt(3)
	v_dot4c_i32_i8_e32 v165, v134, v14
	v_add_u32_e32 v134, 0x2108, v159
	v_dot4c_i32_i8_e32 v165, v135, v15
	ds_read2_b32 v[134:135], v134 offset1:1
	v_dot4c_i32_i8_e32 v153, v138, v4
	v_add_u32_e32 v136, 0x2110, v159
	v_add_u32_e32 v138, 0x2118, v159
	;; [unrolled: 1-line block ×3, first 2 shown]
	v_dot4c_i32_i8_e32 v153, v139, v5
	ds_read2_b32 v[136:137], v136 offset1:1
	ds_read2_b32 v[138:139], v138 offset1:1
	;; [unrolled: 1-line block ×3, first 2 shown]
	s_waitcnt lgkmcnt(3)
	v_dot4c_i32_i8_e32 v165, v134, v16
	v_add_u32_e32 v134, 0x2128, v159
	v_dot4c_i32_i8_e32 v165, v135, v17
	ds_read2_b32 v[134:135], v134 offset1:1
	s_waitcnt lgkmcnt(3)
	v_dot4c_i32_i8_e32 v165, v136, v10
	v_dot4c_i32_i8_e32 v165, v137, v11
	v_mov_b32_e32 v176, 0
	s_waitcnt lgkmcnt(2)
	v_dot4c_i32_i8_e32 v165, v138, v12
	s_waitcnt lgkmcnt(1)
	v_dot4c_i32_i8_e32 v176, v142, v6
	v_add_u32_e32 v136, 0x2130, v159
	v_add_u32_e32 v138, 0x2138, v159
	;; [unrolled: 1-line block ×3, first 2 shown]
	v_dot4c_i32_i8_e32 v165, v139, v13
	v_dot4c_i32_i8_e32 v176, v143, v7
	ds_read2_b32 v[136:137], v136 offset1:1
	ds_read2_b32 v[138:139], v138 offset1:1
	;; [unrolled: 1-line block ×3, first 2 shown]
	s_waitcnt lgkmcnt(3)
	v_dot4c_i32_i8_e32 v176, v134, v8
	v_add_u32_e32 v134, 0x4188, v159
	v_dot4c_i32_i8_e32 v176, v135, v9
	ds_read2_b32 v[134:135], v134 offset1:1
	s_waitcnt lgkmcnt(3)
	v_dot4c_i32_i8_e32 v176, v136, v2
	v_dot4c_i32_i8_e32 v176, v137, v3
	v_mov_b32_e32 v146, 0
	s_waitcnt lgkmcnt(2)
	v_dot4c_i32_i8_e32 v176, v138, v4
	s_waitcnt lgkmcnt(1)
	v_dot4c_i32_i8_e32 v146, v142, v14
	v_add_u32_e32 v136, 0x4190, v159
	v_add_u32_e32 v144, 0x41a0, v159
	v_dot4c_i32_i8_e32 v176, v139, v5
	v_dot4c_i32_i8_e32 v146, v143, v15
	v_add_u32_e32 v137, 0x4198, v159
	ds_read2_b32 v[138:139], v136 offset1:1
	ds_read2_b32 v[142:143], v137 offset1:1
	;; [unrolled: 1-line block ×3, first 2 shown]
	s_waitcnt lgkmcnt(3)
	v_dot4c_i32_i8_e32 v146, v134, v16
	ds_read2_b32 v[136:137], v31 offset0:1 offset1:3
	v_dot4c_i32_i8_e32 v146, v135, v17
	s_waitcnt lgkmcnt(3)
	v_dot4c_i32_i8_e32 v146, v138, v10
	v_add_u32_e32 v138, 0x41a8, v159
	v_dot4c_i32_i8_e32 v146, v139, v11
	ds_read2_b32 v[138:139], v138 offset1:1
	s_waitcnt lgkmcnt(3)
	v_dot4c_i32_i8_e32 v146, v142, v12
	v_dot4c_i32_i8_e32 v146, v143, v13
	s_waitcnt lgkmcnt(1)
	v_and_b32_e32 v134, 0xff, v136
	v_mov_b32_e32 v148, 0
	v_dot4c_i32_i8_e32 v148, v144, v6
	v_mul_lo_u32 v134, v146, v134
	v_add_u32_e32 v142, 0x41b0, v159
	v_add_u32_e32 v144, 0x41b8, v159
	;; [unrolled: 1-line block ×3, first 2 shown]
	v_dot4c_i32_i8_e32 v148, v145, v7
	ds_read2_b32 v[142:143], v142 offset1:1
	ds_read2_b32 v[144:145], v144 offset1:1
	;; [unrolled: 1-line block ×3, first 2 shown]
	s_waitcnt lgkmcnt(3)
	v_dot4c_i32_i8_e32 v148, v138, v8
	v_dot4c_i32_i8_e32 v148, v139, v9
	s_waitcnt lgkmcnt(2)
	v_dot4c_i32_i8_e32 v148, v142, v2
	v_dot4c_i32_i8_e32 v148, v143, v3
	v_mov_b32_e32 v177, 0
	s_waitcnt lgkmcnt(1)
	v_dot4c_i32_i8_e32 v148, v144, v4
	s_waitcnt lgkmcnt(0)
	v_dot4c_i32_i8_e32 v177, v146, v14
	v_add_u32_e32 v14, 0x6208, v159
	v_add_u32_e32 v142, 0x6210, v159
	;; [unrolled: 1-line block ×4, first 2 shown]
	v_dot4c_i32_i8_e32 v148, v145, v5
	v_dot4c_i32_i8_e32 v177, v147, v15
	ds_read2_b32 v[14:15], v14 offset1:1
	ds_read2_b32 v[142:143], v142 offset1:1
	;; [unrolled: 1-line block ×4, first 2 shown]
	v_mov_b32_e32 v178, 0
	v_mov_b32_e32 v184, 0
	v_bfe_u32 v138, v136, 8, 8
	s_waitcnt lgkmcnt(3)
	v_dot4c_i32_i8_e32 v177, v14, v16
	s_waitcnt lgkmcnt(0)
	v_dot4c_i32_i8_e32 v178, v146, v6
	v_add_u32_e32 v6, 0x6228, v159
	v_dot4c_i32_i8_e32 v177, v15, v17
	v_dot4c_i32_i8_e32 v178, v147, v7
	ds_read2_b32 v[6:7], v6 offset1:1
	v_dot4c_i32_i8_e32 v177, v142, v10
	v_dot4c_i32_i8_e32 v177, v143, v11
	;; [unrolled: 1-line block ×3, first 2 shown]
	v_add_u32_e32 v10, 0x6230, v159
	v_add_u32_e32 v12, 0x6238, v159
	v_dot4c_i32_i8_e32 v177, v145, v13
	v_add_u32_e32 v14, 0x6240, v159
	ds_read2_b32 v[10:11], v10 offset1:1
	ds_read2_b32 v[12:13], v12 offset1:1
	;; [unrolled: 1-line block ×3, first 2 shown]
	s_waitcnt lgkmcnt(3)
	v_dot4c_i32_i8_e32 v178, v6, v8
	v_dot4c_i32_i8_e32 v178, v7, v9
	s_waitcnt lgkmcnt(2)
	v_dot4c_i32_i8_e32 v178, v10, v2
	v_dot4c_i32_i8_e32 v178, v11, v3
	;; [unrolled: 3-line block ×3, first 2 shown]
	ds_read_b128 v[14:17], v155 offset:64
	ds_read_b128 v[10:13], v155 offset:80
	;; [unrolled: 1-line block ×4, first 2 shown]
	ds_read2_b32 v[142:143], v159 offset0:50 offset1:51
	s_waitcnt lgkmcnt(4)
	v_dot4c_i32_i8_e32 v184, v140, v14
	v_dot4c_i32_i8_e32 v184, v141, v15
	ds_read2_b32 v[140:141], v159 offset0:52 offset1:53
	ds_read2_b32 v[144:145], v159 offset0:54 offset1:55
	;; [unrolled: 1-line block ×3, first 2 shown]
	v_mul_lo_u32 v138, v148, v138
	s_waitcnt lgkmcnt(3)
	v_dot4c_i32_i8_e32 v184, v142, v16
	v_mov_b32_e32 v142, 0
	v_dot4c_i32_i8_e32 v142, v146, v14
	v_add_u32_e32 v146, 0x6248, v159
	v_dot4c_i32_i8_e32 v184, v143, v17
	v_dot4c_i32_i8_e32 v142, v147, v15
	ds_read2_b32 v[146:147], v146 offset1:1
	s_waitcnt lgkmcnt(3)
	v_dot4c_i32_i8_e32 v184, v140, v10
	v_dot4c_i32_i8_e32 v184, v141, v11
	v_cvt_f32_f16_e32 v148, v149
	v_cvt_f32_f16_sdwa v164, v149 dst_sel:DWORD dst_unused:UNUSED_PAD src0_sel:WORD_1
	s_waitcnt lgkmcnt(2)
	v_dot4c_i32_i8_e32 v184, v144, v12
	v_add_u32_e32 v149, 0x6250, v159
	v_dot4c_i32_i8_e32 v184, v145, v13
	v_cvt_f32_f16_e32 v145, v162
	v_cvt_f32_f16_e32 v144, v160
	v_cvt_f32_f16_sdwa v141, v162 dst_sel:DWORD dst_unused:UNUSED_PAD src0_sel:WORD_1
	v_cvt_f32_f16_sdwa v140, v160 dst_sel:DWORD dst_unused:UNUSED_PAD src0_sel:WORD_1
	v_add_u32_e32 v160, 0x6258, v159
	v_add_u32_e32 v162, 0x6260, v159
	ds_read2_b32 v[168:169], v149 offset1:1
	ds_read2_b32 v[170:171], v160 offset1:1
	;; [unrolled: 1-line block ×3, first 2 shown]
	s_waitcnt lgkmcnt(3)
	v_dot4c_i32_i8_e32 v142, v146, v16
	ds_read2_b32 v[174:175], v33 offset0:1 offset1:3
	v_dot4c_i32_i8_e32 v142, v147, v17
	s_waitcnt lgkmcnt(3)
	v_dot4c_i32_i8_e32 v142, v168, v10
	v_dot4c_i32_i8_e32 v142, v169, v11
	s_waitcnt lgkmcnt(2)
	v_dot4c_i32_i8_e32 v142, v170, v12
	v_dot4c_i32_i8_e32 v142, v171, v13
	s_waitcnt lgkmcnt(0)
	v_and_b32_e32 v146, 0xff, v174
	v_bfe_u32 v147, v174, 16, 8
	v_mul_lo_u32 v146, v177, v146
	v_mul_lo_u32 v142, v142, v147
	v_add_u32_e32 v162, 0x6268, v159
	v_cvt_f32_f16_e32 v143, v163
	v_cvt_f32_i32_e32 v169, v142
	v_cvt_f32_i32_e32 v168, v146
	v_cvt_f32_f16_sdwa v147, v163 dst_sel:DWORD dst_unused:UNUSED_PAD src0_sel:WORD_1
	ds_read2_b32 v[162:163], v162 offset1:1
	v_mov_b32_e32 v185, 0
	v_mov_b32_e32 v149, 0
	v_dot4c_i32_i8_e32 v185, v166, v6
	v_dot4c_i32_i8_e32 v149, v172, v6
	v_add_u32_e32 v166, 0x6270, v159
	v_add_u32_e32 v170, 0x6278, v159
	;; [unrolled: 1-line block ×3, first 2 shown]
	v_cvt_f32_f16_e32 v142, v161
	v_cvt_f32_f16_sdwa v146, v161 dst_sel:DWORD dst_unused:UNUSED_PAD src0_sel:WORD_1
	v_pk_fma_f32 v[160:161], v[144:145], v[168:169], 0 op_sel_hi:[1,1,0]
	v_dot4c_i32_i8_e32 v149, v173, v7
	ds_read2_b32 v[168:169], v166 offset1:1
	ds_read2_b32 v[170:171], v170 offset1:1
	;; [unrolled: 1-line block ×3, first 2 shown]
	s_waitcnt lgkmcnt(3)
	v_dot4c_i32_i8_e32 v149, v162, v8
	v_dot4c_i32_i8_e32 v149, v163, v9
	s_waitcnt lgkmcnt(2)
	v_dot4c_i32_i8_e32 v149, v168, v2
	v_dot4c_i32_i8_e32 v149, v169, v3
	;; [unrolled: 3-line block ×3, first 2 shown]
	v_lshrrev_b32_e32 v162, 24, v174
	v_bfe_u32 v163, v174, 8, 8
	v_mul_lo_u32 v166, v178, v163
	v_mul_lo_u32 v149, v149, v162
	v_cvt_f32_i32_e32 v163, v149
	v_cvt_f32_i32_e32 v162, v166
	v_cvt_f32_ubyte2_e32 v169, v175
	v_cvt_f32_ubyte0_e32 v168, v175
	v_pk_fma_f32 v[168:169], v[140:141], v[168:169], 0 op_sel_hi:[1,1,0]
	v_pk_fma_f32 v[160:161], v[142:143], v[162:163], v[160:161]
	v_cvt_f32_ubyte3_e32 v163, v175
	v_cvt_f32_ubyte1_e32 v162, v175
	v_pk_fma_f32 v[162:163], v[146:147], v[162:163], v[168:169]
	ds_read2_b32 v[168:169], v25 offset0:1 offset1:3
	ds_read2_b32 v[170:171], v29 offset0:1 offset1:3
	v_pk_mul_f32 v[162:163], v[162:163], v[164:165] op_sel_hi:[1,0]
	v_cvt_f32_f16_e32 v175, v182
	v_pk_fma_f32 v[148:149], v[160:161], v[148:149], v[162:163] op_sel_hi:[1,0,1] neg_lo:[0,0,1] neg_hi:[0,0,1]
	s_waitcnt lgkmcnt(1)
	v_and_b32_e32 v161, 0xff, v168
	s_waitcnt lgkmcnt(0)
	v_and_b32_e32 v160, 0xff, v170
	v_mul_lo_u32 v150, v150, v161
	v_mul_lo_u32 v160, v165, v160
	v_cvt_f32_i32_e32 v161, v160
	v_cvt_f32_i32_e32 v160, v150
	v_bfe_u32 v150, v170, 8, 8
	v_bfe_u32 v164, v168, 8, 8
	v_mul_lo_u32 v153, v153, v164
	v_mul_lo_u32 v150, v176, v150
	v_cvt_f32_i32_e32 v165, v150
	v_cvt_f32_i32_e32 v164, v153
	v_cvt_f32_f16_sdwa v183, v182 dst_sel:DWORD dst_unused:UNUSED_PAD src0_sel:WORD_1
	v_cvt_f32_f16_sdwa v182, v19 dst_sel:DWORD dst_unused:UNUSED_PAD src0_sel:WORD_1
	v_cvt_f32_ubyte0_e32 v163, v171
	v_cvt_f32_ubyte0_e32 v162, v169
	v_cvt_f32_f16_e32 v174, v19
	v_dot4c_i32_i8_e32 v185, v167, v7
	v_cvt_f32_ubyte1_e32 v167, v171
	v_cvt_f32_ubyte1_e32 v166, v169
	v_pk_fma_f32 v[162:163], v[140:141], v[162:163], 0 op_sel_hi:[0,1,0]
	v_pk_fma_f32 v[160:161], v[144:145], v[160:161], 0 op_sel_hi:[0,1,0]
	;; [unrolled: 1-line block ×4, first 2 shown]
	v_pk_mul_f32 v[162:163], v[162:163], v[182:183]
	v_add_u32_e32 v150, 0x2148, v159
	v_pk_fma_f32 v[160:161], v[160:161], v[174:175], v[162:163] neg_lo:[0,0,1] neg_hi:[0,0,1]
	ds_read2_b32 v[176:177], v159 offset0:58 offset1:59
	ds_read2_b32 v[178:179], v159 offset0:60 offset1:61
	;; [unrolled: 1-line block ×3, first 2 shown]
	v_pk_add_f32 v[52:53], v[52:53], v[160:161]
	ds_read2_b32 v[160:161], v150 offset1:1
	v_mov_b32_e32 v19, 0
	v_dot4c_i32_i8_e32 v19, v172, v14
	v_add_u32_e32 v150, 0x2150, v159
	v_add_u32_e32 v166, 0x2160, v159
	v_dot4c_i32_i8_e32 v19, v173, v15
	v_add_u32_e32 v153, 0x2158, v159
	ds_read2_b32 v[162:163], v150 offset1:1
	ds_read2_b32 v[164:165], v153 offset1:1
	;; [unrolled: 1-line block ×3, first 2 shown]
	s_waitcnt lgkmcnt(3)
	v_dot4c_i32_i8_e32 v19, v160, v16
	v_dot4c_i32_i8_e32 v19, v161, v17
	s_waitcnt lgkmcnt(2)
	v_dot4c_i32_i8_e32 v19, v162, v10
	v_dot4c_i32_i8_e32 v19, v163, v11
	;; [unrolled: 3-line block ×3, first 2 shown]
	v_bfe_u32 v150, v170, 16, 8
	v_bfe_u32 v153, v168, 16, 8
	v_mul_lo_u32 v153, v184, v153
	v_mul_lo_u32 v19, v19, v150
	v_cvt_f32_i32_e32 v161, v19
	v_cvt_f32_i32_e32 v160, v153
	v_mov_b32_e32 v150, v145
	v_mov_b32_e32 v19, 0
	v_dot4c_i32_i8_e32 v185, v176, v8
	v_pk_fma_f32 v[160:161], v[150:151], v[160:161], 0 op_sel_hi:[0,1,0]
	v_add_u32_e32 v150, 0x2168, v159
	ds_read2_b32 v[164:165], v150 offset1:1
	s_waitcnt lgkmcnt(1)
	v_dot4c_i32_i8_e32 v19, v166, v6
	v_add_u32_e32 v150, 0x2170, v159
	v_lshrrev_b32_e32 v186, 24, v168
	v_dot4c_i32_i8_e32 v185, v177, v9
	v_dot4c_i32_i8_e32 v19, v167, v7
	v_add_u32_e32 v153, 0x2178, v159
	v_add_u32_e32 v168, 0x41c0, v159
	ds_read2_b32 v[166:167], v150 offset1:1
	ds_read2_b32 v[172:173], v153 offset1:1
	;; [unrolled: 1-line block ×3, first 2 shown]
	s_waitcnt lgkmcnt(3)
	v_dot4c_i32_i8_e32 v19, v164, v8
	v_dot4c_i32_i8_e32 v19, v165, v9
	;; [unrolled: 1-line block ×3, first 2 shown]
	s_waitcnt lgkmcnt(2)
	v_dot4c_i32_i8_e32 v19, v166, v2
	v_dot4c_i32_i8_e32 v185, v179, v3
	v_dot4c_i32_i8_e32 v19, v167, v3
	v_dot4c_i32_i8_e32 v185, v180, v4
	s_waitcnt lgkmcnt(1)
	v_dot4c_i32_i8_e32 v19, v172, v4
	v_lshrrev_b32_e32 v187, 24, v170
	v_dot4c_i32_i8_e32 v185, v181, v5
	v_dot4c_i32_i8_e32 v19, v173, v5
	v_cvt_f32_ubyte2_e32 v163, v171
	v_cvt_f32_ubyte2_e32 v162, v169
	v_mul_lo_u32 v150, v185, v186
	v_mul_lo_u32 v19, v19, v187
	v_cvt_f32_i32_e32 v165, v19
	v_cvt_f32_i32_e32 v164, v150
	v_mov_b32_e32 v150, v141
	v_pk_fma_f32 v[162:163], v[150:151], v[162:163], 0 op_sel_hi:[0,1,0]
	v_mov_b32_e32 v150, v143
	v_pk_fma_f32 v[160:161], v[150:151], v[164:165], v[160:161] op_sel_hi:[0,1,1]
	v_cvt_f32_ubyte3_e32 v165, v171
	v_cvt_f32_ubyte3_e32 v164, v169
	v_mov_b32_e32 v150, v147
	v_mov_b32_e32 v19, 0
	v_pk_fma_f32 v[162:163], v[150:151], v[164:165], v[162:163] op_sel_hi:[0,1,1]
	s_waitcnt lgkmcnt(0)
	v_dot4c_i32_i8_e32 v19, v176, v14
	v_add_u32_e32 v14, 0x41c8, v159
	v_pk_mul_f32 v[162:163], v[162:163], v[182:183]
	v_dot4c_i32_i8_e32 v19, v177, v15
	ds_read2_b32 v[14:15], v14 offset1:1
	v_pk_fma_f32 v[160:161], v[160:161], v[174:175], v[162:163] neg_lo:[0,0,1] neg_hi:[0,0,1]
	v_add_u32_e32 v150, 0x41d0, v159
	v_add_u32_e32 v164, 0x41e0, v159
	v_pk_add_f32 v[52:53], v[52:53], v[160:161]
	v_add_u32_e32 v153, 0x41d8, v159
	ds_read2_b32 v[160:161], v150 offset1:1
	ds_read2_b32 v[162:163], v153 offset1:1
	;; [unrolled: 1-line block ×3, first 2 shown]
	s_waitcnt lgkmcnt(3)
	v_dot4c_i32_i8_e32 v19, v14, v16
	v_dot4c_i32_i8_e32 v19, v15, v17
	v_mov_b32_e32 v16, 0
	s_waitcnt lgkmcnt(2)
	v_dot4c_i32_i8_e32 v19, v160, v10
	s_waitcnt lgkmcnt(0)
	v_dot4c_i32_i8_e32 v16, v164, v6
	v_add_u32_e32 v6, 0x41e8, v159
	v_dot4c_i32_i8_e32 v19, v161, v11
	v_dot4c_i32_i8_e32 v16, v165, v7
	ds_read2_b32 v[6:7], v6 offset1:1
	v_dot4c_i32_i8_e32 v19, v162, v12
	v_add_u32_e32 v12, 0x41f0, v159
	v_dot4c_i32_i8_e32 v19, v163, v13
	ds_read2_b32 v[12:13], v12 offset1:1
	v_add_u32_e32 v14, 0x41f8, v159
	ds_read2_b32 v[14:15], v14 offset1:1
	s_waitcnt lgkmcnt(2)
	v_dot4c_i32_i8_e32 v16, v6, v8
	v_dot4c_i32_i8_e32 v16, v7, v9
	s_waitcnt lgkmcnt(1)
	v_dot4c_i32_i8_e32 v16, v12, v2
	v_cvt_f32_i32_e32 v134, v134
	v_dot4c_i32_i8_e32 v16, v13, v3
	v_cvt_f32_i32_e32 v138, v138
	v_bfe_u32 v10, v136, 16, 8
	s_waitcnt lgkmcnt(0)
	v_dot4c_i32_i8_e32 v16, v14, v4
	v_lshrrev_b32_e32 v152, 24, v136
	v_mul_lo_u32 v10, v19, v10
	v_dot4c_i32_i8_e32 v16, v15, v5
	v_cvt_f32_f16_sdwa v5, v151 dst_sel:DWORD dst_unused:UNUSED_PAD src0_sel:WORD_1
	v_cvt_f32_ubyte0_e32 v135, v137
	v_cvt_f32_i32_e32 v10, v10
	v_mul_lo_u32 v2, v16, v152
	v_cvt_f32_f16_e32 v4, v151
	v_mov_b32_e32 v6, v144
	v_mov_b32_e32 v7, v140
	v_cvt_f32_ubyte1_e32 v139, v137
	v_cvt_f32_i32_e32 v2, v2
	v_pk_fma_f32 v[6:7], v[6:7], v[134:135], 0 op_sel_hi:[1,1,0]
	v_mov_b32_e32 v8, v142
	v_mov_b32_e32 v9, v146
	v_pk_fma_f32 v[6:7], v[8:9], v[138:139], v[6:7]
	v_cvt_f32_ubyte2_e32 v11, v137
	v_mul_f32_e32 v8, v7, v5
	v_mov_b32_e32 v140, v145
	v_cvt_f32_ubyte3_e32 v3, v137
	v_pk_fma_f32 v[6:7], v[6:7], v[4:5], v[8:9] op_sel_hi:[1,1,0] neg_lo:[0,0,1] neg_hi:[0,0,1]
	v_pk_fma_f32 v[8:9], v[140:141], v[10:11], 0 op_sel_hi:[1,1,0]
	v_mov_b32_e32 v146, v143
	v_pk_fma_f32 v[2:3], v[146:147], v[2:3], v[8:9]
	v_mov_b32_e32 v7, v148
	v_mul_f32_e32 v8, v3, v5
	v_pk_fma_f32 v[2:3], v[2:3], v[4:5], v[8:9] op_sel_hi:[1,1,0] neg_lo:[0,0,1] neg_hi:[0,0,1]
	v_pk_add_f32 v[4:5], v[72:73], v[6:7]
	v_mov_b32_e32 v3, v149
	v_pk_add_f32 v[72:73], v[4:5], v[2:3]
	s_barrier
.LBB234_5:                              ;   in Loop: Header=BB234_6 Depth=1
	s_add_i32 s24, s24, -1
	s_addk_i32 s4, 0x100
	v_add_u32_e32 v27, 8, v27
	v_add_u32_e32 v23, 8, v23
	;; [unrolled: 1-line block ×3, first 2 shown]
	v_lshl_add_u64 v[60:61], v[60:61], 0, s[12:13]
	v_lshl_add_u64 v[62:63], v[62:63], 0, s[12:13]
	;; [unrolled: 1-line block ×36, first 2 shown]
	s_cmp_eq_u32 s24, 0
	v_lshl_add_u64 v[132:133], v[132:133], 0, s[12:13]
	s_cbranch_scc1 .LBB234_17
.LBB234_6:                              ; =>This Inner Loop Header: Depth=1
	v_lshl_add_u64 v[2:3], v[62:63], 0, s[18:19]
	global_load_dword v12, v[2:3], off
	v_lshl_add_u64 v[2:3], v[60:61], 0, s[18:19]
	global_load_dword v13, v[2:3], off
	;; [unrolled: 2-line block ×12, first 2 shown]
	v_lshl_add_u64 v[2:3], v[88:89], 0, s[18:19]
	v_lshl_add_u64 v[4:5], v[86:87], 0, s[18:19]
	global_load_dword v139, v[2:3], off
	global_load_dword v140, v[4:5], off
	v_lshl_add_u64 v[6:7], v[92:93], 0, s[18:19]
	v_lshl_add_u64 v[8:9], v[90:91], 0, s[18:19]
	;; [unrolled: 1-line block ×5, first 2 shown]
	global_load_dword v6, v[6:7], off
	s_nop 0
	global_load_dword v7, v[8:9], off
	s_nop 0
	global_load_dword v8, v[2:3], off
	global_load_dword v9, v[10:11], off
	s_nop 0
	global_load_dword v4, v[4:5], off
	s_add_i32 s2, s4, 0xffffff80
	s_cmp_lt_i32 s2, s5
	s_waitcnt vmcnt(18)
	v_lshrrev_b32_e32 v3, 4, v12
	v_and_b32_e32 v2, 0xf0f0f0f, v12
	s_waitcnt vmcnt(17)
	v_ashrrev_i32_e32 v5, v39, v13
	v_ashrrev_i32_e32 v10, v158, v13
	s_waitcnt vmcnt(16)
	v_and_b32_e32 v11, 0xf0f0f0f, v14
	v_lshrrev_b32_e32 v12, 4, v14
	s_waitcnt vmcnt(15)
	v_ashrrev_i32_e32 v13, v39, v15
	v_ashrrev_i32_e32 v14, v158, v15
	s_waitcnt vmcnt(14)
	v_and_b32_e32 v15, 0xf0f0f0f, v16
	v_lshrrev_b32_e32 v16, 4, v16
	s_waitcnt vmcnt(13)
	v_ashrrev_i32_e32 v141, v39, v17
	v_ashrrev_i32_e32 v17, v158, v17
	s_waitcnt vmcnt(12)
	v_and_b32_e32 v142, 0xf0f0f0f, v19
	v_lshrrev_b32_e32 v19, 4, v19
	s_waitcnt vmcnt(11)
	v_ashrrev_i32_e32 v143, v39, v134
	v_ashrrev_i32_e32 v134, v158, v134
	v_and_b32_e32 v3, 0xf0f0f0f, v3
	v_lshlrev_b32_e32 v5, 4, v5
	v_lshlrev_b32_e32 v10, 4, v10
	s_waitcnt vmcnt(10)
	v_and_b32_e32 v144, 0xf0f0f0f, v135
	v_lshrrev_b32_e32 v135, 4, v135
	s_waitcnt vmcnt(9)
	v_ashrrev_i32_e32 v145, v39, v136
	v_ashrrev_i32_e32 v136, v158, v136
	v_and_b32_e32 v12, 0xf0f0f0f, v12
	v_lshlrev_b32_e32 v13, 4, v13
	v_lshlrev_b32_e32 v14, 4, v14
	v_and_b32_e32 v16, 0xf0f0f0f, v16
	v_lshlrev_b32_e32 v141, 4, v141
	v_lshlrev_b32_e32 v17, 4, v17
	;; [unrolled: 3-line block ×3, first 2 shown]
	v_and_or_b32 v2, v5, s6, v2
	v_and_or_b32 v3, v10, s6, v3
	v_and_b32_e32 v135, 0xf0f0f0f, v135
	v_lshlrev_b32_e32 v145, 4, v145
	v_lshlrev_b32_e32 v136, 4, v136
	v_and_or_b32 v5, v13, s6, v11
	v_and_or_b32 v10, v14, s6, v12
	;; [unrolled: 1-line block ×6, first 2 shown]
	ds_write2_b32 v20, v2, v3 offset1:8
	ds_write2_b32 v22, v5, v10 offset1:8
	;; [unrolled: 1-line block ×4, first 2 shown]
	v_lshl_add_u64 v[2:3], v[98:99], 0, s[18:19]
	v_and_or_b32 v5, v145, s6, v144
	global_load_dword v10, v[2:3], off
	v_and_or_b32 v2, v136, s6, v135
	ds_write2_b32 v28, v5, v2 offset1:8
	s_waitcnt vmcnt(9)
	v_lshrrev_b32_e32 v2, 4, v137
	v_and_b32_e32 v11, 0xf0f0f0f, v2
	v_lshl_add_u64 v[2:3], v[104:105], 0, s[18:19]
	global_load_dword v12, v[2:3], off
	v_lshl_add_u64 v[2:3], v[102:103], 0, s[18:19]
	s_waitcnt vmcnt(9)
	v_ashrrev_i32_e32 v13, v39, v138
	global_load_dword v14, v[2:3], off
	v_ashrrev_i32_e32 v3, v158, v138
	v_and_b32_e32 v5, 0xf0f0f0f, v137
	v_lshlrev_b32_e32 v2, 4, v13
	v_lshlrev_b32_e32 v3, 4, v3
	v_and_or_b32 v5, v2, s6, v5
	v_and_or_b32 v11, v3, s6, v11
	v_lshl_add_u64 v[2:3], v[108:109], 0, s[18:19]
	global_load_dword v13, v[2:3], off
	v_lshl_add_u64 v[2:3], v[106:107], 0, s[18:19]
	ds_write2_b32 v30, v5, v11 offset1:8
	global_load_dword v5, v[2:3], off
	s_waitcnt vmcnt(11)
	v_lshrrev_b32_e32 v2, 4, v139
	v_and_b32_e32 v15, 0xf0f0f0f, v2
	s_waitcnt vmcnt(10)
	v_ashrrev_i32_e32 v2, v39, v140
	v_lshlrev_b32_e32 v16, 4, v2
	v_lshl_add_u64 v[2:3], v[112:113], 0, s[18:19]
	global_load_dword v17, v[2:3], off
	v_ashrrev_i32_e32 v19, v158, v140
	v_lshl_add_u64 v[2:3], v[110:111], 0, s[18:19]
	v_and_b32_e32 v11, 0xf0f0f0f, v139
	global_load_dword v134, v[2:3], off
	v_lshlrev_b32_e32 v2, 4, v19
	v_and_or_b32 v3, v16, s6, v11
	v_and_or_b32 v2, v2, s6, v15
	ds_write2_b32 v32, v3, v2 offset1:8
	v_lshl_add_u64 v[2:3], v[116:117], 0, s[18:19]
	global_load_dword v15, v[2:3], off
	v_lshl_add_u64 v[2:3], v[114:115], 0, s[18:19]
	global_load_dword v16, v[2:3], off
	s_waitcnt vmcnt(12)
	v_ashrrev_i32_e32 v2, v39, v7
	v_lshlrev_b32_e32 v19, 4, v2
	v_ashrrev_i32_e32 v2, v158, v7
	v_and_b32_e32 v11, 0xf0f0f0f, v6
	v_lshrrev_b32_e32 v6, 4, v6
	v_lshlrev_b32_e32 v7, 4, v2
	v_lshl_add_u64 v[2:3], v[120:121], 0, s[18:19]
	v_and_b32_e32 v6, 0xf0f0f0f, v6
	global_load_dword v135, v[2:3], off
	v_lshl_add_u64 v[2:3], v[118:119], 0, s[18:19]
	v_and_or_b32 v11, v19, s6, v11
	global_load_dword v19, v[2:3], off
	v_and_or_b32 v2, v7, s6, v6
	ds_write2_b32 v34, v11, v2 offset1:8
	s_waitcnt vmcnt(13)
	v_lshrrev_b32_e32 v2, 4, v8
	v_and_b32_e32 v7, 0xf0f0f0f, v2
	v_lshl_add_u64 v[2:3], v[124:125], 0, s[18:19]
	v_and_b32_e32 v6, 0xf0f0f0f, v8
	global_load_dword v8, v[2:3], off
	s_waitcnt vmcnt(13)
	v_ashrrev_i32_e32 v11, v39, v9
	v_lshl_add_u64 v[2:3], v[122:123], 0, s[18:19]
	global_load_dword v136, v[2:3], off
	v_lshlrev_b32_e32 v2, 4, v11
	v_ashrrev_i32_e32 v3, v158, v9
	v_lshlrev_b32_e32 v9, 4, v3
	v_and_or_b32 v6, v2, s6, v6
	v_lshl_add_u64 v[2:3], v[54:55], 0, s[18:19]
	global_load_dword v11, v[2:3], off
	v_lshl_add_u64 v[2:3], v[128:129], 0, s[18:19]
	global_load_dword v137, v[2:3], off
	;; [unrolled: 2-line block ×3, first 2 shown]
	v_lshl_add_u64 v[2:3], v[132:133], 0, s[18:19]
	v_and_or_b32 v7, v9, s6, v7
	global_load_dword v9, v[2:3], off
	v_lshl_add_u64 v[2:3], v[130:131], 0, s[18:19]
	global_load_dword v2, v[2:3], off
	ds_write2_b32 v36, v6, v7 offset1:8
	s_waitcnt vmcnt(18)
	v_and_b32_e32 v3, 0xf0f0f0f, v4
	v_lshrrev_b32_e32 v4, 4, v4
	v_and_b32_e32 v4, 0xf0f0f0f, v4
	s_waitcnt vmcnt(17)
	v_ashrrev_i32_e32 v6, v39, v10
	v_ashrrev_i32_e32 v7, v158, v10
	v_lshlrev_b32_e32 v6, 4, v6
	v_lshlrev_b32_e32 v7, 4, v7
	v_and_or_b32 v3, v6, s6, v3
	v_and_or_b32 v4, v7, s6, v4
	ds_write2_b32 v38, v3, v4 offset1:8
	s_waitcnt vmcnt(16)
	v_lshrrev_b32_e32 v4, 4, v12
	v_and_b32_e32 v3, 0xf0f0f0f, v12
	s_waitcnt vmcnt(15)
	v_ashrrev_i32_e32 v6, v39, v14
	v_ashrrev_i32_e32 v7, v158, v14
	v_and_b32_e32 v4, 0xf0f0f0f, v4
	v_lshlrev_b32_e32 v6, 4, v6
	v_lshlrev_b32_e32 v7, 4, v7
	v_and_or_b32 v3, v6, s6, v3
	v_and_or_b32 v4, v7, s6, v4
	ds_write2_b32 v40, v3, v4 offset1:8
	s_waitcnt vmcnt(14)
	v_lshrrev_b32_e32 v4, 4, v13
	v_and_b32_e32 v3, 0xf0f0f0f, v13
	v_and_b32_e32 v4, 0xf0f0f0f, v4
	s_waitcnt vmcnt(13)
	v_ashrrev_i32_e32 v6, v39, v5
	v_ashrrev_i32_e32 v5, v158, v5
	v_lshlrev_b32_e32 v6, 4, v6
	v_lshlrev_b32_e32 v5, 4, v5
	v_and_or_b32 v3, v6, s6, v3
	v_and_or_b32 v4, v5, s6, v4
	ds_write2_b32 v42, v3, v4 offset1:8
	s_waitcnt vmcnt(12)
	v_lshrrev_b32_e32 v4, 4, v17
	v_and_b32_e32 v3, 0xf0f0f0f, v17
	v_and_b32_e32 v4, 0xf0f0f0f, v4
	s_waitcnt vmcnt(11)
	v_ashrrev_i32_e32 v5, v39, v134
	v_ashrrev_i32_e32 v6, v158, v134
	v_lshlrev_b32_e32 v5, 4, v5
	v_lshlrev_b32_e32 v6, 4, v6
	v_and_or_b32 v3, v5, s6, v3
	v_and_or_b32 v4, v6, s6, v4
	ds_write2_b32 v44, v3, v4 offset1:8
	s_waitcnt vmcnt(10)
	v_lshrrev_b32_e32 v4, 4, v15
	s_waitcnt vmcnt(9)
	v_ashrrev_i32_e32 v5, v39, v16
	v_ashrrev_i32_e32 v6, v158, v16
	v_and_b32_e32 v3, 0xf0f0f0f, v15
	v_and_b32_e32 v4, 0xf0f0f0f, v4
	v_lshlrev_b32_e32 v5, 4, v5
	v_lshlrev_b32_e32 v6, 4, v6
	v_and_or_b32 v3, v5, s6, v3
	v_and_or_b32 v4, v6, s6, v4
	ds_write2_b32 v46, v3, v4 offset1:8
	s_waitcnt vmcnt(8)
	v_lshrrev_b32_e32 v4, 4, v135
	v_and_b32_e32 v3, 0xf0f0f0f, v135
	v_and_b32_e32 v4, 0xf0f0f0f, v4
	s_waitcnt vmcnt(7)
	v_ashrrev_i32_e32 v5, v39, v19
	v_ashrrev_i32_e32 v6, v158, v19
	v_lshlrev_b32_e32 v5, 4, v5
	v_lshlrev_b32_e32 v6, 4, v6
	v_and_or_b32 v3, v5, s6, v3
	v_and_or_b32 v4, v6, s6, v4
	ds_write2_b32 v48, v3, v4 offset1:8
	s_waitcnt vmcnt(6)
	v_lshrrev_b32_e32 v4, 4, v8
	v_and_b32_e32 v3, 0xf0f0f0f, v8
	v_and_b32_e32 v4, 0xf0f0f0f, v4
	s_waitcnt vmcnt(5)
	v_ashrrev_i32_e32 v5, v39, v136
	v_ashrrev_i32_e32 v6, v158, v136
	v_lshlrev_b32_e32 v5, 4, v5
	v_lshlrev_b32_e32 v6, 4, v6
	v_and_or_b32 v3, v5, s6, v3
	v_and_or_b32 v4, v6, s6, v4
	ds_write2_b32 v50, v3, v4 offset1:8
	s_waitcnt vmcnt(4)
	ds_write_b32 v21, v11
	s_waitcnt vmcnt(3)
	v_ashrrev_i32_e32 v3, v41, v137
	v_and_b32_e32 v3, 0xf0f0f0f, v3
	s_waitcnt vmcnt(2)
	v_ashrrev_i32_e32 v4, v43, v138
	v_and_or_b32 v3, v4, s25, v3
	ds_write_b32 v35, v3
	s_waitcnt vmcnt(1)
	v_ashrrev_i32_e32 v3, v41, v9
	v_and_b32_e32 v3, 0xf0f0f0f, v3
	s_waitcnt vmcnt(0)
	v_ashrrev_i32_e32 v2, v43, v2
	v_and_or_b32 v2, v2, s25, v3
	ds_write_b32 v37, v2
	s_cbranch_scc0 .LBB234_5
; %bb.7:                                ;   in Loop: Header=BB234_6 Depth=1
	v_cmp_gt_i32_e64 s[2:3], s8, v23
	s_and_b64 s[22:23], s[0:1], s[2:3]
	s_and_saveexec_b64 s[2:3], s[22:23]
	s_cbranch_execz .LBB234_9
; %bb.8:                                ;   in Loop: Header=BB234_6 Depth=1
	v_add_u32_e32 v2, v58, v23
	v_mad_i64_i32 v[2:3], s[22:23], v2, 36, v[56:57]
	global_load_dword v2, v[2:3], off offset:4
	s_waitcnt vmcnt(0)
	ds_write_b32 v156, v2
.LBB234_9:                              ;   in Loop: Header=BB234_6 Depth=1
	s_or_b64 exec, exec, s[2:3]
	v_cmp_gt_i32_e64 s[2:3], s8, v18
	s_and_b64 s[22:23], s[20:21], s[2:3]
	s_and_saveexec_b64 s[2:3], s[22:23]
	s_cbranch_execz .LBB234_11
; %bb.10:                               ;   in Loop: Header=BB234_6 Depth=1
	v_add_u32_e32 v2, v58, v18
	v_mad_i64_i32 v[2:3], s[22:23], v2, 36, s[14:15]
	global_load_dword v2, v[2:3], off
	v_add_u32_e32 v3, v154, v157
	s_waitcnt vmcnt(0)
	ds_write_b32 v3, v2
.LBB234_11:                             ;   in Loop: Header=BB234_6 Depth=1
	s_or_b64 exec, exec, s[2:3]
	s_waitcnt lgkmcnt(0)
	s_barrier
	ds_read_b128 v[14:17], v155
	ds_read_b128 v[10:13], v155 offset:16
	ds_read2_b32 v[134:135], v159 offset1:1
	ds_read_b128 v[6:9], v155 offset:32
	ds_read_b128 v[2:5], v155 offset:48
	;; [unrolled: 1-line block ×3, first 2 shown]
	ds_read2_b32 v[136:137], v159 offset0:2 offset1:3
	v_mov_b32_e32 v19, 0
	s_waitcnt lgkmcnt(4)
	v_dot4c_i32_i8_e32 v19, v134, v14
	v_dot4c_i32_i8_e32 v19, v135, v15
	ds_read2_b32 v[134:135], v159 offset0:4 offset1:5
	ds_read2_b32 v[138:139], v159 offset0:6 offset1:7
	;; [unrolled: 1-line block ×3, first 2 shown]
	s_waitcnt lgkmcnt(3)
	v_dot4c_i32_i8_e32 v19, v136, v16
	v_dot4c_i32_i8_e32 v19, v137, v17
	s_waitcnt lgkmcnt(2)
	v_dot4c_i32_i8_e32 v19, v134, v10
	v_dot4c_i32_i8_e32 v19, v135, v11
	ds_read2_b32 v[134:135], v159 offset0:10 offset1:11
	v_mov_b32_e32 v179, 0
	s_waitcnt lgkmcnt(1)
	v_dot4c_i32_i8_e32 v179, v140, v6
	v_dot4c_i32_i8_e32 v179, v141, v7
	;; [unrolled: 1-line block ×3, first 2 shown]
	s_waitcnt lgkmcnt(0)
	v_dot4c_i32_i8_e32 v179, v134, v8
	v_add_u32_e32 v134, 0x2080, v159
	ds_read2_b32 v[136:137], v25 offset1:2
	v_dot4c_i32_i8_e32 v19, v139, v13
	ds_read2_b32 v[138:139], v159 offset0:12 offset1:13
	ds_read2_b32 v[140:141], v159 offset0:14 offset1:15
	;; [unrolled: 1-line block ×3, first 2 shown]
	v_dot4c_i32_i8_e32 v179, v135, v9
	ds_read2_b32 v[134:135], v134 offset1:1
	v_mov_b32_e32 v180, 0
	ds_read_b32 v181, v47 offset:128
	ds_read_b32 v160, v49 offset:256
	;; [unrolled: 1-line block ×3, first 2 shown]
	s_waitcnt lgkmcnt(6)
	v_dot4c_i32_i8_e32 v179, v138, v2
	v_dot4c_i32_i8_e32 v179, v139, v3
	s_waitcnt lgkmcnt(3)
	v_dot4c_i32_i8_e32 v180, v134, v14
	v_add_u32_e32 v134, 0x2088, v159
	v_dot4c_i32_i8_e32 v180, v135, v15
	ds_read2_b32 v[134:135], v134 offset1:1
	v_dot4c_i32_i8_e32 v179, v140, v4
	v_add_u32_e32 v138, 0x2090, v159
	v_add_u32_e32 v140, 0x2098, v159
	v_dot4c_i32_i8_e32 v179, v141, v5
	v_add_u32_e32 v142, 0x20a0, v159
	ds_read2_b32 v[138:139], v138 offset1:1
	ds_read2_b32 v[140:141], v140 offset1:1
	;; [unrolled: 1-line block ×3, first 2 shown]
	s_waitcnt lgkmcnt(3)
	v_dot4c_i32_i8_e32 v180, v134, v16
	v_add_u32_e32 v134, 0x20a8, v159
	v_dot4c_i32_i8_e32 v180, v135, v17
	ds_read2_b32 v[134:135], v134 offset1:1
	s_waitcnt lgkmcnt(3)
	v_dot4c_i32_i8_e32 v180, v138, v10
	v_dot4c_i32_i8_e32 v180, v139, v11
	v_mov_b32_e32 v184, 0
	s_waitcnt lgkmcnt(2)
	v_dot4c_i32_i8_e32 v180, v140, v12
	s_waitcnt lgkmcnt(1)
	v_dot4c_i32_i8_e32 v184, v146, v6
	v_add_u32_e32 v138, 0x20b0, v159
	v_add_u32_e32 v140, 0x20b8, v159
	;; [unrolled: 1-line block ×3, first 2 shown]
	ds_read2_b32 v[142:143], v29 offset1:2
	v_dot4c_i32_i8_e32 v180, v141, v13
	v_dot4c_i32_i8_e32 v184, v147, v7
	ds_read2_b32 v[138:139], v138 offset1:1
	ds_read2_b32 v[140:141], v140 offset1:1
	;; [unrolled: 1-line block ×3, first 2 shown]
	s_waitcnt lgkmcnt(4)
	v_dot4c_i32_i8_e32 v184, v134, v8
	v_add_u32_e32 v134, 0x4108, v159
	v_dot4c_i32_i8_e32 v184, v135, v9
	ds_read2_b32 v[134:135], v134 offset1:1
	s_waitcnt lgkmcnt(3)
	v_dot4c_i32_i8_e32 v184, v138, v2
	v_dot4c_i32_i8_e32 v184, v139, v3
	v_mov_b32_e32 v150, 0
	s_waitcnt lgkmcnt(2)
	v_dot4c_i32_i8_e32 v184, v140, v4
	s_waitcnt lgkmcnt(1)
	v_dot4c_i32_i8_e32 v150, v146, v14
	v_add_u32_e32 v138, 0x4110, v159
	v_add_u32_e32 v148, 0x4120, v159
	v_dot4c_i32_i8_e32 v184, v141, v5
	v_dot4c_i32_i8_e32 v150, v147, v15
	v_add_u32_e32 v139, 0x4118, v159
	ds_read2_b32 v[140:141], v138 offset1:1
	ds_read2_b32 v[146:147], v139 offset1:1
	;; [unrolled: 1-line block ×3, first 2 shown]
	s_waitcnt lgkmcnt(3)
	v_dot4c_i32_i8_e32 v150, v134, v16
	ds_read2_b32 v[138:139], v31 offset1:2
	v_dot4c_i32_i8_e32 v150, v135, v17
	s_waitcnt lgkmcnt(3)
	v_dot4c_i32_i8_e32 v150, v140, v10
	v_add_u32_e32 v140, 0x4128, v159
	v_dot4c_i32_i8_e32 v150, v141, v11
	ds_read2_b32 v[140:141], v140 offset1:1
	s_waitcnt lgkmcnt(3)
	v_dot4c_i32_i8_e32 v150, v146, v12
	v_dot4c_i32_i8_e32 v150, v147, v13
	s_waitcnt lgkmcnt(1)
	v_and_b32_e32 v134, 0xff, v138
	v_mov_b32_e32 v152, 0
	v_dot4c_i32_i8_e32 v152, v148, v6
	v_mul_lo_u32 v134, v150, v134
	v_add_u32_e32 v146, 0x4130, v159
	v_add_u32_e32 v148, 0x4138, v159
	;; [unrolled: 1-line block ×3, first 2 shown]
	v_dot4c_i32_i8_e32 v152, v149, v7
	ds_read2_b32 v[146:147], v146 offset1:1
	ds_read2_b32 v[148:149], v148 offset1:1
	;; [unrolled: 1-line block ×3, first 2 shown]
	s_waitcnt lgkmcnt(3)
	v_dot4c_i32_i8_e32 v152, v140, v8
	v_dot4c_i32_i8_e32 v152, v141, v9
	s_waitcnt lgkmcnt(2)
	v_dot4c_i32_i8_e32 v152, v146, v2
	v_dot4c_i32_i8_e32 v152, v147, v3
	v_mov_b32_e32 v167, 0
	s_waitcnt lgkmcnt(1)
	v_dot4c_i32_i8_e32 v152, v148, v4
	s_waitcnt lgkmcnt(0)
	v_dot4c_i32_i8_e32 v167, v150, v14
	v_add_u32_e32 v14, 0x6188, v159
	v_add_u32_e32 v146, 0x6190, v159
	;; [unrolled: 1-line block ×4, first 2 shown]
	v_dot4c_i32_i8_e32 v152, v149, v5
	v_dot4c_i32_i8_e32 v167, v151, v15
	ds_read2_b32 v[14:15], v14 offset1:1
	ds_read2_b32 v[146:147], v146 offset1:1
	;; [unrolled: 1-line block ×4, first 2 shown]
	v_mov_b32_e32 v186, 0
	v_mov_b32_e32 v187, 0
	v_bfe_u32 v140, v138, 8, 8
	s_waitcnt lgkmcnt(3)
	v_dot4c_i32_i8_e32 v167, v14, v16
	s_waitcnt lgkmcnt(0)
	v_dot4c_i32_i8_e32 v186, v150, v6
	v_add_u32_e32 v6, 0x61a8, v159
	v_dot4c_i32_i8_e32 v167, v15, v17
	v_dot4c_i32_i8_e32 v186, v151, v7
	ds_read2_b32 v[6:7], v6 offset1:1
	v_dot4c_i32_i8_e32 v167, v146, v10
	v_dot4c_i32_i8_e32 v167, v147, v11
	;; [unrolled: 1-line block ×3, first 2 shown]
	v_add_u32_e32 v10, 0x61b0, v159
	v_add_u32_e32 v12, 0x61b8, v159
	v_dot4c_i32_i8_e32 v167, v149, v13
	v_add_u32_e32 v14, 0x61c0, v159
	ds_read2_b32 v[10:11], v10 offset1:1
	ds_read2_b32 v[12:13], v12 offset1:1
	;; [unrolled: 1-line block ×3, first 2 shown]
	s_waitcnt lgkmcnt(3)
	v_dot4c_i32_i8_e32 v186, v6, v8
	v_dot4c_i32_i8_e32 v186, v7, v9
	s_waitcnt lgkmcnt(2)
	v_dot4c_i32_i8_e32 v186, v10, v2
	v_dot4c_i32_i8_e32 v186, v11, v3
	;; [unrolled: 3-line block ×3, first 2 shown]
	ds_read_b128 v[14:17], v155 offset:64
	ds_read_b128 v[10:13], v155 offset:80
	;; [unrolled: 1-line block ×4, first 2 shown]
	ds_read2_b32 v[146:147], v159 offset0:18 offset1:19
	s_waitcnt lgkmcnt(4)
	v_dot4c_i32_i8_e32 v187, v144, v14
	v_dot4c_i32_i8_e32 v187, v145, v15
	ds_read2_b32 v[144:145], v159 offset0:20 offset1:21
	ds_read2_b32 v[148:149], v159 offset0:22 offset1:23
	;; [unrolled: 1-line block ×3, first 2 shown]
	v_mul_lo_u32 v140, v152, v140
	s_waitcnt lgkmcnt(3)
	v_dot4c_i32_i8_e32 v187, v146, v16
	v_mov_b32_e32 v146, 0
	v_dot4c_i32_i8_e32 v146, v150, v14
	v_add_u32_e32 v150, 0x61c8, v159
	v_dot4c_i32_i8_e32 v187, v147, v17
	v_dot4c_i32_i8_e32 v146, v151, v15
	ds_read2_b32 v[150:151], v150 offset1:1
	s_waitcnt lgkmcnt(3)
	v_dot4c_i32_i8_e32 v187, v144, v10
	v_dot4c_i32_i8_e32 v187, v145, v11
	v_cvt_f32_f16_e32 v152, v153
	v_cvt_f32_f16_sdwa v166, v153 dst_sel:DWORD dst_unused:UNUSED_PAD src0_sel:WORD_1
	s_waitcnt lgkmcnt(2)
	v_dot4c_i32_i8_e32 v187, v148, v12
	v_add_u32_e32 v153, 0x61d0, v159
	v_dot4c_i32_i8_e32 v187, v149, v13
	v_cvt_f32_f16_e32 v149, v164
	v_cvt_f32_f16_e32 v148, v162
	v_cvt_f32_f16_sdwa v145, v164 dst_sel:DWORD dst_unused:UNUSED_PAD src0_sel:WORD_1
	v_cvt_f32_f16_sdwa v144, v162 dst_sel:DWORD dst_unused:UNUSED_PAD src0_sel:WORD_1
	v_add_u32_e32 v162, 0x61d8, v159
	v_add_u32_e32 v164, 0x61e0, v159
	ds_read2_b32 v[170:171], v153 offset1:1
	ds_read2_b32 v[172:173], v162 offset1:1
	;; [unrolled: 1-line block ×3, first 2 shown]
	s_waitcnt lgkmcnt(3)
	v_dot4c_i32_i8_e32 v146, v150, v16
	ds_read2_b32 v[176:177], v33 offset1:2
	v_dot4c_i32_i8_e32 v146, v151, v17
	s_waitcnt lgkmcnt(3)
	v_dot4c_i32_i8_e32 v146, v170, v10
	v_dot4c_i32_i8_e32 v146, v171, v11
	s_waitcnt lgkmcnt(2)
	v_dot4c_i32_i8_e32 v146, v172, v12
	v_dot4c_i32_i8_e32 v146, v173, v13
	s_waitcnt lgkmcnt(0)
	v_and_b32_e32 v150, 0xff, v176
	v_bfe_u32 v151, v176, 16, 8
	v_mul_lo_u32 v150, v167, v150
	v_mul_lo_u32 v146, v146, v151
	v_add_u32_e32 v164, 0x61e8, v159
	v_cvt_f32_f16_e32 v147, v165
	v_cvt_f32_i32_e32 v171, v146
	v_cvt_f32_i32_e32 v170, v150
	v_cvt_f32_f16_sdwa v151, v165 dst_sel:DWORD dst_unused:UNUSED_PAD src0_sel:WORD_1
	ds_read2_b32 v[164:165], v164 offset1:1
	v_mov_b32_e32 v153, 0
	v_mov_b32_e32 v188, 0
	v_dot4c_i32_i8_e32 v153, v174, v6
	v_add_u32_e32 v167, 0x61f0, v159
	v_add_u32_e32 v174, 0x20c0, v159
	v_dot4c_i32_i8_e32 v188, v168, v6
	v_cvt_f32_f16_e32 v146, v163
	v_cvt_f32_f16_sdwa v150, v163 dst_sel:DWORD dst_unused:UNUSED_PAD src0_sel:WORD_1
	v_pk_fma_f32 v[162:163], v[148:149], v[170:171], 0 op_sel_hi:[1,1,0]
	v_dot4c_i32_i8_e32 v153, v175, v7
	v_add_u32_e32 v168, 0x61f8, v159
	ds_read2_b32 v[170:171], v167 offset1:1
	ds_read2_b32 v[172:173], v168 offset1:1
	;; [unrolled: 1-line block ×3, first 2 shown]
	s_waitcnt lgkmcnt(3)
	v_dot4c_i32_i8_e32 v153, v164, v8
	v_dot4c_i32_i8_e32 v153, v165, v9
	s_waitcnt lgkmcnt(2)
	v_dot4c_i32_i8_e32 v153, v170, v2
	v_dot4c_i32_i8_e32 v153, v171, v3
	;; [unrolled: 3-line block ×3, first 2 shown]
	v_lshrrev_b32_e32 v164, 24, v176
	v_bfe_u32 v165, v176, 8, 8
	v_mul_lo_u32 v167, v186, v165
	v_mul_lo_u32 v153, v153, v164
	v_cvt_f32_i32_e32 v165, v153
	v_cvt_f32_i32_e32 v164, v167
	v_cvt_f32_ubyte2_e32 v171, v177
	v_cvt_f32_ubyte0_e32 v170, v177
	v_pk_fma_f32 v[170:171], v[144:145], v[170:171], 0 op_sel_hi:[1,1,0]
	v_pk_fma_f32 v[162:163], v[146:147], v[164:165], v[162:163]
	v_cvt_f32_ubyte3_e32 v165, v177
	v_cvt_f32_ubyte1_e32 v164, v177
	v_pk_fma_f32 v[164:165], v[150:151], v[164:165], v[170:171]
	v_and_b32_e32 v178, 0xff, v136
	v_pk_mul_f32 v[164:165], v[164:165], v[166:167] op_sel_hi:[1,0]
	v_and_b32_e32 v183, 0xff, v142
	v_pk_fma_f32 v[152:153], v[162:163], v[152:153], v[164:165] op_sel_hi:[1,0,1] neg_lo:[0,0,1] neg_hi:[0,0,1]
	ds_read2_b32 v[162:163], v159 offset0:26 offset1:27
	v_dot4c_i32_i8_e32 v188, v169, v7
	ds_read_b32 v186, v45
	ds_read2_b32 v[164:165], v159 offset0:28 offset1:29
	ds_read2_b32 v[166:167], v159 offset0:30 offset1:31
	v_mul_lo_u32 v19, v19, v178
	v_cvt_f32_i32_e32 v168, v19
	s_waitcnt lgkmcnt(3)
	v_dot4c_i32_i8_e32 v188, v162, v8
	v_mul_lo_u32 v162, v180, v183
	v_cvt_f32_i32_e32 v169, v162
	v_bfe_u32 v19, v142, 8, 8
	v_bfe_u32 v162, v136, 8, 8
	v_mul_lo_u32 v162, v179, v162
	v_mul_lo_u32 v19, v184, v19
	v_cvt_f32_i32_e32 v173, v19
	v_cvt_f32_i32_e32 v172, v162
	v_cvt_f32_f16_e32 v179, v181
	v_cvt_f32_f16_sdwa v181, v181 dst_sel:DWORD dst_unused:UNUSED_PAD src0_sel:WORD_1
	s_waitcnt lgkmcnt(2)
	v_cvt_f32_f16_sdwa v180, v186 dst_sel:DWORD dst_unused:UNUSED_PAD src0_sel:WORD_1
	v_cvt_f32_ubyte0_e32 v171, v143
	v_cvt_f32_ubyte0_e32 v170, v137
	v_cvt_f32_f16_e32 v178, v186
	v_cvt_f32_ubyte1_e32 v177, v143
	v_cvt_f32_ubyte1_e32 v176, v137
	v_pk_fma_f32 v[170:171], v[144:145], v[170:171], 0 op_sel_hi:[0,1,0]
	v_add_u32_e32 v162, 0x20c8, v159
	v_pk_fma_f32 v[168:169], v[148:149], v[168:169], 0 op_sel_hi:[0,1,0]
	v_pk_fma_f32 v[170:171], v[150:151], v[176:177], v[170:171] op_sel_hi:[0,1,1]
	v_dot4c_i32_i8_e32 v188, v163, v9
	ds_read2_b32 v[162:163], v162 offset1:1
	v_pk_fma_f32 v[168:169], v[146:147], v[172:173], v[168:169] op_sel_hi:[0,1,1]
	v_pk_mul_f32 v[170:171], v[170:171], v[180:181]
	v_mov_b32_e32 v19, 0
	v_pk_fma_f32 v[168:169], v[168:169], v[178:179], v[170:171] neg_lo:[0,0,1] neg_hi:[0,0,1]
	s_waitcnt lgkmcnt(2)
	v_dot4c_i32_i8_e32 v188, v164, v2
	v_pk_add_f32 v[52:53], v[52:53], v[168:169]
	v_dot4c_i32_i8_e32 v19, v174, v14
	v_add_u32_e32 v164, 0x20d0, v159
	v_add_u32_e32 v168, 0x20d8, v159
	;; [unrolled: 1-line block ×3, first 2 shown]
	v_dot4c_i32_i8_e32 v188, v165, v3
	v_dot4c_i32_i8_e32 v19, v175, v15
	ds_read2_b32 v[164:165], v164 offset1:1
	ds_read2_b32 v[168:169], v168 offset1:1
	;; [unrolled: 1-line block ×3, first 2 shown]
	s_waitcnt lgkmcnt(3)
	v_dot4c_i32_i8_e32 v19, v162, v16
	v_dot4c_i32_i8_e32 v19, v163, v17
	s_waitcnt lgkmcnt(2)
	v_dot4c_i32_i8_e32 v19, v164, v10
	v_dot4c_i32_i8_e32 v19, v165, v11
	s_waitcnt lgkmcnt(1)
	v_dot4c_i32_i8_e32 v19, v168, v12
	v_lshrrev_b32_e32 v161, 24, v136
	v_lshrrev_b32_e32 v182, 24, v142
	v_dot4c_i32_i8_e32 v19, v169, v13
	v_bfe_u32 v142, v142, 16, 8
	v_bfe_u32 v136, v136, 16, 8
	v_mul_lo_u32 v136, v187, v136
	v_mul_lo_u32 v19, v19, v142
	v_cvt_f32_i32_e32 v163, v19
	v_cvt_f32_i32_e32 v162, v136
	v_mov_b32_e32 v136, v149
	v_dot4c_i32_i8_e32 v188, v166, v4
	v_dot4c_i32_i8_e32 v188, v167, v5
	v_pk_fma_f32 v[162:163], v[136:137], v[162:163], 0 op_sel_hi:[0,1,0]
	v_add_u32_e32 v136, 0x20e8, v159
	ds_read2_b32 v[166:167], v136 offset1:1
	v_mov_b32_e32 v19, 0
	s_waitcnt lgkmcnt(1)
	v_dot4c_i32_i8_e32 v19, v170, v6
	v_add_u32_e32 v136, 0x20f0, v159
	v_add_u32_e32 v172, 0x4140, v159
	v_dot4c_i32_i8_e32 v19, v171, v7
	v_add_u32_e32 v142, 0x20f8, v159
	ds_read2_b32 v[168:169], v136 offset1:1
	ds_read2_b32 v[170:171], v142 offset1:1
	;; [unrolled: 1-line block ×3, first 2 shown]
	s_waitcnt lgkmcnt(3)
	v_dot4c_i32_i8_e32 v19, v166, v8
	v_dot4c_i32_i8_e32 v19, v167, v9
	s_waitcnt lgkmcnt(2)
	v_dot4c_i32_i8_e32 v19, v168, v2
	v_dot4c_i32_i8_e32 v19, v169, v3
	;; [unrolled: 3-line block ×3, first 2 shown]
	v_mul_lo_u32 v136, v188, v161
	v_cvt_f32_i32_e32 v166, v136
	v_cvt_f32_ubyte2_e32 v165, v143
	v_mul_lo_u32 v19, v19, v182
	v_cvt_f32_i32_e32 v167, v19
	v_cvt_f32_ubyte2_e32 v164, v137
	v_mov_b32_e32 v136, v145
	v_pk_fma_f32 v[164:165], v[136:137], v[164:165], 0 op_sel_hi:[0,1,0]
	v_mov_b32_e32 v136, v147
	v_pk_fma_f32 v[162:163], v[136:137], v[166:167], v[162:163] op_sel_hi:[0,1,1]
	v_cvt_f32_ubyte3_e32 v143, v143
	v_cvt_f32_ubyte3_e32 v142, v137
	v_mov_b32_e32 v136, v151
	v_pk_fma_f32 v[136:137], v[136:137], v[142:143], v[164:165] op_sel_hi:[0,1,1]
	v_mov_b32_e32 v19, 0
	v_pk_mul_f32 v[136:137], v[136:137], v[180:181]
	s_waitcnt lgkmcnt(0)
	v_dot4c_i32_i8_e32 v19, v172, v14
	v_add_u32_e32 v14, 0x4148, v159
	v_pk_fma_f32 v[136:137], v[162:163], v[178:179], v[136:137] neg_lo:[0,0,1] neg_hi:[0,0,1]
	v_dot4c_i32_i8_e32 v19, v173, v15
	ds_read2_b32 v[14:15], v14 offset1:1
	v_pk_add_f32 v[52:53], v[52:53], v[136:137]
	v_add_u32_e32 v136, 0x4150, v159
	v_add_u32_e32 v142, 0x4158, v159
	;; [unrolled: 1-line block ×3, first 2 shown]
	ds_read2_b32 v[136:137], v136 offset1:1
	ds_read2_b32 v[142:143], v142 offset1:1
	;; [unrolled: 1-line block ×3, first 2 shown]
	s_waitcnt lgkmcnt(3)
	v_dot4c_i32_i8_e32 v19, v14, v16
	v_dot4c_i32_i8_e32 v19, v15, v17
	v_mov_b32_e32 v16, 0
	s_waitcnt lgkmcnt(2)
	v_dot4c_i32_i8_e32 v19, v136, v10
	s_waitcnt lgkmcnt(0)
	v_dot4c_i32_i8_e32 v16, v162, v6
	v_add_u32_e32 v6, 0x4168, v159
	v_dot4c_i32_i8_e32 v19, v137, v11
	v_dot4c_i32_i8_e32 v16, v163, v7
	ds_read2_b32 v[6:7], v6 offset1:1
	v_dot4c_i32_i8_e32 v19, v142, v12
	v_add_u32_e32 v12, 0x4170, v159
	v_dot4c_i32_i8_e32 v19, v143, v13
	ds_read2_b32 v[12:13], v12 offset1:1
	v_add_u32_e32 v14, 0x4178, v159
	ds_read2_b32 v[14:15], v14 offset1:1
	s_waitcnt lgkmcnt(2)
	v_dot4c_i32_i8_e32 v16, v6, v8
	v_dot4c_i32_i8_e32 v16, v7, v9
	s_waitcnt lgkmcnt(1)
	v_dot4c_i32_i8_e32 v16, v12, v2
	v_cvt_f32_i32_e32 v134, v134
	v_dot4c_i32_i8_e32 v16, v13, v3
	v_cvt_f32_i32_e32 v140, v140
	v_bfe_u32 v10, v138, 16, 8
	s_waitcnt lgkmcnt(0)
	v_dot4c_i32_i8_e32 v16, v14, v4
	v_lshrrev_b32_e32 v185, 24, v138
	v_mul_lo_u32 v10, v19, v10
	v_dot4c_i32_i8_e32 v16, v15, v5
	v_cvt_f32_f16_sdwa v5, v160 dst_sel:DWORD dst_unused:UNUSED_PAD src0_sel:WORD_1
	v_cvt_f32_ubyte0_e32 v135, v139
	v_cvt_f32_i32_e32 v10, v10
	v_mul_lo_u32 v2, v16, v185
	v_cvt_f32_f16_e32 v4, v160
	v_mov_b32_e32 v6, v148
	v_mov_b32_e32 v7, v144
	v_cvt_f32_ubyte1_e32 v141, v139
	v_cvt_f32_i32_e32 v2, v2
	v_pk_fma_f32 v[6:7], v[6:7], v[134:135], 0 op_sel_hi:[1,1,0]
	v_mov_b32_e32 v8, v146
	v_mov_b32_e32 v9, v150
	v_pk_fma_f32 v[6:7], v[8:9], v[140:141], v[6:7]
	v_cvt_f32_ubyte2_e32 v11, v139
	v_mul_f32_e32 v8, v7, v5
	v_mov_b32_e32 v144, v149
	v_cvt_f32_ubyte3_e32 v3, v139
	v_pk_fma_f32 v[6:7], v[6:7], v[4:5], v[8:9] op_sel_hi:[1,1,0] neg_lo:[0,0,1] neg_hi:[0,0,1]
	v_pk_fma_f32 v[8:9], v[144:145], v[10:11], 0 op_sel_hi:[1,1,0]
	v_mov_b32_e32 v150, v147
	v_pk_fma_f32 v[2:3], v[150:151], v[2:3], v[8:9]
	v_mov_b32_e32 v7, v152
	v_mul_f32_e32 v8, v3, v5
	v_pk_fma_f32 v[2:3], v[2:3], v[4:5], v[8:9] op_sel_hi:[1,1,0] neg_lo:[0,0,1] neg_hi:[0,0,1]
	v_pk_add_f32 v[4:5], v[72:73], v[6:7]
	v_mov_b32_e32 v3, v153
	v_pk_add_f32 v[72:73], v[4:5], v[2:3]
	s_cmp_ge_i32 s4, s5
	s_barrier
	s_cbranch_scc1 .LBB234_5
; %bb.12:                               ;   in Loop: Header=BB234_6 Depth=1
	v_cmp_gt_i32_e64 s[2:3], s8, v27
	s_and_b64 s[22:23], s[0:1], s[2:3]
	s_and_saveexec_b64 s[2:3], s[22:23]
	s_cbranch_execz .LBB234_14
; %bb.13:                               ;   in Loop: Header=BB234_6 Depth=1
	v_add_u32_e32 v2, v58, v27
	v_mad_i64_i32 v[2:3], s[22:23], v2, 36, v[56:57]
	global_load_dword v2, v[2:3], off offset:4
	s_waitcnt vmcnt(0)
	ds_write_b32 v156, v2
.LBB234_14:                             ;   in Loop: Header=BB234_6 Depth=1
	s_or_b64 exec, exec, s[2:3]
	s_and_saveexec_b64 s[22:23], vcc
	s_cbranch_execz .LBB234_4
; %bb.15:                               ;   in Loop: Header=BB234_6 Depth=1
	v_add_u32_e32 v2, 4, v18
	v_cmp_gt_i32_e64 s[2:3], s8, v2
	s_and_b64 s[2:3], s[0:1], s[2:3]
	s_and_b64 exec, exec, s[2:3]
	s_cbranch_execz .LBB234_4
; %bb.16:                               ;   in Loop: Header=BB234_6 Depth=1
	v_ashrrev_i32_e32 v19, 31, v18
	v_lshl_add_u64 v[2:3], v[58:59], 0, v[18:19]
	v_mad_u64_u32 v[4:5], s[2:3], v2, 36, s[14:15]
	v_mad_i32_i24 v5, v3, 36, v5
	global_load_dword v2, v[4:5], off offset:144
	v_add_u32_e32 v3, v154, v157
	s_waitcnt vmcnt(0)
	ds_write_b32 v3, v2
	s_branch .LBB234_4
.LBB234_17:
	s_mul_i32 s0, s10, s7
	s_waitcnt vmcnt(0)
	v_cmp_gt_i32_e32 vcc, s0, v1
	s_and_saveexec_b64 s[0:1], vcc
	s_cbranch_execz .LBB234_26
; %bb.18:
	v_and_b32_e32 v0, 0x3ff, v0
	v_add_u32_e32 v2, s11, v0
	v_mul_lo_u32 v0, v1, s9
	v_cmp_gt_u32_e32 vcc, s9, v2
	s_and_saveexec_b64 s[0:1], vcc
	s_cbranch_execz .LBB234_20
; %bb.19:
	v_bfe_u32 v1, v52, 16, 1
	s_movk_i32 s2, 0x7fff
	v_add3_u32 v1, v52, v1, s2
	v_cmp_o_f32_e32 vcc, v52, v52
	v_mov_b32_e32 v3, 0x7fc0
	v_add_u32_e32 v4, v0, v2
	v_mov_b32_e32 v5, 0
	v_cndmask_b32_sdwa v1, v3, v1, vcc dst_sel:DWORD dst_unused:UNUSED_PAD src0_sel:DWORD src1_sel:WORD_1
	v_lshl_add_u64 v[4:5], v[4:5], 1, s[16:17]
	global_store_short v[4:5], v1, off
.LBB234_20:
	s_or_b64 exec, exec, s[0:1]
	v_add_u32_e32 v1, 32, v2
	v_cmp_gt_u32_e32 vcc, s9, v1
	s_and_saveexec_b64 s[0:1], vcc
	s_cbranch_execz .LBB234_22
; %bb.21:
	v_bfe_u32 v3, v53, 16, 1
	s_movk_i32 s2, 0x7fff
	v_add3_u32 v3, v53, v3, s2
	v_cmp_o_f32_e32 vcc, v53, v53
	v_mov_b32_e32 v4, 0x7fc0
	v_mov_b32_e32 v5, 0
	v_cndmask_b32_sdwa v3, v4, v3, vcc dst_sel:DWORD dst_unused:UNUSED_PAD src0_sel:DWORD src1_sel:WORD_1
	v_add_u32_e32 v4, v0, v1
	v_lshl_add_u64 v[4:5], v[4:5], 1, s[16:17]
	global_store_short v[4:5], v3, off
.LBB234_22:
	s_or_b64 exec, exec, s[0:1]
	v_add_u32_e32 v1, 64, v2
	v_cmp_gt_u32_e32 vcc, s9, v1
	s_and_saveexec_b64 s[0:1], vcc
	s_cbranch_execz .LBB234_24
; %bb.23:
	v_bfe_u32 v3, v72, 16, 1
	s_movk_i32 s2, 0x7fff
	v_add3_u32 v3, v72, v3, s2
	v_cmp_o_f32_e32 vcc, v72, v72
	v_mov_b32_e32 v4, 0x7fc0
	v_mov_b32_e32 v5, 0
	v_cndmask_b32_sdwa v3, v4, v3, vcc dst_sel:DWORD dst_unused:UNUSED_PAD src0_sel:DWORD src1_sel:WORD_1
	v_add_u32_e32 v4, v0, v1
	v_lshl_add_u64 v[4:5], v[4:5], 1, s[16:17]
	global_store_short v[4:5], v3, off
.LBB234_24:
	s_or_b64 exec, exec, s[0:1]
	v_add_u32_e32 v1, 0x60, v2
	v_cmp_gt_u32_e32 vcc, s9, v1
	s_and_b64 exec, exec, vcc
	s_cbranch_execz .LBB234_26
; %bb.25:
	v_bfe_u32 v2, v73, 16, 1
	s_movk_i32 s0, 0x7fff
	v_add3_u32 v2, v73, v2, s0
	v_cmp_o_f32_e32 vcc, v73, v73
	v_mov_b32_e32 v3, 0x7fc0
	v_add_u32_e32 v0, v0, v1
	v_mov_b32_e32 v1, 0
	v_cndmask_b32_sdwa v2, v3, v2, vcc dst_sel:DWORD dst_unused:UNUSED_PAD src0_sel:DWORD src1_sel:WORD_1
	v_lshl_add_u64 v[0:1], v[0:1], 1, s[16:17]
	global_store_short v[0:1], v2, off
.LBB234_26:
	s_endpgm
	.section	.rodata,"a",@progbits
	.p2align	6, 0x0
	.amdhsa_kernel _ZL8moe_q5_KIN3c108BFloat16ELb1EEvPKvS3_PT_PKiS7_S7_iiiiiii
		.amdhsa_group_segment_fixed_size 37072
		.amdhsa_private_segment_fixed_size 0
		.amdhsa_kernarg_size 76
		.amdhsa_user_sgpr_count 2
		.amdhsa_user_sgpr_dispatch_ptr 0
		.amdhsa_user_sgpr_queue_ptr 0
		.amdhsa_user_sgpr_kernarg_segment_ptr 1
		.amdhsa_user_sgpr_dispatch_id 0
		.amdhsa_user_sgpr_kernarg_preload_length 0
		.amdhsa_user_sgpr_kernarg_preload_offset 0
		.amdhsa_user_sgpr_private_segment_size 0
		.amdhsa_uses_dynamic_stack 0
		.amdhsa_enable_private_segment 0
		.amdhsa_system_sgpr_workgroup_id_x 1
		.amdhsa_system_sgpr_workgroup_id_y 1
		.amdhsa_system_sgpr_workgroup_id_z 0
		.amdhsa_system_sgpr_workgroup_info 0
		.amdhsa_system_vgpr_workitem_id 1
		.amdhsa_next_free_vgpr 189
		.amdhsa_next_free_sgpr 96
		.amdhsa_accum_offset 192
		.amdhsa_reserve_vcc 1
		.amdhsa_float_round_mode_32 0
		.amdhsa_float_round_mode_16_64 0
		.amdhsa_float_denorm_mode_32 3
		.amdhsa_float_denorm_mode_16_64 3
		.amdhsa_dx10_clamp 1
		.amdhsa_ieee_mode 1
		.amdhsa_fp16_overflow 0
		.amdhsa_tg_split 0
		.amdhsa_exception_fp_ieee_invalid_op 0
		.amdhsa_exception_fp_denorm_src 0
		.amdhsa_exception_fp_ieee_div_zero 0
		.amdhsa_exception_fp_ieee_overflow 0
		.amdhsa_exception_fp_ieee_underflow 0
		.amdhsa_exception_fp_ieee_inexact 0
		.amdhsa_exception_int_div_zero 0
	.end_amdhsa_kernel
	.section	.text._ZL8moe_q5_KIN3c108BFloat16ELb1EEvPKvS3_PT_PKiS7_S7_iiiiiii,"axG",@progbits,_ZL8moe_q5_KIN3c108BFloat16ELb1EEvPKvS3_PT_PKiS7_S7_iiiiiii,comdat
.Lfunc_end234:
	.size	_ZL8moe_q5_KIN3c108BFloat16ELb1EEvPKvS3_PT_PKiS7_S7_iiiiiii, .Lfunc_end234-_ZL8moe_q5_KIN3c108BFloat16ELb1EEvPKvS3_PT_PKiS7_S7_iiiiiii
                                        ; -- End function
	.set _ZL8moe_q5_KIN3c108BFloat16ELb1EEvPKvS3_PT_PKiS7_S7_iiiiiii.num_vgpr, 189
	.set _ZL8moe_q5_KIN3c108BFloat16ELb1EEvPKvS3_PT_PKiS7_S7_iiiiiii.num_agpr, 0
	.set _ZL8moe_q5_KIN3c108BFloat16ELb1EEvPKvS3_PT_PKiS7_S7_iiiiiii.numbered_sgpr, 26
	.set _ZL8moe_q5_KIN3c108BFloat16ELb1EEvPKvS3_PT_PKiS7_S7_iiiiiii.num_named_barrier, 0
	.set _ZL8moe_q5_KIN3c108BFloat16ELb1EEvPKvS3_PT_PKiS7_S7_iiiiiii.private_seg_size, 0
	.set _ZL8moe_q5_KIN3c108BFloat16ELb1EEvPKvS3_PT_PKiS7_S7_iiiiiii.uses_vcc, 1
	.set _ZL8moe_q5_KIN3c108BFloat16ELb1EEvPKvS3_PT_PKiS7_S7_iiiiiii.uses_flat_scratch, 0
	.set _ZL8moe_q5_KIN3c108BFloat16ELb1EEvPKvS3_PT_PKiS7_S7_iiiiiii.has_dyn_sized_stack, 0
	.set _ZL8moe_q5_KIN3c108BFloat16ELb1EEvPKvS3_PT_PKiS7_S7_iiiiiii.has_recursion, 0
	.set _ZL8moe_q5_KIN3c108BFloat16ELb1EEvPKvS3_PT_PKiS7_S7_iiiiiii.has_indirect_call, 0
	.section	.AMDGPU.csdata,"",@progbits
; Kernel info:
; codeLenInByte = 10464
; TotalNumSgprs: 32
; NumVgprs: 189
; NumAgprs: 0
; TotalNumVgprs: 189
; ScratchSize: 0
; MemoryBound: 0
; FloatMode: 240
; IeeeMode: 1
; LDSByteSize: 37072 bytes/workgroup (compile time only)
; SGPRBlocks: 12
; VGPRBlocks: 23
; NumSGPRsForWavesPerEU: 102
; NumVGPRsForWavesPerEU: 189
; AccumOffset: 192
; Occupancy: 2
; WaveLimiterHint : 1
; COMPUTE_PGM_RSRC2:SCRATCH_EN: 0
; COMPUTE_PGM_RSRC2:USER_SGPR: 2
; COMPUTE_PGM_RSRC2:TRAP_HANDLER: 0
; COMPUTE_PGM_RSRC2:TGID_X_EN: 1
; COMPUTE_PGM_RSRC2:TGID_Y_EN: 1
; COMPUTE_PGM_RSRC2:TGID_Z_EN: 0
; COMPUTE_PGM_RSRC2:TIDIG_COMP_CNT: 1
; COMPUTE_PGM_RSRC3_GFX90A:ACCUM_OFFSET: 47
; COMPUTE_PGM_RSRC3_GFX90A:TG_SPLIT: 0
	.section	.text._ZL8moe_q6_KIN3c108BFloat16ELb0EEvPKvS3_PT_PKiS7_S7_iiiiiii,"axG",@progbits,_ZL8moe_q6_KIN3c108BFloat16ELb0EEvPKvS3_PT_PKiS7_S7_iiiiiii,comdat
	.globl	_ZL8moe_q6_KIN3c108BFloat16ELb0EEvPKvS3_PT_PKiS7_S7_iiiiiii ; -- Begin function _ZL8moe_q6_KIN3c108BFloat16ELb0EEvPKvS3_PT_PKiS7_S7_iiiiiii
	.p2align	8
	.type	_ZL8moe_q6_KIN3c108BFloat16ELb0EEvPKvS3_PT_PKiS7_S7_iiiiiii,@function
_ZL8moe_q6_KIN3c108BFloat16ELb0EEvPKvS3_PT_PKiS7_S7_iiiiiii: ; @_ZL8moe_q6_KIN3c108BFloat16ELb0EEvPKvS3_PT_PKiS7_S7_iiiiiii
; %bb.0:
	s_load_dwordx4 s[4:7], s[0:1], 0x18
	s_mov_b32 s8, s3
	s_mov_b32 s9, 0
	s_lshl_b64 s[10:11], s[8:9], 2
	s_waitcnt lgkmcnt(0)
	s_add_u32 s6, s6, s10
	s_addc_u32 s7, s7, s11
	s_load_dword s3, s[6:7], 0x0
	s_waitcnt lgkmcnt(0)
	s_cmpk_gt_u32 s3, 0xff
	s_cbranch_scc1 .LBB235_26
; %bb.1:
	s_load_dwordx2 s[6:7], s[0:1], 0x28
	s_waitcnt lgkmcnt(0)
	s_load_dword s7, s[6:7], 0x0
	s_lshl_b32 s6, s8, 3
	s_waitcnt lgkmcnt(0)
	s_cmp_gt_u32 s6, s7
	s_cbranch_scc1 .LBB235_26
; %bb.2:
	v_bfe_u32 v2, v0, 10, 10
	v_mov_b32_e32 v4, s4
	v_mov_b32_e32 v5, s5
	v_add_u32_e32 v74, s6, v2
	v_mov_b32_e32 v75, 0
	v_lshl_add_u64 v[4:5], v[74:75], 2, v[4:5]
	global_load_dword v1, v[4:5], off
	s_load_dwordx2 s[14:15], s[0:1], 0x30
	s_load_dwordx2 s[12:13], s[0:1], 0x10
	s_load_dwordx4 s[4:7], s[0:1], 0x3c
	s_lshl_b32 s22, s2, 7
	v_mov_b32_e32 v74, v75
	s_waitcnt lgkmcnt(0)
	s_cmpk_lt_i32 s15, 0x100
	v_mov_b32_e32 v23, v75
	v_mov_b32_e32 v22, v75
	s_cbranch_scc1 .LBB235_17
; %bb.3:
	s_load_dwordx4 s[8:11], s[0:1], 0x0
	s_ashr_i32 s0, s15, 31
	s_lshr_b32 s0, s0, 24
	s_add_i32 s0, s15, s0
	s_ashr_i32 s23, s0, 8
	s_ashr_i32 s0, s5, 31
	v_and_b32_e32 v4, 31, v0
	s_lshr_b32 s0, s0, 27
	v_add_u16_e32 v6, -16, v4
	v_cmp_gt_u32_e32 vcc, 16, v4
	s_add_i32 s0, s5, s0
	v_lshlrev_b32_e32 v5, 1, v4
	v_lshlrev_b32_e32 v22, 2, v4
	v_cndmask_b32_e32 v4, v6, v4, vcc
	s_ashr_i32 s5, s0, 5
	v_cmp_lt_u16_e64 s[0:1], 7, v4
	v_add_u32_e32 v4, 0xe0, v5
	v_cndmask_b32_e32 v4, v4, v5, vcc
	v_and_b32_e32 v4, 0xfe, v4
	v_sub_u32_e32 v4, v5, v4
	v_and_b32_e32 v5, 15, v0
	v_mul_u32_u24_e32 v6, 0x41, v2
	v_cndmask_b32_e64 v105, 0, 2, s[0:1]
	v_lshlrev_b32_e32 v4, 2, v4
	v_lshlrev_b32_e32 v5, 2, v5
	;; [unrolled: 1-line block ×3, first 2 shown]
	s_lshl_b32 s0, s23, 3
	v_add3_u32 v112, v4, v5, v6
	v_mov_b32_e32 v4, s0
	v_mad_i32_i24 v14, s23, v2, v4
	v_add_u32_e32 v15, s0, v14
	v_add_u32_e32 v16, s0, v15
	v_add_u32_e32 v17, s0, v16
	v_add_u32_e32 v18, s0, v17
	v_add_u32_e32 v19, s0, v18
	v_add_u32_e32 v20, s0, v19
	v_add_u32_e32 v21, s0, v20
	v_add_u32_e32 v25, s0, v21
	v_add_u32_e32 v70, s0, v25
	v_and_b32_e32 v24, 0x3ff, v0
	v_add_u32_e32 v74, s0, v70
	v_add_u32_e32 v75, s0, v74
	v_lshl_add_u32 v4, v2, 5, v24
	v_add_u32_e32 v84, s0, v75
	v_and_b32_e32 v5, 0x7f, v4
	v_lshrrev_b32_e32 v4, 3, v4
	v_add_u32_e32 v88, s0, v84
	v_mul_i32_i24_e32 v96, s23, v5
	v_and_b32_e32 v4, 12, v4
	v_lshlrev_b32_e32 v5, 2, v5
	s_mov_b32 s0, 0x8e40
	v_lshlrev_b32_e32 v6, 3, v2
	v_bfe_u32 v7, v0, 2, 8
	v_add3_u32 v114, v5, v4, s0
	v_add_u32_e32 v9, v7, v6
	v_lshlrev_b32_e32 v4, 2, v0
	v_add_u16_e32 v6, v7, v6
	v_and_b32_e32 v4, 12, v4
	v_and_b32_e32 v11, 0x7f, v9
	v_lshrrev_b16_e32 v6, 1, v6
	v_mul_i32_i24_e32 v98, s23, v11
	v_lshl_or_b32 v11, v11, 4, v4
	v_and_b32_e32 v6, 60, v6
	s_mov_b32 s1, 0x8200
	v_add3_u32 v115, v11, v6, s1
	v_mov_b32_e32 v11, 0x8a40
	v_bfe_u32 v121, v0, 3, 7
	v_bfe_u32 v3, v0, 5, 5
	v_mov_b32_e32 v6, 0x7f
	v_lshl_add_u32 v118, v2, 7, v11
	v_lshlrev_b32_e32 v11, 2, v121
	v_lshlrev_b32_e32 v12, 4, v24
	v_bitop3_b32 v6, v9, 64, v6 bitop3:0x6c
	v_lshlrev_b32_e32 v9, 2, v24
	v_add3_u32 v122, v12, v11, s1
	v_lshlrev_b32_e32 v11, 2, v3
	v_add3_u32 v124, v11, v9, s0
	v_add_u32_e32 v11, 32, v24
	v_lshrrev_b32_e32 v125, 3, v11
	v_lshlrev_b32_e32 v12, 2, v125
	v_lshlrev_b32_e32 v11, 4, v11
	v_add3_u32 v126, v12, v11, s1
	v_and_b32_e32 v11, 60, v125
	v_add3_u32 v127, v9, v11, s0
	v_add_u32_e32 v11, 64, v24
	v_lshrrev_b32_e32 v12, 3, v11
	v_lshlrev_b32_e32 v13, 2, v12
	v_lshlrev_b32_e32 v11, 4, v11
	s_abs_i32 s2, s7
	v_add3_u32 v128, v13, v11, s1
	v_and_b32_e32 v11, 60, v12
	v_cvt_f32_u32_e32 v26, s2
	v_add3_u32 v129, v9, v11, s0
	v_add_u32_e32 v11, 0x60, v24
	v_lshrrev_b32_e32 v12, 3, v11
	v_lshlrev_b32_e32 v13, 2, v12
	v_lshlrev_b32_e32 v11, 4, v11
	v_add3_u32 v130, v13, v11, s1
	v_and_b32_e32 v11, 60, v12
	v_rcp_iflag_f32_e32 v12, v26
	v_add3_u32 v131, v9, v11, s0
	s_sub_i32 s0, 0, s2
	v_mul_i32_i24_e32 v100, s23, v6
	v_mul_f32_e32 v11, 0x4f7ffffe, v12
	v_cvt_u32_f32_e32 v11, v11
	s_waitcnt vmcnt(0)
	v_sub_u32_e32 v12, 0, v1
	v_max_i32_e32 v12, v1, v12
	v_lshl_or_b32 v7, v6, 4, v4
	v_mul_lo_u32 v13, s0, v11
	v_mul_hi_u32 v13, v11, v13
	v_add_u32_e32 v11, v11, v13
	v_mul_hi_u32 v11, v12, v11
	v_lshrrev_b32_e32 v6, 1, v6
	v_mul_lo_u32 v13, v11, s2
	v_and_b32_e32 v6, 60, v6
	v_sub_u32_e32 v12, v12, v13
	v_add3_u32 v116, v7, v6, s1
	v_add_u32_e32 v13, 1, v11
	v_cmp_le_u32_e64 s[0:1], s2, v12
	s_mul_i32 s16, s3, s14
	s_mul_i32 s14, s23, s22
	v_cndmask_b32_e64 v11, v11, v13, s[0:1]
	v_subrev_u32_e32 v13, s2, v12
	v_cndmask_b32_e64 v12, v12, v13, s[0:1]
	v_mov_b32_e32 v23, 0
	v_add_u32_e32 v117, 0x9050, v9
	v_and_b32_e32 v6, 28, v9
	v_xor_b32_e32 v9, s7, v1
	v_add_u32_e32 v13, 1, v11
	v_cmp_le_u32_e64 s[0:1], s2, v12
	v_mov_b32_e32 v7, v23
	v_ashrrev_i32_e32 v9, 31, v9
	v_cndmask_b32_e64 v11, v11, v13, s[0:1]
	s_mul_hi_i32 s3, s14, 0xd2
	s_mul_i32 s2, s14, 0xd2
	v_and_b32_e32 v10, 7, v0
	v_xor_b32_e32 v11, v11, v9
	s_waitcnt lgkmcnt(0)
	v_lshl_add_u64 v[26:27], s[10:11], 0, v[6:7]
	s_movk_i32 s26, 0xd2
	v_mov_b64_e32 v[6:7], s[2:3]
	v_mul_i32_i24_e32 v8, s23, v2
	v_sub_u32_e32 v9, v11, v9
	v_mad_u64_u32 v[6:7], s[20:21], v3, s26, v[6:7]
	v_lshlrev_b32_e32 v3, 1, v24
	v_lshlrev_b32_e32 v10, 2, v10
	v_cmp_gt_i32_e64 s[0:1], s4, v9
	v_mul_lo_u32 v28, v9, s5
	v_mad_u64_u32 v[8:9], s[20:21], v8, s26, v[6:7]
	v_and_or_b32 v10, v3, 32, v10
	v_mov_b32_e32 v11, v23
	v_lshl_add_u64 v[12:13], v[8:9], 0, v[10:11]
	v_lshl_add_u64 v[8:9], v[8:9], 0, v[22:23]
	;; [unrolled: 1-line block ×3, first 2 shown]
	s_mov_b64 s[20:21], 0x80
	v_lshl_add_u64 v[32:33], s[8:9], 0, v[8:9]
	v_mad_u64_u32 v[8:9], s[24:25], v14, s26, v[6:7]
	v_lshl_add_u64 v[30:31], v[12:13], 0, s[20:21]
	v_lshl_add_u64 v[12:13], v[8:9], 0, v[10:11]
	v_lshl_add_u64 v[8:9], v[8:9], 0, v[22:23]
	v_lshl_add_u64 v[12:13], s[8:9], 0, v[12:13]
	v_lshl_add_u64 v[36:37], s[8:9], 0, v[8:9]
	v_mad_u64_u32 v[8:9], s[24:25], v15, s26, v[6:7]
	v_lshl_add_u64 v[34:35], v[12:13], 0, s[20:21]
	v_lshl_add_u64 v[12:13], v[8:9], 0, v[10:11]
	v_lshl_add_u64 v[8:9], v[8:9], 0, v[22:23]
	v_lshl_add_u64 v[12:13], s[8:9], 0, v[12:13]
	;; [unrolled: 6-line block ×13, first 2 shown]
	v_mad_u64_u32 v[8:9], s[24:25], v88, s26, v[6:7]
	s_mul_i32 s24, s23, 0x78
	v_cmp_gt_u32_e32 vcc, 4, v24
	v_mov_b32_e32 v3, s24
	s_ashr_i32 s17, s16, 31
	v_lshlrev_b32_e32 v120, 4, v2
	s_and_b64 s[18:19], vcc, s[0:1]
	v_mad_i32_i24 v2, s23, v2, v3
	v_mad_u64_u32 v[2:3], s[24:25], v2, s26, v[6:7]
	s_add_u32 s2, s8, s2
	v_lshl_add_u64 v[6:7], v[2:3], 0, v[10:11]
	v_lshl_add_u64 v[2:3], v[2:3], 0, v[22:23]
	s_addc_u32 s3, s9, s3
	v_lshl_add_u64 v[94:95], s[8:9], 0, v[2:3]
	v_mov_b64_e32 v[2:3], s[2:3]
	v_mad_u64_u32 v[2:3], s[2:3], v96, s26, v[2:3]
	v_lshl_add_u64 v[6:7], s[8:9], 0, v[6:7]
	s_mov_b64 s[2:3], 0xd0
	v_lshl_add_u64 v[92:93], v[6:7], 0, s[20:21]
	v_lshl_add_u64 v[96:97], v[2:3], 0, s[2:3]
	v_mad_u64_u32 v[2:3], s[2:3], v98, s26, 0
	v_mov_b32_e32 v6, 0xd2
	v_mov_b32_e32 v5, v23
	v_lshl_add_u64 v[12:13], s[8:9], 0, v[12:13]
	v_mad_i64_i32 v[2:3], s[2:3], s14, v6, v[2:3]
	v_lshl_add_u64 v[84:85], v[12:13], 0, s[20:21]
	v_lshl_add_u64 v[12:13], v[8:9], 0, v[10:11]
	;; [unrolled: 1-line block ×5, first 2 shown]
	s_mov_b64 s[2:3], 0xc0
	v_lshl_add_u64 v[88:89], v[12:13], 0, s[20:21]
	v_lshl_add_u64 v[98:99], v[2:3], 0, s[2:3]
	v_mad_u64_u32 v[2:3], s[20:21], v100, s26, 0
	v_mad_i64_i32 v[2:3], s[20:21], s14, v6, v[2:3]
	v_lshl_add_u64 v[2:3], v[2:3], 0, v[4:5]
	v_add_u32_e32 v113, 0x30c0, v112
	v_lshl_add_u64 v[8:9], v[8:9], 0, v[22:23]
	v_lshl_add_u64 v[2:3], s[8:9], 0, v[2:3]
	v_add_u32_e32 v119, v118, v22
	v_mul_u32_u24_e32 v123, 0x104, v24
	v_ashrrev_i32_e32 v29, 31, v28
	v_lshl_add_u64 v[90:91], s[8:9], 0, v[8:9]
	v_lshl_add_u64 v[100:101], v[2:3], 0, s[2:3]
	s_movk_i32 s14, 0x80
	s_mov_b32 s24, 0x30303030
	s_movk_i32 s25, 0xe000
	s_movk_i32 s26, 0x3f00
	s_mov_b64 s[8:9], 0xd2
	v_add_u32_e32 v132, 0x2000, v112
	v_add_u32_e32 v133, 0x2800, v112
	;; [unrolled: 1-line block ×5, first 2 shown]
	v_mov_b32_e32 v22, v23
	v_mov_b32_e32 v74, v23
	;; [unrolled: 1-line block ×3, first 2 shown]
	s_branch .LBB235_6
.LBB235_4:                              ;   in Loop: Header=BB235_6 Depth=1
	s_or_b64 exec, exec, s[20:21]
	s_waitcnt lgkmcnt(0)
	s_barrier
	ds_read_b128 v[2:5], v118
	ds_read_b128 v[6:9], v118 offset:16
	ds_read_b128 v[10:13], v118 offset:32
	;; [unrolled: 1-line block ×3, first 2 shown]
	ds_read2_b32 v[18:19], v123 offset0:44 offset1:45
	ds_read2_b32 v[20:21], v123 offset0:38 offset1:39
	;; [unrolled: 1-line block ×7, first 2 shown]
	v_mov_b32_e32 v146, 0
	v_mov_b32_e32 v147, 0
	;; [unrolled: 1-line block ×3, first 2 shown]
	s_waitcnt lgkmcnt(4)
	v_dot4c_i32_i8_e32 v146, v102, v6
	s_waitcnt lgkmcnt(2)
	v_dot4c_i32_i8_e32 v147, v108, v2
	v_dot4c_i32_i8_e32 v25, v18, v14
	ds_read2_b32 v[140:141], v123 offset0:40 offset1:41
	v_dot4c_i32_i8_e32 v146, v103, v7
	v_dot4c_i32_i8_e32 v147, v109, v3
	v_dot4c_i32_i8_e32 v25, v19, v15
	v_dot4c_i32_i8_e32 v146, v20, v8
	v_dot4c_i32_i8_e32 v147, v106, v4
	v_add_u32_e32 v18, 0x2118, v123
	v_add_u32_e32 v20, 0x2110, v123
	;; [unrolled: 1-line block ×5, first 2 shown]
	s_waitcnt lgkmcnt(2)
	v_dot4c_i32_i8_e32 v25, v110, v16
	v_dot4c_i32_i8_e32 v146, v21, v9
	v_dot4c_i32_i8_e32 v147, v107, v5
	ds_read2_b32 v[18:19], v18 offset1:1
	ds_read2_b32 v[20:21], v20 offset1:1
	;; [unrolled: 1-line block ×5, first 2 shown]
	v_add_u32_e32 v104, 0x2130, v123
	v_dot4c_i32_i8_e32 v25, v111, v17
	ds_read2_b32 v[110:111], v104 offset1:1
	v_mov_b32_e32 v137, 0
	s_waitcnt lgkmcnt(6)
	v_dot4c_i32_i8_e32 v137, v140, v10
	v_dot4c_i32_i8_e32 v137, v141, v11
	;; [unrolled: 1-line block ×3, first 2 shown]
	v_mov_b32_e32 v148, 0
	v_add_u32_e32 v104, 0x2128, v123
	v_add_u32_e32 v140, 0x2120, v123
	;; [unrolled: 1-line block ×3, first 2 shown]
	v_mov_b32_e32 v150, 0
	v_mov_b32_e32 v151, 0
	v_dot4c_i32_i8_e32 v137, v139, v13
	ds_read2_b32 v[138:139], v104 offset1:1
	ds_read2_b32 v[140:141], v140 offset1:1
	;; [unrolled: 1-line block ×3, first 2 shown]
	s_waitcnt lgkmcnt(3)
	v_dot4c_i32_i8_e32 v148, v110, v14
	v_dot4c_i32_i8_e32 v150, v20, v6
	;; [unrolled: 1-line block ×9, first 2 shown]
	v_add_u32_e32 v18, 0x4190, v123
	v_add_u32_e32 v20, 0x4188, v123
	;; [unrolled: 1-line block ×4, first 2 shown]
	v_dot4c_i32_i8_e32 v148, v109, v17
	v_mov_b32_e32 v149, 0
	ds_read_b32 v104, v131 offset:384
	v_dot4c_i32_i8_e32 v150, v19, v9
	v_dot4c_i32_i8_e32 v151, v103, v5
	ds_read_b32 v103, v129 offset:256
	ds_read2_b32 v[18:19], v18 offset1:1
	ds_read2_b32 v[20:21], v20 offset1:1
	;; [unrolled: 1-line block ×4, first 2 shown]
	v_add_u32_e32 v102, 0x41b0, v123
	s_waitcnt lgkmcnt(7)
	v_dot4c_i32_i8_e32 v149, v140, v10
	ds_read2_b32 v[110:111], v102 offset1:1
	v_dot4c_i32_i8_e32 v149, v141, v11
	v_dot4c_i32_i8_e32 v149, v138, v12
	v_add_u32_e32 v102, 0x41a8, v123
	v_add_u32_e32 v140, 0x41a0, v123
	v_add_u32_e32 v144, 0x6218, v123
	v_dot4c_i32_i8_e32 v149, v139, v13
	ds_read2_b32 v[138:139], v102 offset1:1
	ds_read2_b32 v[140:141], v140 offset1:1
	;; [unrolled: 1-line block ×3, first 2 shown]
	v_mov_b32_e32 v152, 0
	v_mov_b32_e32 v155, 0
	s_waitcnt lgkmcnt(3)
	v_dot4c_i32_i8_e32 v152, v110, v14
	v_dot4c_i32_i8_e32 v155, v106, v2
	v_dot4c_i32_i8_e32 v152, v111, v15
	v_mov_b32_e32 v153, 0
	v_mov_b32_e32 v154, 0
	v_dot4c_i32_i8_e32 v155, v107, v3
	v_dot4c_i32_i8_e32 v152, v108, v16
	s_waitcnt lgkmcnt(1)
	v_dot4c_i32_i8_e32 v153, v140, v10
	v_dot4c_i32_i8_e32 v154, v18, v6
	;; [unrolled: 1-line block ×3, first 2 shown]
	v_add_u32_e32 v18, 0x6210, v123
	v_add_u32_e32 v20, 0x6208, v123
	;; [unrolled: 1-line block ×4, first 2 shown]
	v_dot4c_i32_i8_e32 v152, v109, v17
	v_dot4c_i32_i8_e32 v153, v141, v11
	;; [unrolled: 1-line block ×4, first 2 shown]
	ds_read2_b32 v[18:19], v18 offset1:1
	ds_read2_b32 v[20:21], v20 offset1:1
	;; [unrolled: 1-line block ×4, first 2 shown]
	v_add_u32_e32 v102, 0x6230, v123
	v_dot4c_i32_i8_e32 v153, v138, v12
	v_dot4c_i32_i8_e32 v154, v142, v8
	ds_read2_b32 v[110:111], v102 offset1:1
	v_add_u32_e32 v102, 0x6228, v123
	v_add_u32_e32 v140, 0x6220, v123
	;; [unrolled: 1-line block ×3, first 2 shown]
	v_dot4c_i32_i8_e32 v153, v139, v13
	v_dot4c_i32_i8_e32 v154, v143, v9
	ds_read2_b32 v[138:139], v102 offset1:1
	ds_read2_b32 v[140:141], v140 offset1:1
	;; [unrolled: 1-line block ×3, first 2 shown]
	v_mov_b32_e32 v162, 0
	v_mov_b32_e32 v163, 0
	;; [unrolled: 1-line block ×4, first 2 shown]
	s_waitcnt lgkmcnt(3)
	v_dot4c_i32_i8_e32 v162, v110, v14
	s_waitcnt lgkmcnt(1)
	v_dot4c_i32_i8_e32 v163, v140, v10
	v_dot4c_i32_i8_e32 v164, v18, v6
	;; [unrolled: 1-line block ×15, first 2 shown]
	ds_read_b128 v[10:13], v118 offset:80
	ds_read_b128 v[6:9], v118 offset:64
	;; [unrolled: 1-line block ×4, first 2 shown]
	ds_read2_b32 v[2:3], v123 offset0:62 offset1:63
	ds_read2_b32 v[4:5], v123 offset0:60 offset1:61
	;; [unrolled: 1-line block ×6, first 2 shown]
	v_mov_b32_e32 v166, 0
	s_waitcnt lgkmcnt(4)
	v_dot4c_i32_i8_e32 v166, v4, v18
	v_dot4c_i32_i8_e32 v166, v5, v19
	v_dot4c_i32_i8_e32 v166, v2, v20
	ds_read2_b32 v[140:141], v123 offset0:58 offset1:59
	v_dot4c_i32_i8_e32 v166, v3, v21
	ds_read_b128 v[2:5], v120 offset:36944
	ds_read2_b32 v[144:145], v122 offset0:2 offset1:3
	v_mov_b32_e32 v167, 0
	s_waitcnt lgkmcnt(5)
	v_dot4c_i32_i8_e32 v167, v108, v10
	v_dot4c_i32_i8_e32 v167, v109, v11
	;; [unrolled: 1-line block ×3, first 2 shown]
	s_waitcnt lgkmcnt(0)
	v_ashrrev_i32_e32 v102, 24, v144
	v_bfe_i32 v106, v144, 8, 8
	v_dot4c_i32_i8_e32 v167, v107, v13
	v_mov_b32_e32 v168, 0
	v_bfe_i32 v108, v144, 16, 8
	v_bfe_i32 v107, v144, 0, 8
	v_mul_lo_u32 v102, v25, v102
	v_mul_lo_u32 v106, v146, v106
	v_dot4c_i32_i8_e32 v168, v138, v6
	v_mad_u64_u32 v[106:107], s[2:3], v147, v107, v[106:107]
	v_mad_u64_u32 v[108:109], s[2:3], v137, v108, v[102:103]
	v_dot4c_i32_i8_e32 v168, v139, v7
	v_cvt_f32_i32_e32 v139, v108
	v_cvt_f32_i32_e32 v138, v106
	ds_read_b32 v25, v124
	ds_read_b32 v102, v127 offset:128
	ds_read2_b32 v[106:107], v128 offset0:2 offset1:3
	ds_read2_b32 v[108:109], v126 offset0:2 offset1:3
	v_dot4c_i32_i8_e32 v168, v110, v8
	v_dot4c_i32_i8_e32 v168, v111, v9
	v_pk_mul_f32 v[110:111], v[2:3], v[138:139]
	s_waitcnt lgkmcnt(1)
	v_bfe_i32 v144, v106, 0, 8
	v_add_f32_e32 v137, 0, v110
	v_bfe_i32 v110, v106, 8, 8
	s_waitcnt lgkmcnt(0)
	v_bfe_i32 v138, v108, 8, 8
	v_mul_lo_u32 v110, v154, v110
	v_mul_lo_u32 v138, v150, v138
	v_bfe_i32 v139, v108, 0, 8
	v_mad_u64_u32 v[146:147], s[2:3], v155, v144, v[110:111]
	v_bfe_i32 v110, v106, 16, 8
	v_bfe_i32 v144, v108, 16, 8
	v_ashrrev_i32_e32 v108, 24, v108
	v_ashrrev_i32_e32 v106, 24, v106
	v_mad_u64_u32 v[138:139], s[2:3], v151, v139, v[138:139]
	v_mul_lo_u32 v106, v152, v106
	v_mul_lo_u32 v108, v148, v108
	v_cvt_f32_i32_e32 v139, v146
	v_cvt_f32_i32_e32 v138, v138
	v_mad_u64_u32 v[146:147], s[2:3], v149, v144, v[108:109]
	v_mad_u64_u32 v[148:149], s[2:3], v153, v110, v[106:107]
	v_cvt_f32_i32_e32 v147, v148
	v_cvt_f32_i32_e32 v146, v146
	v_add_f32_e32 v106, v137, v111
	v_pk_fma_f32 v[110:111], v[2:3], v[138:139], 0 op_sel_hi:[0,1,0]
	v_add_u32_e32 v108, 0x6250, v123
	v_add_u32_e32 v152, 0x6278, v123
	v_pk_fma_f32 v[110:111], v[2:3], v[146:147], v[110:111] op_sel:[1,0,0]
	ds_read2_b32 v[138:139], v130 offset0:2 offset1:3
	v_add_u32_e32 v137, 0x6248, v123
	v_add_u32_e32 v144, 0x6240, v123
	ds_read2_b32 v[146:147], v108 offset1:1
	ds_read2_b32 v[148:149], v137 offset1:1
	;; [unrolled: 1-line block ×4, first 2 shown]
	v_add_u32_e32 v108, 0x6270, v123
	ds_read2_b32 v[154:155], v108 offset1:1
	v_add_u32_e32 v108, 0x6268, v123
	v_add_u32_e32 v160, 0x2158, v123
	;; [unrolled: 1-line block ×3, first 2 shown]
	ds_read2_b32 v[156:157], v108 offset1:1
	ds_read2_b32 v[158:159], v144 offset1:1
	;; [unrolled: 1-line block ×3, first 2 shown]
	v_mov_b32_e32 v108, 0
	s_waitcnt lgkmcnt(7)
	v_dot4c_i32_i8_e32 v108, v146, v10
	v_mov_b32_e32 v146, 0
	v_dot4c_i32_i8_e32 v108, v147, v11
	s_waitcnt lgkmcnt(5)
	v_dot4c_i32_i8_e32 v146, v150, v6
	v_dot4c_i32_i8_e32 v108, v142, v12
	;; [unrolled: 1-line block ×4, first 2 shown]
	v_bfe_i32 v142, v138, 8, 8
	v_bfe_i32 v143, v139, 8, 8
	v_dot4c_i32_i8_e32 v146, v148, v8
	v_mul_lo_u32 v108, v108, v143
	v_mul_lo_u32 v142, v164, v142
	v_dot4c_i32_i8_e32 v146, v149, v9
	v_bfe_i32 v147, v139, 0, 8
	v_bfe_i32 v143, v138, 0, 8
	v_mov_b32_e32 v137, 0
	v_mad_u64_u32 v[142:143], s[2:3], v165, v143, v[142:143]
	v_mad_u64_u32 v[146:147], s[2:3], v146, v147, v[108:109]
	s_waitcnt lgkmcnt(3)
	v_dot4c_i32_i8_e32 v137, v154, v18
	v_mov_b32_e32 v144, 0
	v_cvt_f32_i32_e32 v143, v146
	v_cvt_f32_i32_e32 v142, v142
	v_dot4c_i32_i8_e32 v137, v155, v19
	s_waitcnt lgkmcnt(1)
	v_dot4c_i32_i8_e32 v144, v158, v14
	ds_read2_b32 v[148:149], v123 offset0:56 offset1:57
	v_dot4c_i32_i8_e32 v137, v152, v20
	v_dot4c_i32_i8_e32 v144, v159, v15
	;; [unrolled: 1-line block ×4, first 2 shown]
	v_mov_b32_e32 v146, v2
	v_mov_b32_e32 v147, v4
	v_ashrrev_i32_e32 v108, 24, v138
	v_ashrrev_i32_e32 v2, 24, v139
	v_dot4c_i32_i8_e32 v144, v157, v17
	v_pk_fma_f32 v[142:143], v[146:147], v[142:143], 0 op_sel_hi:[1,1,0]
	v_bfe_i32 v146, v139, 16, 8
	v_bfe_i32 v147, v138, 16, 8
	v_mul_lo_u32 v2, v137, v2
	v_mul_lo_u32 v108, v162, v108
	v_mad_u64_u32 v[138:139], s[2:3], v163, v147, v[108:109]
	v_mad_u64_u32 v[146:147], s[2:3], v144, v146, v[2:3]
	v_mov_b32_e32 v2, v3
	v_mov_b32_e32 v3, 0
	s_waitcnt lgkmcnt(0)
	v_dot4c_i32_i8_e32 v3, v148, v14
	v_dot4c_i32_i8_e32 v3, v149, v15
	;; [unrolled: 1-line block ×3, first 2 shown]
	v_ashrrev_i32_e32 v108, 24, v145
	v_bfe_i32 v140, v145, 8, 8
	v_dot4c_i32_i8_e32 v3, v141, v17
	v_bfe_i32 v137, v145, 16, 8
	v_bfe_i32 v141, v145, 0, 8
	v_mul_lo_u32 v108, v166, v108
	v_mul_lo_u32 v140, v167, v140
	v_mad_u64_u32 v[140:141], s[2:3], v168, v141, v[140:141]
	v_mad_u64_u32 v[144:145], s[2:3], v3, v137, v[108:109]
	v_cvt_f32_i32_e32 v139, v146
	v_cvt_f32_i32_e32 v138, v138
	;; [unrolled: 1-line block ×4, first 2 shown]
	v_mov_b32_e32 v3, v5
	v_pk_fma_f32 v[2:3], v[2:3], v[138:139], v[142:143]
	v_add_u32_e32 v108, 0x2150, v123
	v_pk_mul_f32 v[138:139], v[4:5], v[140:141]
	v_pk_mul_f32 v[2:3], v[104:105], v[2:3] op_sel_hi:[0,1]
	v_add_f32_e32 v104, 0, v138
	v_add_u32_e32 v142, 0x2140, v123
	v_add_u32_e32 v144, 0x2178, v123
	v_add_f32_e32 v104, v104, v139
	v_add_u32_e32 v137, 0x2148, v123
	ds_read2_b32 v[138:139], v108 offset1:1
	ds_read2_b32 v[140:141], v137 offset1:1
	ds_read2_b32 v[142:143], v142 offset1:1
	ds_read2_b32 v[144:145], v144 offset1:1
	v_add_u32_e32 v108, 0x2170, v123
	ds_read2_b32 v[146:147], v108 offset1:1
	v_add_u32_e32 v137, 0x2168, v123
	v_add_u32_e32 v150, 0x2160, v123
	;; [unrolled: 1-line block ×3, first 2 shown]
	ds_read2_b32 v[148:149], v137 offset1:1
	ds_read2_b32 v[150:151], v150 offset1:1
	;; [unrolled: 1-line block ×3, first 2 shown]
	v_mov_b32_e32 v108, 0
	v_mov_b32_e32 v155, 0
	s_waitcnt lgkmcnt(3)
	v_dot4c_i32_i8_e32 v108, v146, v18
	v_mov_b32_e32 v137, 0
	v_dot4c_i32_i8_e32 v155, v142, v6
	v_dot4c_i32_i8_e32 v108, v147, v19
	s_waitcnt lgkmcnt(1)
	v_dot4c_i32_i8_e32 v137, v150, v14
	v_mov_b32_e32 v154, 0
	v_dot4c_i32_i8_e32 v155, v143, v7
	v_dot4c_i32_i8_e32 v108, v144, v20
	v_dot4c_i32_i8_e32 v137, v151, v15
	v_dot4c_i32_i8_e32 v154, v138, v10
	v_dot4c_i32_i8_e32 v155, v140, v8
	v_add_u32_e32 v138, 0x41d0, v123
	v_add_u32_e32 v140, 0x41c8, v123
	;; [unrolled: 1-line block ×5, first 2 shown]
	v_dot4c_i32_i8_e32 v108, v145, v21
	v_dot4c_i32_i8_e32 v137, v148, v16
	;; [unrolled: 1-line block ×4, first 2 shown]
	ds_read2_b32 v[138:139], v138 offset1:1
	ds_read2_b32 v[140:141], v140 offset1:1
	;; [unrolled: 1-line block ×5, first 2 shown]
	v_add_u32_e32 v148, 0x41e8, v123
	v_add_u32_e32 v150, 0x41e0, v123
	v_dot4c_i32_i8_e32 v137, v149, v17
	ds_read2_b32 v[148:149], v148 offset1:1
	ds_read2_b32 v[150:151], v150 offset1:1
	v_mov_b32_e32 v156, 0
	s_waitcnt lgkmcnt(2)
	v_dot4c_i32_i8_e32 v156, v146, v18
	v_mov_b32_e32 v18, 0
	v_dot4c_i32_i8_e32 v154, v160, v12
	s_waitcnt lgkmcnt(0)
	v_dot4c_i32_i8_e32 v18, v150, v14
	v_mov_b32_e32 v14, 0
	v_dot4c_i32_i8_e32 v14, v138, v10
	v_mov_b32_e32 v10, 0
	v_dot4c_i32_i8_e32 v14, v139, v11
	v_dot4c_i32_i8_e32 v10, v142, v6
	;; [unrolled: 1-line block ×7, first 2 shown]
	v_bfe_i32 v7, v109, 8, 8
	v_bfe_i32 v6, v107, 8, 8
	v_dot4c_i32_i8_e32 v156, v147, v19
	v_dot4c_i32_i8_e32 v10, v141, v9
	v_mul_lo_u32 v6, v14, v6
	v_mul_lo_u32 v8, v154, v7
	v_bfe_i32 v7, v107, 0, 8
	v_bfe_i32 v9, v109, 0, 8
	v_dot4c_i32_i8_e32 v156, v144, v20
	v_dot4c_i32_i8_e32 v18, v151, v15
	v_mad_u64_u32 v[8:9], s[2:3], v155, v9, v[8:9]
	v_mad_u64_u32 v[6:7], s[2:3], v10, v7, v[6:7]
	v_dot4c_i32_i8_e32 v156, v145, v21
	v_dot4c_i32_i8_e32 v18, v148, v16
	v_cvt_f32_i32_e32 v7, v6
	v_cvt_f32_i32_e32 v6, v8
	v_ashrrev_i32_e32 v10, 24, v109
	v_ashrrev_i32_e32 v8, 24, v107
	v_dot4c_i32_i8_e32 v18, v149, v17
	v_bfe_i32 v9, v107, 16, 8
	v_bfe_i32 v11, v109, 16, 8
	v_mul_lo_u32 v8, v156, v8
	v_mul_lo_u32 v10, v108, v10
	v_mad_u64_u32 v[10:11], s[2:3], v137, v11, v[10:11]
	v_mad_u64_u32 v[8:9], s[2:3], v18, v9, v[8:9]
	v_cvt_f32_i32_e32 v9, v8
	v_cvt_f32_i32_e32 v8, v10
	v_pk_fma_f32 v[6:7], v[4:5], v[6:7], 0 op_sel_hi:[0,1,0]
	v_mov_b32_e32 v4, v5
	v_pk_mul_f32 v[110:111], v[102:103], v[110:111]
	v_pk_fma_f32 v[4:5], v[4:5], v[8:9], v[6:7] op_sel_hi:[0,1,1]
	v_mul_f32_e32 v106, v25, v106
	v_pk_mul_f32 v[4:5], v[102:103], v[4:5]
	v_mov_b32_e32 v107, v110
	v_pk_mov_b32 v[8:9], v[110:111], v[2:3] op_sel:[1,0]
	v_mul_f32_e32 v10, v25, v104
	v_pk_add_f32 v[6:7], v[22:23], v[106:107]
	v_pk_add_f32 v[8:9], v[74:75], v[8:9]
	v_mov_b32_e32 v2, v5
	v_mov_b32_e32 v11, v4
	v_pk_add_f32 v[74:75], v[8:9], v[2:3]
	v_pk_add_f32 v[22:23], v[6:7], v[10:11]
	s_barrier
.LBB235_5:                              ;   in Loop: Header=BB235_6 Depth=1
	s_add_i32 s23, s23, -1
	s_addk_i32 s14, 0x100
	v_add_u32_e32 v125, 8, v125
	v_add_u32_e32 v121, 8, v121
	;; [unrolled: 1-line block ×3, first 2 shown]
	v_lshl_add_u64 v[30:31], v[30:31], 0, s[8:9]
	v_lshl_add_u64 v[32:33], v[32:33], 0, s[8:9]
	;; [unrolled: 1-line block ×34, first 2 shown]
	s_cmp_eq_u32 s23, 0
	v_lshl_add_u64 v[100:101], v[100:101], 0, s[8:9]
	s_cbranch_scc1 .LBB235_17
.LBB235_6:                              ; =>This Inner Loop Header: Depth=1
	v_lshl_add_u64 v[2:3], v[32:33], 0, s[16:17]
	global_load_dword v2, v[2:3], off
	s_add_i32 s2, s14, 0xffffff80
	s_cmp_lt_i32 s2, s15
	s_waitcnt vmcnt(0)
	v_and_b32_e32 v4, 0xf0f0f0f, v2
	v_lshrrev_b32_e32 v2, 4, v2
	v_and_b32_e32 v5, 0xf0f0f0f, v2
	v_lshl_add_u64 v[2:3], v[30:31], 0, s[16:17]
	global_load_dword v2, v[2:3], off
	s_waitcnt vmcnt(0)
	v_ashrrev_i32_e32 v2, v105, v2
	v_lshlrev_b32_e32 v3, 4, v2
	v_and_or_b32 v3, v3, s24, v4
	v_lshlrev_b16_e32 v6, 8, v3
	v_add_u16_e32 v6, 0xe000, v6
	v_lshrrev_b32_e32 v4, 16, v3
	v_lshrrev_b16_e32 v6, 8, v6
	v_bitop3_b16 v3, v3, v6, s26 bitop3:0xec
	v_lshlrev_b16_e32 v6, 8, v4
	v_add_u16_e32 v6, 0xe000, v6
	v_lshrrev_b16_e32 v6, 8, v6
	v_and_or_b32 v2, v2, s24, v5
	v_bitop3_b16 v4, v4, v6, s26 bitop3:0xec
	v_lshlrev_b16_e32 v5, 8, v2
	v_add_u16_e32 v3, 0xe000, v3
	v_add_u16_sdwa v4, v4, s25 dst_sel:WORD_1 dst_unused:UNUSED_PAD src0_sel:DWORD src1_sel:DWORD
	v_add_u16_e32 v5, 0xe000, v5
	v_or_b32_e32 v3, v3, v4
	v_lshrrev_b32_e32 v4, 16, v2
	v_lshrrev_b16_e32 v5, 8, v5
	v_bitop3_b16 v2, v2, v5, s26 bitop3:0xec
	v_lshlrev_b16_e32 v5, 8, v4
	v_add_u16_e32 v5, 0xe000, v5
	v_lshrrev_b16_e32 v5, 8, v5
	v_bitop3_b16 v4, v4, v5, s26 bitop3:0xec
	v_add_u16_e32 v2, 0xe000, v2
	v_add_u16_sdwa v4, v4, s25 dst_sel:WORD_1 dst_unused:UNUSED_PAD src0_sel:DWORD src1_sel:DWORD
	s_nop 0
	v_or_b32_e32 v2, v2, v4
	ds_write2_b32 v112, v3, v2 offset1:16
	v_lshl_add_u64 v[2:3], v[36:37], 0, s[16:17]
	global_load_dword v2, v[2:3], off
	s_waitcnt vmcnt(0)
	v_and_b32_e32 v4, 0xf0f0f0f, v2
	v_lshrrev_b32_e32 v2, 4, v2
	v_and_b32_e32 v5, 0xf0f0f0f, v2
	v_lshl_add_u64 v[2:3], v[34:35], 0, s[16:17]
	global_load_dword v2, v[2:3], off
	s_waitcnt vmcnt(0)
	v_ashrrev_i32_e32 v2, v105, v2
	v_lshlrev_b32_e32 v3, 4, v2
	v_and_or_b32 v3, v3, s24, v4
	v_lshlrev_b16_e32 v6, 8, v3
	v_add_u16_e32 v6, 0xe000, v6
	v_lshrrev_b32_e32 v4, 16, v3
	v_lshrrev_b16_e32 v6, 8, v6
	v_bitop3_b16 v3, v3, v6, s26 bitop3:0xec
	v_lshlrev_b16_e32 v6, 8, v4
	v_add_u16_e32 v6, 0xe000, v6
	v_lshrrev_b16_e32 v6, 8, v6
	v_and_or_b32 v2, v2, s24, v5
	v_bitop3_b16 v4, v4, v6, s26 bitop3:0xec
	v_lshlrev_b16_e32 v5, 8, v2
	v_add_u16_e32 v3, 0xe000, v3
	v_add_u16_sdwa v4, v4, s25 dst_sel:WORD_1 dst_unused:UNUSED_PAD src0_sel:DWORD src1_sel:DWORD
	v_add_u16_e32 v5, 0xe000, v5
	v_or_b32_e32 v3, v3, v4
	v_lshrrev_b32_e32 v4, 16, v2
	v_lshrrev_b16_e32 v5, 8, v5
	v_bitop3_b16 v2, v2, v5, s26 bitop3:0xec
	v_lshlrev_b16_e32 v5, 8, v4
	v_add_u16_e32 v5, 0xe000, v5
	v_lshrrev_b16_e32 v5, 8, v5
	v_bitop3_b16 v4, v4, v5, s26 bitop3:0xec
	v_add_u16_e32 v2, 0xe000, v2
	v_add_u16_sdwa v4, v4, s25 dst_sel:WORD_1 dst_unused:UNUSED_PAD src0_sel:DWORD src1_sel:DWORD
	s_nop 0
	v_or_b32_e32 v2, v2, v4
	v_add_u32_e32 v4, 0x800, v112
	ds_write2_b32 v4, v3, v2 offset0:8 offset1:24
	v_lshl_add_u64 v[2:3], v[40:41], 0, s[16:17]
	global_load_dword v2, v[2:3], off
	s_waitcnt vmcnt(0)
	v_and_b32_e32 v4, 0xf0f0f0f, v2
	v_lshrrev_b32_e32 v2, 4, v2
	v_and_b32_e32 v5, 0xf0f0f0f, v2
	v_lshl_add_u64 v[2:3], v[38:39], 0, s[16:17]
	global_load_dword v2, v[2:3], off
	s_waitcnt vmcnt(0)
	v_ashrrev_i32_e32 v2, v105, v2
	v_lshlrev_b32_e32 v3, 4, v2
	v_and_or_b32 v3, v3, s24, v4
	v_lshlrev_b16_e32 v6, 8, v3
	v_add_u16_e32 v6, 0xe000, v6
	v_lshrrev_b32_e32 v4, 16, v3
	v_lshrrev_b16_e32 v6, 8, v6
	v_bitop3_b16 v3, v3, v6, s26 bitop3:0xec
	v_lshlrev_b16_e32 v6, 8, v4
	v_add_u16_e32 v6, 0xe000, v6
	v_lshrrev_b16_e32 v6, 8, v6
	v_and_or_b32 v2, v2, s24, v5
	v_bitop3_b16 v4, v4, v6, s26 bitop3:0xec
	v_lshlrev_b16_e32 v5, 8, v2
	v_add_u16_e32 v3, 0xe000, v3
	v_add_u16_sdwa v4, v4, s25 dst_sel:WORD_1 dst_unused:UNUSED_PAD src0_sel:DWORD src1_sel:DWORD
	v_add_u16_e32 v5, 0xe000, v5
	v_or_b32_e32 v3, v3, v4
	v_lshrrev_b32_e32 v4, 16, v2
	v_lshrrev_b16_e32 v5, 8, v5
	v_bitop3_b16 v2, v2, v5, s26 bitop3:0xec
	v_lshlrev_b16_e32 v5, 8, v4
	v_add_u16_e32 v5, 0xe000, v5
	v_lshrrev_b16_e32 v5, 8, v5
	v_bitop3_b16 v4, v4, v5, s26 bitop3:0xec
	v_add_u16_e32 v2, 0xe000, v2
	v_add_u16_sdwa v4, v4, s25 dst_sel:WORD_1 dst_unused:UNUSED_PAD src0_sel:DWORD src1_sel:DWORD
	s_nop 0
	v_or_b32_e32 v2, v2, v4
	v_add_u32_e32 v4, 0x1000, v112
	ds_write2_b32 v4, v3, v2 offset0:16 offset1:32
	;; [unrolled: 40-line block ×3, first 2 shown]
	v_lshl_add_u64 v[2:3], v[48:49], 0, s[16:17]
	global_load_dword v2, v[2:3], off
	s_waitcnt vmcnt(0)
	v_and_b32_e32 v4, 0xf0f0f0f, v2
	v_lshrrev_b32_e32 v2, 4, v2
	v_and_b32_e32 v5, 0xf0f0f0f, v2
	v_lshl_add_u64 v[2:3], v[46:47], 0, s[16:17]
	global_load_dword v2, v[2:3], off
	s_waitcnt vmcnt(0)
	v_ashrrev_i32_e32 v2, v105, v2
	v_lshlrev_b32_e32 v3, 4, v2
	v_and_or_b32 v3, v3, s24, v4
	v_lshlrev_b16_e32 v6, 8, v3
	v_add_u16_e32 v6, 0xe000, v6
	v_lshrrev_b32_e32 v4, 16, v3
	v_lshrrev_b16_e32 v6, 8, v6
	v_bitop3_b16 v3, v3, v6, s26 bitop3:0xec
	v_lshlrev_b16_e32 v6, 8, v4
	v_add_u16_e32 v6, 0xe000, v6
	v_lshrrev_b16_e32 v6, 8, v6
	v_and_or_b32 v2, v2, s24, v5
	v_bitop3_b16 v4, v4, v6, s26 bitop3:0xec
	v_lshlrev_b16_e32 v5, 8, v2
	v_add_u16_e32 v3, 0xe000, v3
	v_add_u16_sdwa v4, v4, s25 dst_sel:WORD_1 dst_unused:UNUSED_PAD src0_sel:DWORD src1_sel:DWORD
	v_add_u16_e32 v5, 0xe000, v5
	v_or_b32_e32 v3, v3, v4
	v_lshrrev_b32_e32 v4, 16, v2
	v_lshrrev_b16_e32 v5, 8, v5
	v_bitop3_b16 v2, v2, v5, s26 bitop3:0xec
	v_lshlrev_b16_e32 v5, 8, v4
	v_add_u16_e32 v5, 0xe000, v5
	v_lshrrev_b16_e32 v5, 8, v5
	v_bitop3_b16 v4, v4, v5, s26 bitop3:0xec
	v_add_u16_e32 v2, 0xe000, v2
	v_add_u16_sdwa v4, v4, s25 dst_sel:WORD_1 dst_unused:UNUSED_PAD src0_sel:DWORD src1_sel:DWORD
	s_nop 0
	v_or_b32_e32 v2, v2, v4
	ds_write2_b32 v132, v3, v2 offset0:32 offset1:48
	v_lshl_add_u64 v[2:3], v[52:53], 0, s[16:17]
	global_load_dword v2, v[2:3], off
	s_waitcnt vmcnt(0)
	v_and_b32_e32 v4, 0xf0f0f0f, v2
	v_lshrrev_b32_e32 v2, 4, v2
	v_and_b32_e32 v5, 0xf0f0f0f, v2
	v_lshl_add_u64 v[2:3], v[50:51], 0, s[16:17]
	global_load_dword v2, v[2:3], off
	s_waitcnt vmcnt(0)
	v_ashrrev_i32_e32 v2, v105, v2
	v_lshlrev_b32_e32 v3, 4, v2
	v_and_or_b32 v3, v3, s24, v4
	v_lshlrev_b16_e32 v6, 8, v3
	v_add_u16_e32 v6, 0xe000, v6
	v_lshrrev_b32_e32 v4, 16, v3
	v_lshrrev_b16_e32 v6, 8, v6
	v_bitop3_b16 v3, v3, v6, s26 bitop3:0xec
	v_lshlrev_b16_e32 v6, 8, v4
	v_add_u16_e32 v6, 0xe000, v6
	v_lshrrev_b16_e32 v6, 8, v6
	v_and_or_b32 v2, v2, s24, v5
	v_bitop3_b16 v4, v4, v6, s26 bitop3:0xec
	v_lshlrev_b16_e32 v5, 8, v2
	v_add_u16_e32 v3, 0xe000, v3
	v_add_u16_sdwa v4, v4, s25 dst_sel:WORD_1 dst_unused:UNUSED_PAD src0_sel:DWORD src1_sel:DWORD
	v_add_u16_e32 v5, 0xe000, v5
	v_or_b32_e32 v3, v3, v4
	v_lshrrev_b32_e32 v4, 16, v2
	v_lshrrev_b16_e32 v5, 8, v5
	v_bitop3_b16 v2, v2, v5, s26 bitop3:0xec
	v_lshlrev_b16_e32 v5, 8, v4
	v_add_u16_e32 v5, 0xe000, v5
	v_lshrrev_b16_e32 v5, 8, v5
	v_bitop3_b16 v4, v4, v5, s26 bitop3:0xec
	v_add_u16_e32 v2, 0xe000, v2
	v_add_u16_sdwa v4, v4, s25 dst_sel:WORD_1 dst_unused:UNUSED_PAD src0_sel:DWORD src1_sel:DWORD
	s_nop 0
	v_or_b32_e32 v2, v2, v4
	ds_write2_b32 v133, v3, v2 offset0:40 offset1:56
	v_lshl_add_u64 v[2:3], v[56:57], 0, s[16:17]
	global_load_dword v2, v[2:3], off
	s_waitcnt vmcnt(0)
	v_and_b32_e32 v4, 0xf0f0f0f, v2
	v_lshrrev_b32_e32 v2, 4, v2
	v_and_b32_e32 v5, 0xf0f0f0f, v2
	v_lshl_add_u64 v[2:3], v[54:55], 0, s[16:17]
	global_load_dword v2, v[2:3], off
	s_waitcnt vmcnt(0)
	v_ashrrev_i32_e32 v2, v105, v2
	v_lshlrev_b32_e32 v3, 4, v2
	v_and_or_b32 v3, v3, s24, v4
	v_lshlrev_b16_e32 v6, 8, v3
	v_add_u16_e32 v6, 0xe000, v6
	v_lshrrev_b32_e32 v4, 16, v3
	v_lshrrev_b16_e32 v6, 8, v6
	v_bitop3_b16 v3, v3, v6, s26 bitop3:0xec
	v_lshlrev_b16_e32 v6, 8, v4
	v_add_u16_e32 v6, 0xe000, v6
	v_lshrrev_b16_e32 v6, 8, v6
	v_and_or_b32 v2, v2, s24, v5
	v_bitop3_b16 v4, v4, v6, s26 bitop3:0xec
	v_lshlrev_b16_e32 v5, 8, v2
	v_add_u16_e32 v3, 0xe000, v3
	v_add_u16_sdwa v4, v4, s25 dst_sel:WORD_1 dst_unused:UNUSED_PAD src0_sel:DWORD src1_sel:DWORD
	v_add_u16_e32 v5, 0xe000, v5
	v_or_b32_e32 v3, v3, v4
	v_lshrrev_b32_e32 v4, 16, v2
	v_lshrrev_b16_e32 v5, 8, v5
	v_bitop3_b16 v2, v2, v5, s26 bitop3:0xec
	v_lshlrev_b16_e32 v5, 8, v4
	v_add_u16_e32 v5, 0xe000, v5
	v_lshrrev_b16_e32 v5, 8, v5
	v_bitop3_b16 v4, v4, v5, s26 bitop3:0xec
	v_add_u16_e32 v2, 0xe000, v2
	v_add_u16_sdwa v4, v4, s25 dst_sel:WORD_1 dst_unused:UNUSED_PAD src0_sel:DWORD src1_sel:DWORD
	s_nop 0
	v_or_b32_e32 v2, v2, v4
	ds_write2_b32 v113, v3, v2 offset1:16
	v_lshl_add_u64 v[2:3], v[60:61], 0, s[16:17]
	global_load_dword v2, v[2:3], off
	s_waitcnt vmcnt(0)
	v_and_b32_e32 v4, 0xf0f0f0f, v2
	v_lshrrev_b32_e32 v2, 4, v2
	v_and_b32_e32 v5, 0xf0f0f0f, v2
	v_lshl_add_u64 v[2:3], v[58:59], 0, s[16:17]
	global_load_dword v2, v[2:3], off
	s_waitcnt vmcnt(0)
	v_ashrrev_i32_e32 v2, v105, v2
	v_lshlrev_b32_e32 v3, 4, v2
	v_and_or_b32 v3, v3, s24, v4
	v_lshlrev_b16_e32 v6, 8, v3
	v_add_u16_e32 v6, 0xe000, v6
	v_lshrrev_b32_e32 v4, 16, v3
	v_lshrrev_b16_e32 v6, 8, v6
	v_bitop3_b16 v3, v3, v6, s26 bitop3:0xec
	v_lshlrev_b16_e32 v6, 8, v4
	v_add_u16_e32 v6, 0xe000, v6
	v_lshrrev_b16_e32 v6, 8, v6
	v_and_or_b32 v2, v2, s24, v5
	v_bitop3_b16 v4, v4, v6, s26 bitop3:0xec
	v_lshlrev_b16_e32 v5, 8, v2
	v_add_u16_e32 v3, 0xe000, v3
	v_add_u16_sdwa v4, v4, s25 dst_sel:WORD_1 dst_unused:UNUSED_PAD src0_sel:DWORD src1_sel:DWORD
	v_add_u16_e32 v5, 0xe000, v5
	v_or_b32_e32 v3, v3, v4
	v_lshrrev_b32_e32 v4, 16, v2
	v_lshrrev_b16_e32 v5, 8, v5
	v_bitop3_b16 v2, v2, v5, s26 bitop3:0xec
	v_lshlrev_b16_e32 v5, 8, v4
	v_add_u16_e32 v5, 0xe000, v5
	v_lshrrev_b16_e32 v5, 8, v5
	v_bitop3_b16 v4, v4, v5, s26 bitop3:0xec
	v_add_u16_e32 v2, 0xe000, v2
	v_add_u16_sdwa v4, v4, s25 dst_sel:WORD_1 dst_unused:UNUSED_PAD src0_sel:DWORD src1_sel:DWORD
	s_nop 0
	v_or_b32_e32 v2, v2, v4
	ds_write2_b32 v134, v3, v2 offset0:8 offset1:24
	v_lshl_add_u64 v[2:3], v[64:65], 0, s[16:17]
	global_load_dword v2, v[2:3], off
	s_waitcnt vmcnt(0)
	v_and_b32_e32 v4, 0xf0f0f0f, v2
	v_lshrrev_b32_e32 v2, 4, v2
	v_and_b32_e32 v5, 0xf0f0f0f, v2
	v_lshl_add_u64 v[2:3], v[62:63], 0, s[16:17]
	global_load_dword v2, v[2:3], off
	s_waitcnt vmcnt(0)
	v_ashrrev_i32_e32 v2, v105, v2
	v_lshlrev_b32_e32 v3, 4, v2
	v_and_or_b32 v3, v3, s24, v4
	v_lshlrev_b16_e32 v6, 8, v3
	v_add_u16_e32 v6, 0xe000, v6
	v_lshrrev_b32_e32 v4, 16, v3
	v_lshrrev_b16_e32 v6, 8, v6
	v_bitop3_b16 v3, v3, v6, s26 bitop3:0xec
	v_lshlrev_b16_e32 v6, 8, v4
	v_add_u16_e32 v6, 0xe000, v6
	v_lshrrev_b16_e32 v6, 8, v6
	v_and_or_b32 v2, v2, s24, v5
	v_bitop3_b16 v4, v4, v6, s26 bitop3:0xec
	v_lshlrev_b16_e32 v5, 8, v2
	v_add_u16_e32 v3, 0xe000, v3
	v_add_u16_sdwa v4, v4, s25 dst_sel:WORD_1 dst_unused:UNUSED_PAD src0_sel:DWORD src1_sel:DWORD
	v_add_u16_e32 v5, 0xe000, v5
	v_or_b32_e32 v3, v3, v4
	v_lshrrev_b32_e32 v4, 16, v2
	v_lshrrev_b16_e32 v5, 8, v5
	v_bitop3_b16 v2, v2, v5, s26 bitop3:0xec
	v_lshlrev_b16_e32 v5, 8, v4
	v_add_u16_e32 v5, 0xe000, v5
	v_lshrrev_b16_e32 v5, 8, v5
	v_bitop3_b16 v4, v4, v5, s26 bitop3:0xec
	v_add_u16_e32 v2, 0xe000, v2
	v_add_u16_sdwa v4, v4, s25 dst_sel:WORD_1 dst_unused:UNUSED_PAD src0_sel:DWORD src1_sel:DWORD
	s_nop 0
	v_or_b32_e32 v2, v2, v4
	ds_write2_b32 v135, v3, v2 offset0:16 offset1:32
	;; [unrolled: 39-line block ×3, first 2 shown]
	v_lshl_add_u64 v[2:3], v[72:73], 0, s[16:17]
	global_load_dword v2, v[2:3], off
	s_waitcnt vmcnt(0)
	v_and_b32_e32 v4, 0xf0f0f0f, v2
	v_lshrrev_b32_e32 v2, 4, v2
	v_and_b32_e32 v5, 0xf0f0f0f, v2
	v_lshl_add_u64 v[2:3], v[70:71], 0, s[16:17]
	global_load_dword v2, v[2:3], off
	s_waitcnt vmcnt(0)
	v_ashrrev_i32_e32 v2, v105, v2
	v_lshlrev_b32_e32 v3, 4, v2
	v_and_or_b32 v3, v3, s24, v4
	v_lshlrev_b16_e32 v6, 8, v3
	v_add_u16_e32 v6, 0xe000, v6
	v_lshrrev_b32_e32 v4, 16, v3
	v_lshrrev_b16_e32 v6, 8, v6
	v_bitop3_b16 v3, v3, v6, s26 bitop3:0xec
	v_lshlrev_b16_e32 v6, 8, v4
	v_add_u16_e32 v6, 0xe000, v6
	v_lshrrev_b16_e32 v6, 8, v6
	v_and_or_b32 v2, v2, s24, v5
	v_bitop3_b16 v4, v4, v6, s26 bitop3:0xec
	v_lshlrev_b16_e32 v5, 8, v2
	v_add_u16_e32 v3, 0xe000, v3
	v_add_u16_sdwa v4, v4, s25 dst_sel:WORD_1 dst_unused:UNUSED_PAD src0_sel:DWORD src1_sel:DWORD
	v_add_u16_e32 v5, 0xe000, v5
	v_or_b32_e32 v3, v3, v4
	v_lshrrev_b32_e32 v4, 16, v2
	v_lshrrev_b16_e32 v5, 8, v5
	v_bitop3_b16 v2, v2, v5, s26 bitop3:0xec
	v_lshlrev_b16_e32 v5, 8, v4
	v_add_u16_e32 v5, 0xe000, v5
	v_lshrrev_b16_e32 v5, 8, v5
	v_bitop3_b16 v4, v4, v5, s26 bitop3:0xec
	v_add_u16_e32 v2, 0xe000, v2
	v_add_u16_sdwa v4, v4, s25 dst_sel:WORD_1 dst_unused:UNUSED_PAD src0_sel:DWORD src1_sel:DWORD
	s_nop 0
	v_or_b32_e32 v2, v2, v4
	v_add_u32_e32 v4, 0x5140, v112
	ds_write2_b32 v4, v3, v2 offset1:16
	v_lshl_add_u64 v[2:3], v[78:79], 0, s[16:17]
	global_load_dword v2, v[2:3], off
	s_waitcnt vmcnt(0)
	v_and_b32_e32 v4, 0xf0f0f0f, v2
	v_lshrrev_b32_e32 v2, 4, v2
	v_and_b32_e32 v5, 0xf0f0f0f, v2
	v_lshl_add_u64 v[2:3], v[76:77], 0, s[16:17]
	global_load_dword v2, v[2:3], off
	s_waitcnt vmcnt(0)
	v_ashrrev_i32_e32 v2, v105, v2
	v_lshlrev_b32_e32 v3, 4, v2
	v_and_or_b32 v3, v3, s24, v4
	v_lshlrev_b16_e32 v6, 8, v3
	v_add_u16_e32 v6, 0xe000, v6
	v_lshrrev_b32_e32 v4, 16, v3
	v_lshrrev_b16_e32 v6, 8, v6
	v_bitop3_b16 v3, v3, v6, s26 bitop3:0xec
	v_lshlrev_b16_e32 v6, 8, v4
	v_add_u16_e32 v6, 0xe000, v6
	v_lshrrev_b16_e32 v6, 8, v6
	v_and_or_b32 v2, v2, s24, v5
	v_bitop3_b16 v4, v4, v6, s26 bitop3:0xec
	v_lshlrev_b16_e32 v5, 8, v2
	v_add_u16_e32 v3, 0xe000, v3
	v_add_u16_sdwa v4, v4, s25 dst_sel:WORD_1 dst_unused:UNUSED_PAD src0_sel:DWORD src1_sel:DWORD
	v_add_u16_e32 v5, 0xe000, v5
	v_or_b32_e32 v3, v3, v4
	v_lshrrev_b32_e32 v4, 16, v2
	v_lshrrev_b16_e32 v5, 8, v5
	v_bitop3_b16 v2, v2, v5, s26 bitop3:0xec
	v_lshlrev_b16_e32 v5, 8, v4
	v_add_u16_e32 v5, 0xe000, v5
	v_lshrrev_b16_e32 v5, 8, v5
	v_bitop3_b16 v4, v4, v5, s26 bitop3:0xec
	v_add_u16_e32 v2, 0xe000, v2
	v_add_u16_sdwa v4, v4, s25 dst_sel:WORD_1 dst_unused:UNUSED_PAD src0_sel:DWORD src1_sel:DWORD
	s_nop 0
	v_or_b32_e32 v2, v2, v4
	v_add_u32_e32 v4, 0x5960, v112
	ds_write2_b32 v4, v3, v2 offset1:16
	;; [unrolled: 40-line block ×6, first 2 shown]
	v_lshl_add_u64 v[2:3], v[96:97], 0, s[16:17]
	global_load_ushort v2, v[2:3], off
	s_waitcnt vmcnt(0)
	v_cvt_f32_f16_e32 v2, v2
	ds_write_b32 v114, v2
	v_lshl_add_u64 v[2:3], v[98:99], 0, s[16:17]
	global_load_dword v2, v[2:3], off
	s_waitcnt vmcnt(0)
	ds_write_b32 v115, v2
	v_lshl_add_u64 v[2:3], v[100:101], 0, s[16:17]
	global_load_dword v2, v[2:3], off
	s_waitcnt vmcnt(0)
	ds_write_b32 v116, v2
	s_cbranch_scc0 .LBB235_5
; %bb.7:                                ;   in Loop: Header=BB235_6 Depth=1
	v_cmp_gt_i32_e64 s[2:3], s5, v121
	s_and_b64 s[20:21], s[0:1], s[2:3]
	s_and_saveexec_b64 s[2:3], s[20:21]
	s_cbranch_execz .LBB235_9
; %bb.8:                                ;   in Loop: Header=BB235_6 Depth=1
	v_add_u32_e32 v2, v28, v121
	v_mad_i64_i32 v[2:3], s[20:21], v2, 36, v[26:27]
	global_load_dword v2, v[2:3], off offset:4
	s_waitcnt vmcnt(0)
	ds_write_b32 v119, v2
.LBB235_9:                              ;   in Loop: Header=BB235_6 Depth=1
	s_or_b64 exec, exec, s[2:3]
	v_cmp_gt_i32_e64 s[2:3], s5, v24
	s_and_b64 s[20:21], s[18:19], s[2:3]
	s_and_saveexec_b64 s[2:3], s[20:21]
	s_cbranch_execz .LBB235_11
; %bb.10:                               ;   in Loop: Header=BB235_6 Depth=1
	v_add_u32_e32 v2, v28, v24
	v_mad_i64_i32 v[2:3], s[20:21], v2, 36, s[10:11]
	global_load_dword v2, v[2:3], off
	v_add_u32_e32 v3, v117, v120
	s_waitcnt vmcnt(0)
	v_cvt_f32_f16_e32 v2, v2
	ds_write_b32 v3, v2
.LBB235_11:                             ;   in Loop: Header=BB235_6 Depth=1
	s_or_b64 exec, exec, s[2:3]
	s_waitcnt lgkmcnt(0)
	s_barrier
	ds_read_b128 v[2:5], v118
	ds_read_b128 v[6:9], v118 offset:16
	ds_read_b128 v[10:13], v118 offset:32
	;; [unrolled: 1-line block ×3, first 2 shown]
	ds_read2_b32 v[18:19], v123 offset0:12 offset1:13
	ds_read2_b32 v[20:21], v123 offset0:6 offset1:7
	;; [unrolled: 1-line block ×4, first 2 shown]
	ds_read2_b32 v[108:109], v123 offset1:1
	ds_read2_b32 v[110:111], v123 offset0:14 offset1:15
	ds_read2_b32 v[138:139], v123 offset0:10 offset1:11
	v_mov_b32_e32 v146, 0
	v_mov_b32_e32 v147, 0
	;; [unrolled: 1-line block ×3, first 2 shown]
	s_waitcnt lgkmcnt(4)
	v_dot4c_i32_i8_e32 v146, v102, v6
	s_waitcnt lgkmcnt(2)
	v_dot4c_i32_i8_e32 v147, v108, v2
	v_dot4c_i32_i8_e32 v25, v18, v14
	ds_read2_b32 v[140:141], v123 offset0:8 offset1:9
	v_dot4c_i32_i8_e32 v146, v103, v7
	v_dot4c_i32_i8_e32 v147, v109, v3
	;; [unrolled: 1-line block ×5, first 2 shown]
	v_add_u32_e32 v18, 0x2098, v123
	v_add_u32_e32 v20, 0x2090, v123
	;; [unrolled: 1-line block ×5, first 2 shown]
	s_waitcnt lgkmcnt(2)
	v_dot4c_i32_i8_e32 v25, v110, v16
	v_dot4c_i32_i8_e32 v146, v21, v9
	;; [unrolled: 1-line block ×3, first 2 shown]
	ds_read2_b32 v[18:19], v18 offset1:1
	ds_read2_b32 v[20:21], v20 offset1:1
	;; [unrolled: 1-line block ×5, first 2 shown]
	v_add_u32_e32 v104, 0x20b0, v123
	v_dot4c_i32_i8_e32 v25, v111, v17
	ds_read2_b32 v[110:111], v104 offset1:1
	v_mov_b32_e32 v137, 0
	s_waitcnt lgkmcnt(6)
	v_dot4c_i32_i8_e32 v137, v140, v10
	v_dot4c_i32_i8_e32 v137, v141, v11
	;; [unrolled: 1-line block ×3, first 2 shown]
	v_mov_b32_e32 v148, 0
	v_add_u32_e32 v104, 0x20a8, v123
	v_add_u32_e32 v140, 0x20a0, v123
	;; [unrolled: 1-line block ×3, first 2 shown]
	v_mov_b32_e32 v150, 0
	v_mov_b32_e32 v151, 0
	v_dot4c_i32_i8_e32 v137, v139, v13
	ds_read2_b32 v[138:139], v104 offset1:1
	ds_read2_b32 v[140:141], v140 offset1:1
	;; [unrolled: 1-line block ×3, first 2 shown]
	s_waitcnt lgkmcnt(3)
	v_dot4c_i32_i8_e32 v148, v110, v14
	v_dot4c_i32_i8_e32 v150, v20, v6
	;; [unrolled: 1-line block ×9, first 2 shown]
	v_add_u32_e32 v18, 0x4110, v123
	v_add_u32_e32 v20, 0x4108, v123
	;; [unrolled: 1-line block ×4, first 2 shown]
	v_dot4c_i32_i8_e32 v148, v109, v17
	v_mov_b32_e32 v149, 0
	ds_read_b32 v104, v131 offset:384
	v_dot4c_i32_i8_e32 v150, v19, v9
	v_dot4c_i32_i8_e32 v151, v103, v5
	ds_read_b32 v103, v129 offset:256
	ds_read2_b32 v[18:19], v18 offset1:1
	ds_read2_b32 v[20:21], v20 offset1:1
	;; [unrolled: 1-line block ×4, first 2 shown]
	v_add_u32_e32 v102, 0x4130, v123
	s_waitcnt lgkmcnt(7)
	v_dot4c_i32_i8_e32 v149, v140, v10
	ds_read2_b32 v[110:111], v102 offset1:1
	v_dot4c_i32_i8_e32 v149, v141, v11
	v_dot4c_i32_i8_e32 v149, v138, v12
	v_add_u32_e32 v102, 0x4128, v123
	v_add_u32_e32 v140, 0x4120, v123
	;; [unrolled: 1-line block ×3, first 2 shown]
	v_dot4c_i32_i8_e32 v149, v139, v13
	ds_read2_b32 v[138:139], v102 offset1:1
	ds_read2_b32 v[140:141], v140 offset1:1
	ds_read2_b32 v[144:145], v144 offset1:1
	v_mov_b32_e32 v152, 0
	v_mov_b32_e32 v155, 0
	s_waitcnt lgkmcnt(3)
	v_dot4c_i32_i8_e32 v152, v110, v14
	v_dot4c_i32_i8_e32 v155, v106, v2
	;; [unrolled: 1-line block ×3, first 2 shown]
	v_mov_b32_e32 v153, 0
	v_mov_b32_e32 v154, 0
	v_dot4c_i32_i8_e32 v155, v107, v3
	v_dot4c_i32_i8_e32 v152, v108, v16
	s_waitcnt lgkmcnt(1)
	v_dot4c_i32_i8_e32 v153, v140, v10
	v_dot4c_i32_i8_e32 v154, v18, v6
	;; [unrolled: 1-line block ×3, first 2 shown]
	v_add_u32_e32 v18, 0x6190, v123
	v_add_u32_e32 v20, 0x6188, v123
	;; [unrolled: 1-line block ×4, first 2 shown]
	v_dot4c_i32_i8_e32 v152, v109, v17
	v_dot4c_i32_i8_e32 v153, v141, v11
	;; [unrolled: 1-line block ×4, first 2 shown]
	ds_read2_b32 v[18:19], v18 offset1:1
	ds_read2_b32 v[20:21], v20 offset1:1
	;; [unrolled: 1-line block ×4, first 2 shown]
	v_add_u32_e32 v102, 0x61b0, v123
	v_dot4c_i32_i8_e32 v153, v138, v12
	v_dot4c_i32_i8_e32 v154, v142, v8
	ds_read2_b32 v[110:111], v102 offset1:1
	v_add_u32_e32 v102, 0x61a8, v123
	v_add_u32_e32 v140, 0x61a0, v123
	;; [unrolled: 1-line block ×3, first 2 shown]
	v_dot4c_i32_i8_e32 v153, v139, v13
	v_dot4c_i32_i8_e32 v154, v143, v9
	ds_read2_b32 v[138:139], v102 offset1:1
	ds_read2_b32 v[140:141], v140 offset1:1
	;; [unrolled: 1-line block ×3, first 2 shown]
	v_mov_b32_e32 v162, 0
	v_mov_b32_e32 v163, 0
	;; [unrolled: 1-line block ×4, first 2 shown]
	s_waitcnt lgkmcnt(3)
	v_dot4c_i32_i8_e32 v162, v110, v14
	s_waitcnt lgkmcnt(1)
	v_dot4c_i32_i8_e32 v163, v140, v10
	v_dot4c_i32_i8_e32 v164, v18, v6
	;; [unrolled: 1-line block ×15, first 2 shown]
	ds_read_b128 v[10:13], v118 offset:80
	ds_read_b128 v[6:9], v118 offset:64
	;; [unrolled: 1-line block ×4, first 2 shown]
	ds_read2_b32 v[2:3], v123 offset0:30 offset1:31
	ds_read2_b32 v[4:5], v123 offset0:28 offset1:29
	;; [unrolled: 1-line block ×6, first 2 shown]
	v_mov_b32_e32 v166, 0
	s_waitcnt lgkmcnt(4)
	v_dot4c_i32_i8_e32 v166, v4, v18
	v_dot4c_i32_i8_e32 v166, v5, v19
	;; [unrolled: 1-line block ×3, first 2 shown]
	ds_read2_b32 v[140:141], v123 offset0:26 offset1:27
	v_dot4c_i32_i8_e32 v166, v3, v21
	ds_read_b128 v[2:5], v120 offset:36944
	ds_read2_b32 v[144:145], v122 offset1:1
	v_mov_b32_e32 v167, 0
	s_waitcnt lgkmcnt(5)
	v_dot4c_i32_i8_e32 v167, v108, v10
	v_dot4c_i32_i8_e32 v167, v109, v11
	;; [unrolled: 1-line block ×3, first 2 shown]
	s_waitcnt lgkmcnt(0)
	v_ashrrev_i32_e32 v102, 24, v144
	v_bfe_i32 v106, v144, 8, 8
	v_dot4c_i32_i8_e32 v167, v107, v13
	v_mov_b32_e32 v168, 0
	v_bfe_i32 v108, v144, 16, 8
	v_bfe_i32 v107, v144, 0, 8
	v_mul_lo_u32 v102, v25, v102
	v_mul_lo_u32 v106, v146, v106
	v_dot4c_i32_i8_e32 v168, v138, v6
	v_mad_u64_u32 v[106:107], s[2:3], v147, v107, v[106:107]
	v_mad_u64_u32 v[108:109], s[2:3], v137, v108, v[102:103]
	v_dot4c_i32_i8_e32 v168, v139, v7
	v_cvt_f32_i32_e32 v139, v108
	v_cvt_f32_i32_e32 v138, v106
	ds_read_b32 v25, v124
	ds_read_b32 v102, v127 offset:128
	ds_read2_b32 v[106:107], v128 offset1:1
	ds_read2_b32 v[108:109], v126 offset1:1
	v_dot4c_i32_i8_e32 v168, v110, v8
	v_dot4c_i32_i8_e32 v168, v111, v9
	v_pk_mul_f32 v[110:111], v[2:3], v[138:139]
	s_waitcnt lgkmcnt(1)
	v_bfe_i32 v144, v106, 0, 8
	v_add_f32_e32 v137, 0, v110
	v_bfe_i32 v110, v106, 8, 8
	s_waitcnt lgkmcnt(0)
	v_bfe_i32 v138, v108, 8, 8
	v_mul_lo_u32 v110, v154, v110
	v_mul_lo_u32 v138, v150, v138
	v_bfe_i32 v139, v108, 0, 8
	v_mad_u64_u32 v[146:147], s[2:3], v155, v144, v[110:111]
	v_bfe_i32 v110, v106, 16, 8
	v_bfe_i32 v144, v108, 16, 8
	v_ashrrev_i32_e32 v108, 24, v108
	v_ashrrev_i32_e32 v106, 24, v106
	v_mad_u64_u32 v[138:139], s[2:3], v151, v139, v[138:139]
	v_mul_lo_u32 v106, v152, v106
	v_mul_lo_u32 v108, v148, v108
	v_cvt_f32_i32_e32 v139, v146
	v_cvt_f32_i32_e32 v138, v138
	v_mad_u64_u32 v[146:147], s[2:3], v149, v144, v[108:109]
	v_mad_u64_u32 v[148:149], s[2:3], v153, v110, v[106:107]
	v_cvt_f32_i32_e32 v147, v148
	v_cvt_f32_i32_e32 v146, v146
	v_add_f32_e32 v106, v137, v111
	v_pk_fma_f32 v[110:111], v[2:3], v[138:139], 0 op_sel_hi:[0,1,0]
	v_add_u32_e32 v108, 0x61d0, v123
	v_add_u32_e32 v152, 0x61f8, v123
	v_pk_fma_f32 v[110:111], v[2:3], v[146:147], v[110:111] op_sel:[1,0,0]
	ds_read2_b32 v[138:139], v130 offset1:1
	v_add_u32_e32 v137, 0x61c8, v123
	v_add_u32_e32 v144, 0x61c0, v123
	ds_read2_b32 v[146:147], v108 offset1:1
	ds_read2_b32 v[148:149], v137 offset1:1
	;; [unrolled: 1-line block ×4, first 2 shown]
	v_add_u32_e32 v108, 0x61f0, v123
	ds_read2_b32 v[154:155], v108 offset1:1
	v_add_u32_e32 v108, 0x61e8, v123
	v_add_u32_e32 v160, 0x20d8, v123
	;; [unrolled: 1-line block ×3, first 2 shown]
	ds_read2_b32 v[156:157], v108 offset1:1
	ds_read2_b32 v[158:159], v144 offset1:1
	;; [unrolled: 1-line block ×3, first 2 shown]
	v_mov_b32_e32 v108, 0
	s_waitcnt lgkmcnt(7)
	v_dot4c_i32_i8_e32 v108, v146, v10
	v_mov_b32_e32 v146, 0
	v_dot4c_i32_i8_e32 v108, v147, v11
	s_waitcnt lgkmcnt(5)
	v_dot4c_i32_i8_e32 v146, v150, v6
	v_dot4c_i32_i8_e32 v108, v142, v12
	;; [unrolled: 1-line block ×4, first 2 shown]
	v_bfe_i32 v142, v138, 8, 8
	v_bfe_i32 v143, v139, 8, 8
	v_dot4c_i32_i8_e32 v146, v148, v8
	v_mul_lo_u32 v108, v108, v143
	v_mul_lo_u32 v142, v164, v142
	v_dot4c_i32_i8_e32 v146, v149, v9
	v_bfe_i32 v147, v139, 0, 8
	v_bfe_i32 v143, v138, 0, 8
	v_mov_b32_e32 v137, 0
	v_mad_u64_u32 v[142:143], s[2:3], v165, v143, v[142:143]
	v_mad_u64_u32 v[146:147], s[2:3], v146, v147, v[108:109]
	s_waitcnt lgkmcnt(3)
	v_dot4c_i32_i8_e32 v137, v154, v18
	v_mov_b32_e32 v144, 0
	v_cvt_f32_i32_e32 v143, v146
	v_cvt_f32_i32_e32 v142, v142
	v_dot4c_i32_i8_e32 v137, v155, v19
	s_waitcnt lgkmcnt(1)
	v_dot4c_i32_i8_e32 v144, v158, v14
	ds_read2_b32 v[148:149], v123 offset0:24 offset1:25
	v_dot4c_i32_i8_e32 v137, v152, v20
	v_dot4c_i32_i8_e32 v144, v159, v15
	;; [unrolled: 1-line block ×4, first 2 shown]
	v_mov_b32_e32 v146, v2
	v_mov_b32_e32 v147, v4
	v_ashrrev_i32_e32 v108, 24, v138
	v_ashrrev_i32_e32 v2, 24, v139
	v_dot4c_i32_i8_e32 v144, v157, v17
	v_pk_fma_f32 v[142:143], v[146:147], v[142:143], 0 op_sel_hi:[1,1,0]
	v_bfe_i32 v146, v139, 16, 8
	v_bfe_i32 v147, v138, 16, 8
	v_mul_lo_u32 v2, v137, v2
	v_mul_lo_u32 v108, v162, v108
	v_mad_u64_u32 v[138:139], s[2:3], v163, v147, v[108:109]
	v_mad_u64_u32 v[146:147], s[2:3], v144, v146, v[2:3]
	v_mov_b32_e32 v2, v3
	v_mov_b32_e32 v3, 0
	s_waitcnt lgkmcnt(0)
	v_dot4c_i32_i8_e32 v3, v148, v14
	v_dot4c_i32_i8_e32 v3, v149, v15
	;; [unrolled: 1-line block ×3, first 2 shown]
	v_ashrrev_i32_e32 v108, 24, v145
	v_bfe_i32 v140, v145, 8, 8
	v_dot4c_i32_i8_e32 v3, v141, v17
	v_bfe_i32 v137, v145, 16, 8
	v_bfe_i32 v141, v145, 0, 8
	v_mul_lo_u32 v108, v166, v108
	v_mul_lo_u32 v140, v167, v140
	v_mad_u64_u32 v[140:141], s[2:3], v168, v141, v[140:141]
	v_mad_u64_u32 v[144:145], s[2:3], v3, v137, v[108:109]
	v_cvt_f32_i32_e32 v139, v146
	v_cvt_f32_i32_e32 v138, v138
	;; [unrolled: 1-line block ×4, first 2 shown]
	v_mov_b32_e32 v3, v5
	v_pk_fma_f32 v[2:3], v[2:3], v[138:139], v[142:143]
	v_add_u32_e32 v108, 0x20d0, v123
	v_pk_mul_f32 v[138:139], v[4:5], v[140:141]
	v_pk_mul_f32 v[2:3], v[104:105], v[2:3] op_sel_hi:[0,1]
	v_add_f32_e32 v104, 0, v138
	v_add_u32_e32 v142, 0x20c0, v123
	v_add_u32_e32 v144, 0x20f8, v123
	v_add_f32_e32 v104, v104, v139
	v_add_u32_e32 v137, 0x20c8, v123
	ds_read2_b32 v[138:139], v108 offset1:1
	ds_read2_b32 v[140:141], v137 offset1:1
	;; [unrolled: 1-line block ×4, first 2 shown]
	v_add_u32_e32 v108, 0x20f0, v123
	ds_read2_b32 v[146:147], v108 offset1:1
	v_add_u32_e32 v137, 0x20e8, v123
	v_add_u32_e32 v150, 0x20e0, v123
	;; [unrolled: 1-line block ×3, first 2 shown]
	ds_read2_b32 v[148:149], v137 offset1:1
	ds_read2_b32 v[150:151], v150 offset1:1
	;; [unrolled: 1-line block ×3, first 2 shown]
	v_mov_b32_e32 v108, 0
	v_mov_b32_e32 v155, 0
	s_waitcnt lgkmcnt(3)
	v_dot4c_i32_i8_e32 v108, v146, v18
	v_mov_b32_e32 v137, 0
	v_dot4c_i32_i8_e32 v155, v142, v6
	v_dot4c_i32_i8_e32 v108, v147, v19
	s_waitcnt lgkmcnt(1)
	v_dot4c_i32_i8_e32 v137, v150, v14
	v_mov_b32_e32 v154, 0
	v_dot4c_i32_i8_e32 v155, v143, v7
	v_dot4c_i32_i8_e32 v108, v144, v20
	v_dot4c_i32_i8_e32 v137, v151, v15
	v_dot4c_i32_i8_e32 v154, v138, v10
	v_dot4c_i32_i8_e32 v155, v140, v8
	v_add_u32_e32 v138, 0x4150, v123
	v_add_u32_e32 v140, 0x4148, v123
	;; [unrolled: 1-line block ×5, first 2 shown]
	v_dot4c_i32_i8_e32 v108, v145, v21
	v_dot4c_i32_i8_e32 v137, v148, v16
	;; [unrolled: 1-line block ×4, first 2 shown]
	ds_read2_b32 v[138:139], v138 offset1:1
	ds_read2_b32 v[140:141], v140 offset1:1
	ds_read2_b32 v[142:143], v142 offset1:1
	ds_read2_b32 v[144:145], v144 offset1:1
	ds_read2_b32 v[146:147], v146 offset1:1
	v_add_u32_e32 v148, 0x4168, v123
	v_add_u32_e32 v150, 0x4160, v123
	v_dot4c_i32_i8_e32 v137, v149, v17
	ds_read2_b32 v[148:149], v148 offset1:1
	ds_read2_b32 v[150:151], v150 offset1:1
	v_mov_b32_e32 v156, 0
	s_waitcnt lgkmcnt(2)
	v_dot4c_i32_i8_e32 v156, v146, v18
	v_mov_b32_e32 v18, 0
	v_dot4c_i32_i8_e32 v154, v160, v12
	s_waitcnt lgkmcnt(0)
	v_dot4c_i32_i8_e32 v18, v150, v14
	v_mov_b32_e32 v14, 0
	v_dot4c_i32_i8_e32 v14, v138, v10
	v_mov_b32_e32 v10, 0
	v_dot4c_i32_i8_e32 v14, v139, v11
	v_dot4c_i32_i8_e32 v10, v142, v6
	;; [unrolled: 1-line block ×7, first 2 shown]
	v_bfe_i32 v7, v109, 8, 8
	v_bfe_i32 v6, v107, 8, 8
	v_dot4c_i32_i8_e32 v156, v147, v19
	v_dot4c_i32_i8_e32 v10, v141, v9
	v_mul_lo_u32 v6, v14, v6
	v_mul_lo_u32 v8, v154, v7
	v_bfe_i32 v7, v107, 0, 8
	v_bfe_i32 v9, v109, 0, 8
	v_dot4c_i32_i8_e32 v156, v144, v20
	v_dot4c_i32_i8_e32 v18, v151, v15
	v_mad_u64_u32 v[8:9], s[2:3], v155, v9, v[8:9]
	v_mad_u64_u32 v[6:7], s[2:3], v10, v7, v[6:7]
	v_dot4c_i32_i8_e32 v156, v145, v21
	v_dot4c_i32_i8_e32 v18, v148, v16
	v_cvt_f32_i32_e32 v7, v6
	v_cvt_f32_i32_e32 v6, v8
	v_ashrrev_i32_e32 v10, 24, v109
	v_ashrrev_i32_e32 v8, 24, v107
	v_dot4c_i32_i8_e32 v18, v149, v17
	v_bfe_i32 v9, v107, 16, 8
	v_bfe_i32 v11, v109, 16, 8
	v_mul_lo_u32 v8, v156, v8
	v_mul_lo_u32 v10, v108, v10
	v_mad_u64_u32 v[10:11], s[2:3], v137, v11, v[10:11]
	v_mad_u64_u32 v[8:9], s[2:3], v18, v9, v[8:9]
	v_cvt_f32_i32_e32 v9, v8
	v_cvt_f32_i32_e32 v8, v10
	v_pk_fma_f32 v[6:7], v[4:5], v[6:7], 0 op_sel_hi:[0,1,0]
	v_mov_b32_e32 v4, v5
	v_pk_mul_f32 v[110:111], v[102:103], v[110:111]
	v_pk_fma_f32 v[4:5], v[4:5], v[8:9], v[6:7] op_sel_hi:[0,1,1]
	v_mul_f32_e32 v106, v25, v106
	v_pk_mul_f32 v[4:5], v[102:103], v[4:5]
	v_mov_b32_e32 v107, v110
	v_pk_mov_b32 v[8:9], v[110:111], v[2:3] op_sel:[1,0]
	v_mul_f32_e32 v10, v25, v104
	v_pk_add_f32 v[6:7], v[22:23], v[106:107]
	v_pk_add_f32 v[8:9], v[74:75], v[8:9]
	v_mov_b32_e32 v2, v5
	v_mov_b32_e32 v11, v4
	v_pk_add_f32 v[74:75], v[8:9], v[2:3]
	v_pk_add_f32 v[22:23], v[6:7], v[10:11]
	s_cmp_ge_i32 s14, s15
	s_barrier
	s_cbranch_scc1 .LBB235_5
; %bb.12:                               ;   in Loop: Header=BB235_6 Depth=1
	v_cmp_gt_i32_e64 s[2:3], s5, v125
	s_and_b64 s[20:21], s[0:1], s[2:3]
	s_and_saveexec_b64 s[2:3], s[20:21]
	s_cbranch_execz .LBB235_14
; %bb.13:                               ;   in Loop: Header=BB235_6 Depth=1
	v_add_u32_e32 v2, v28, v125
	v_mad_i64_i32 v[2:3], s[20:21], v2, 36, v[26:27]
	global_load_dword v2, v[2:3], off offset:4
	s_waitcnt vmcnt(0)
	ds_write_b32 v119, v2
.LBB235_14:                             ;   in Loop: Header=BB235_6 Depth=1
	s_or_b64 exec, exec, s[2:3]
	s_and_saveexec_b64 s[20:21], vcc
	s_cbranch_execz .LBB235_4
; %bb.15:                               ;   in Loop: Header=BB235_6 Depth=1
	v_add_u32_e32 v2, 4, v24
	v_cmp_gt_i32_e64 s[2:3], s5, v2
	s_and_b64 s[2:3], s[0:1], s[2:3]
	s_and_b64 exec, exec, s[2:3]
	s_cbranch_execz .LBB235_4
; %bb.16:                               ;   in Loop: Header=BB235_6 Depth=1
	v_ashrrev_i32_e32 v25, 31, v24
	v_lshl_add_u64 v[2:3], v[28:29], 0, v[24:25]
	v_mad_u64_u32 v[4:5], s[2:3], v2, 36, s[10:11]
	v_mad_i32_i24 v5, v3, 36, v5
	global_load_dword v2, v[4:5], off offset:144
	v_add_u32_e32 v3, v117, v120
	s_waitcnt vmcnt(0)
	v_cvt_f32_f16_e32 v2, v2
	ds_write_b32 v3, v2
	s_branch .LBB235_4
.LBB235_17:
	s_mul_i32 s0, s7, s4
	s_waitcnt vmcnt(0)
	v_cmp_gt_i32_e32 vcc, s0, v1
	s_and_saveexec_b64 s[0:1], vcc
	s_cbranch_execz .LBB235_26
; %bb.18:
	v_and_b32_e32 v0, 0x3ff, v0
	v_add_u32_e32 v2, s22, v0
	v_mul_lo_u32 v0, v1, s6
	v_cmp_gt_u32_e32 vcc, s6, v2
	s_and_saveexec_b64 s[0:1], vcc
	s_cbranch_execz .LBB235_20
; %bb.19:
	v_bfe_u32 v1, v22, 16, 1
	s_movk_i32 s2, 0x7fff
	v_add3_u32 v1, v22, v1, s2
	v_cmp_o_f32_e32 vcc, v22, v22
	v_mov_b32_e32 v3, 0x7fc0
	v_add_u32_e32 v4, v0, v2
	v_mov_b32_e32 v5, 0
	v_cndmask_b32_sdwa v1, v3, v1, vcc dst_sel:DWORD dst_unused:UNUSED_PAD src0_sel:DWORD src1_sel:WORD_1
	v_lshl_add_u64 v[4:5], v[4:5], 1, s[12:13]
	global_store_short v[4:5], v1, off
.LBB235_20:
	s_or_b64 exec, exec, s[0:1]
	v_add_u32_e32 v1, 32, v2
	v_cmp_gt_u32_e32 vcc, s6, v1
	s_and_saveexec_b64 s[0:1], vcc
	s_cbranch_execz .LBB235_22
; %bb.21:
	v_bfe_u32 v3, v23, 16, 1
	s_movk_i32 s2, 0x7fff
	v_add3_u32 v3, v23, v3, s2
	v_cmp_o_f32_e32 vcc, v23, v23
	v_mov_b32_e32 v4, 0x7fc0
	v_mov_b32_e32 v5, 0
	v_cndmask_b32_sdwa v3, v4, v3, vcc dst_sel:DWORD dst_unused:UNUSED_PAD src0_sel:DWORD src1_sel:WORD_1
	v_add_u32_e32 v4, v0, v1
	v_lshl_add_u64 v[4:5], v[4:5], 1, s[12:13]
	global_store_short v[4:5], v3, off
.LBB235_22:
	s_or_b64 exec, exec, s[0:1]
	v_add_u32_e32 v1, 64, v2
	v_cmp_gt_u32_e32 vcc, s6, v1
	s_and_saveexec_b64 s[0:1], vcc
	s_cbranch_execz .LBB235_24
; %bb.23:
	v_bfe_u32 v3, v74, 16, 1
	s_movk_i32 s2, 0x7fff
	v_add3_u32 v3, v74, v3, s2
	v_cmp_o_f32_e32 vcc, v74, v74
	v_mov_b32_e32 v4, 0x7fc0
	v_mov_b32_e32 v5, 0
	v_cndmask_b32_sdwa v3, v4, v3, vcc dst_sel:DWORD dst_unused:UNUSED_PAD src0_sel:DWORD src1_sel:WORD_1
	v_add_u32_e32 v4, v0, v1
	v_lshl_add_u64 v[4:5], v[4:5], 1, s[12:13]
	global_store_short v[4:5], v3, off
.LBB235_24:
	s_or_b64 exec, exec, s[0:1]
	v_add_u32_e32 v1, 0x60, v2
	v_cmp_gt_u32_e32 vcc, s6, v1
	s_and_b64 exec, exec, vcc
	s_cbranch_execz .LBB235_26
; %bb.25:
	v_bfe_u32 v2, v75, 16, 1
	s_movk_i32 s0, 0x7fff
	v_add3_u32 v2, v75, v2, s0
	v_cmp_o_f32_e32 vcc, v75, v75
	v_mov_b32_e32 v3, 0x7fc0
	v_add_u32_e32 v0, v0, v1
	v_mov_b32_e32 v1, 0
	v_cndmask_b32_sdwa v2, v3, v2, vcc dst_sel:DWORD dst_unused:UNUSED_PAD src0_sel:DWORD src1_sel:WORD_1
	v_lshl_add_u64 v[0:1], v[0:1], 1, s[12:13]
	global_store_short v[0:1], v2, off
.LBB235_26:
	s_endpgm
	.section	.rodata,"a",@progbits
	.p2align	6, 0x0
	.amdhsa_kernel _ZL8moe_q6_KIN3c108BFloat16ELb0EEvPKvS3_PT_PKiS7_S7_iiiiiii
		.amdhsa_group_segment_fixed_size 37072
		.amdhsa_private_segment_fixed_size 0
		.amdhsa_kernarg_size 76
		.amdhsa_user_sgpr_count 2
		.amdhsa_user_sgpr_dispatch_ptr 0
		.amdhsa_user_sgpr_queue_ptr 0
		.amdhsa_user_sgpr_kernarg_segment_ptr 1
		.amdhsa_user_sgpr_dispatch_id 0
		.amdhsa_user_sgpr_kernarg_preload_length 0
		.amdhsa_user_sgpr_kernarg_preload_offset 0
		.amdhsa_user_sgpr_private_segment_size 0
		.amdhsa_uses_dynamic_stack 0
		.amdhsa_enable_private_segment 0
		.amdhsa_system_sgpr_workgroup_id_x 1
		.amdhsa_system_sgpr_workgroup_id_y 1
		.amdhsa_system_sgpr_workgroup_id_z 0
		.amdhsa_system_sgpr_workgroup_info 0
		.amdhsa_system_vgpr_workitem_id 1
		.amdhsa_next_free_vgpr 169
		.amdhsa_next_free_sgpr 96
		.amdhsa_accum_offset 172
		.amdhsa_reserve_vcc 1
		.amdhsa_float_round_mode_32 0
		.amdhsa_float_round_mode_16_64 0
		.amdhsa_float_denorm_mode_32 3
		.amdhsa_float_denorm_mode_16_64 3
		.amdhsa_dx10_clamp 1
		.amdhsa_ieee_mode 1
		.amdhsa_fp16_overflow 0
		.amdhsa_tg_split 0
		.amdhsa_exception_fp_ieee_invalid_op 0
		.amdhsa_exception_fp_denorm_src 0
		.amdhsa_exception_fp_ieee_div_zero 0
		.amdhsa_exception_fp_ieee_overflow 0
		.amdhsa_exception_fp_ieee_underflow 0
		.amdhsa_exception_fp_ieee_inexact 0
		.amdhsa_exception_int_div_zero 0
	.end_amdhsa_kernel
	.section	.text._ZL8moe_q6_KIN3c108BFloat16ELb0EEvPKvS3_PT_PKiS7_S7_iiiiiii,"axG",@progbits,_ZL8moe_q6_KIN3c108BFloat16ELb0EEvPKvS3_PT_PKiS7_S7_iiiiiii,comdat
.Lfunc_end235:
	.size	_ZL8moe_q6_KIN3c108BFloat16ELb0EEvPKvS3_PT_PKiS7_S7_iiiiiii, .Lfunc_end235-_ZL8moe_q6_KIN3c108BFloat16ELb0EEvPKvS3_PT_PKiS7_S7_iiiiiii
                                        ; -- End function
	.set _ZL8moe_q6_KIN3c108BFloat16ELb0EEvPKvS3_PT_PKiS7_S7_iiiiiii.num_vgpr, 169
	.set _ZL8moe_q6_KIN3c108BFloat16ELb0EEvPKvS3_PT_PKiS7_S7_iiiiiii.num_agpr, 0
	.set _ZL8moe_q6_KIN3c108BFloat16ELb0EEvPKvS3_PT_PKiS7_S7_iiiiiii.numbered_sgpr, 27
	.set _ZL8moe_q6_KIN3c108BFloat16ELb0EEvPKvS3_PT_PKiS7_S7_iiiiiii.num_named_barrier, 0
	.set _ZL8moe_q6_KIN3c108BFloat16ELb0EEvPKvS3_PT_PKiS7_S7_iiiiiii.private_seg_size, 0
	.set _ZL8moe_q6_KIN3c108BFloat16ELb0EEvPKvS3_PT_PKiS7_S7_iiiiiii.uses_vcc, 1
	.set _ZL8moe_q6_KIN3c108BFloat16ELb0EEvPKvS3_PT_PKiS7_S7_iiiiiii.uses_flat_scratch, 0
	.set _ZL8moe_q6_KIN3c108BFloat16ELb0EEvPKvS3_PT_PKiS7_S7_iiiiiii.has_dyn_sized_stack, 0
	.set _ZL8moe_q6_KIN3c108BFloat16ELb0EEvPKvS3_PT_PKiS7_S7_iiiiiii.has_recursion, 0
	.set _ZL8moe_q6_KIN3c108BFloat16ELb0EEvPKvS3_PT_PKiS7_S7_iiiiiii.has_indirect_call, 0
	.section	.AMDGPU.csdata,"",@progbits
; Kernel info:
; codeLenInByte = 12048
; TotalNumSgprs: 33
; NumVgprs: 169
; NumAgprs: 0
; TotalNumVgprs: 169
; ScratchSize: 0
; MemoryBound: 0
; FloatMode: 240
; IeeeMode: 1
; LDSByteSize: 37072 bytes/workgroup (compile time only)
; SGPRBlocks: 12
; VGPRBlocks: 21
; NumSGPRsForWavesPerEU: 102
; NumVGPRsForWavesPerEU: 169
; AccumOffset: 172
; Occupancy: 2
; WaveLimiterHint : 1
; COMPUTE_PGM_RSRC2:SCRATCH_EN: 0
; COMPUTE_PGM_RSRC2:USER_SGPR: 2
; COMPUTE_PGM_RSRC2:TRAP_HANDLER: 0
; COMPUTE_PGM_RSRC2:TGID_X_EN: 1
; COMPUTE_PGM_RSRC2:TGID_Y_EN: 1
; COMPUTE_PGM_RSRC2:TGID_Z_EN: 0
; COMPUTE_PGM_RSRC2:TIDIG_COMP_CNT: 1
; COMPUTE_PGM_RSRC3_GFX90A:ACCUM_OFFSET: 42
; COMPUTE_PGM_RSRC3_GFX90A:TG_SPLIT: 0
	.section	.text._ZL8moe_q6_KIN3c108BFloat16ELb1EEvPKvS3_PT_PKiS7_S7_iiiiiii,"axG",@progbits,_ZL8moe_q6_KIN3c108BFloat16ELb1EEvPKvS3_PT_PKiS7_S7_iiiiiii,comdat
	.globl	_ZL8moe_q6_KIN3c108BFloat16ELb1EEvPKvS3_PT_PKiS7_S7_iiiiiii ; -- Begin function _ZL8moe_q6_KIN3c108BFloat16ELb1EEvPKvS3_PT_PKiS7_S7_iiiiiii
	.p2align	8
	.type	_ZL8moe_q6_KIN3c108BFloat16ELb1EEvPKvS3_PT_PKiS7_S7_iiiiiii,@function
_ZL8moe_q6_KIN3c108BFloat16ELb1EEvPKvS3_PT_PKiS7_S7_iiiiiii: ; @_ZL8moe_q6_KIN3c108BFloat16ELb1EEvPKvS3_PT_PKiS7_S7_iiiiiii
; %bb.0:
	s_load_dwordx4 s[4:7], s[0:1], 0x18
	s_mov_b32 s8, s3
	s_mov_b32 s9, 0
	s_lshl_b64 s[10:11], s[8:9], 2
	s_waitcnt lgkmcnt(0)
	s_add_u32 s6, s6, s10
	s_addc_u32 s7, s7, s11
	s_load_dword s3, s[6:7], 0x0
	s_waitcnt lgkmcnt(0)
	s_cmpk_gt_u32 s3, 0xff
	s_cbranch_scc1 .LBB236_26
; %bb.1:
	s_load_dwordx2 s[6:7], s[0:1], 0x28
	s_waitcnt lgkmcnt(0)
	s_load_dword s7, s[6:7], 0x0
	s_lshl_b32 s6, s8, 3
	s_waitcnt lgkmcnt(0)
	s_cmp_gt_u32 s6, s7
	s_cbranch_scc1 .LBB236_26
; %bb.2:
	v_bfe_u32 v2, v0, 10, 10
	v_mov_b32_e32 v4, s4
	v_mov_b32_e32 v5, s5
	v_add_u32_e32 v102, s6, v2
	v_mov_b32_e32 v103, 0
	v_lshl_add_u64 v[4:5], v[102:103], 2, v[4:5]
	global_load_dword v1, v[4:5], off
	s_load_dwordx8 s[4:11], s[0:1], 0x30
	s_load_dwordx2 s[16:17], s[0:1], 0x10
	s_waitcnt lgkmcnt(0)
	s_lshl_b32 s11, s2, 7
	v_mov_b32_e32 v102, v103
	v_mov_b32_e32 v23, v103
	s_cmpk_lt_i32 s5, 0x100
	v_mov_b32_e32 v22, v103
	s_cbranch_scc1 .LBB236_17
; %bb.3:
	s_load_dwordx4 s[12:15], s[0:1], 0x0
	s_ashr_i32 s0, s5, 31
	s_lshr_b32 s0, s0, 24
	v_and_b32_e32 v3, 31, v0
	s_add_i32 s0, s5, s0
	v_lshlrev_b32_e32 v4, 1, v3
	v_add_u16_e32 v5, -16, v3
	v_cmp_gt_u32_e32 vcc, 16, v3
	s_ashr_i32 s24, s0, 8
	s_ashr_i32 s0, s8, 31
	v_lshlrev_b32_e32 v22, 2, v3
	v_cndmask_b32_e32 v25, v5, v3, vcc
	v_add_u32_e32 v3, 0xe0, v4
	s_lshr_b32 s0, s0, 27
	v_cndmask_b32_e32 v3, v3, v4, vcc
	s_add_i32 s0, s8, s0
	v_and_b32_e32 v3, 0xfe, v3
	s_ashr_i32 s8, s0, 5
	s_not_b32 s0, s11
	v_sub_u32_e32 v3, v4, v3
	v_and_b32_e32 v4, 15, v0
	s_add_i32 s2, s6, s0
	v_add_lshl_u32 v4, v3, v4, 2
	v_add_u32_e32 v3, 8, v2
	s_mul_i32 s18, s3, s4
	v_min_i32_e32 v5, s2, v2
	s_movk_i32 s3, 0x104
	v_min_i32_e32 v3, s2, v3
	v_mul_lo_u32 v12, v3, s24
	v_mad_u64_u32 v[28:29], s[0:1], v3, s3, v[4:5]
	v_add_u32_e32 v3, 16, v2
	v_min_i32_e32 v3, s2, v3
	v_mul_lo_u32 v13, v3, s24
	v_mad_u64_u32 v[30:31], s[0:1], v3, s3, v[4:5]
	v_add_u32_e32 v3, 24, v2
	;; [unrolled: 4-line block ×14, first 2 shown]
	v_and_b32_e32 v24, 0x3ff, v0
	v_min_i32_e32 v3, s2, v3
	v_mul_lo_u32 v55, v3, s24
	v_mad_u64_u32 v[56:57], s[0:1], v3, s3, v[4:5]
	v_lshl_add_u32 v3, v2, 5, v24
	v_and_b32_e32 v3, 0x7f, v3
	v_min_i32_e32 v3, s2, v3
	v_mad_u64_u32 v[26:27], s[0:1], v5, s3, v[4:5]
	v_ashrrev_i32_e32 v4, 31, v3
	v_lshrrev_b32_e32 v4, 27, v4
	v_add_u32_e32 v4, v3, v4
	v_ashrrev_i32_e32 v4, 5, v4
	v_mul_lo_u32 v57, v3, s24
	v_lshlrev_b32_e32 v4, 2, v4
	v_lshlrev_b32_e32 v3, 2, v3
	s_mov_b32 s0, 0x8e40
	v_add3_u32 v27, v4, v3, s0
	v_bfe_u32 v3, v0, 2, 8
	v_lshl_add_u32 v3, v2, 3, v3
	v_and_b32_e32 v6, 0x7f, v3
	v_min_i32_e32 v6, s2, v6
	v_ashrrev_i32_e32 v7, 31, v6
	v_lshrrev_b32_e32 v7, 29, v7
	v_mul_lo_u32 v106, v6, s24
	v_add_u32_e32 v7, v6, v7
	v_lshlrev_b32_e32 v113, 4, v6
	v_mov_b32_e32 v6, 0x7f
	v_bitop3_b32 v3, v3, 64, v6 bitop3:0x6c
	v_min_i32_e32 v3, s2, v3
	v_ashrrev_i32_e32 v6, 31, v3
	v_mov_b32_e32 v11, 0x8a40
	v_bfe_u32 v35, v0, 3, 7
	v_bfe_u32 v8, v0, 5, 5
	s_mov_b32 s1, 0x8200
	v_lshrrev_b32_e32 v6, 29, v6
	v_lshl_add_u32 v31, v2, 7, v11
	v_lshlrev_b32_e32 v33, 4, v2
	v_lshlrev_b32_e32 v2, 2, v35
	;; [unrolled: 1-line block ×3, first 2 shown]
	v_mul_lo_u32 v107, v3, s24
	v_add_u32_e32 v6, v3, v6
	v_lshlrev_b32_e32 v115, 4, v3
	v_lshlrev_b32_e32 v3, 2, v24
	v_add3_u32 v37, v11, v2, s1
	v_lshlrev_b32_e32 v2, 2, v8
	v_add3_u32 v39, v2, v3, s0
	v_add_u32_e32 v2, 32, v24
	v_lshrrev_b32_e32 v41, 3, v2
	v_lshlrev_b32_e32 v11, 2, v41
	v_lshlrev_b32_e32 v2, 4, v2
	v_add3_u32 v43, v11, v2, s1
	v_and_b32_e32 v2, 60, v41
	v_add3_u32 v45, v3, v2, s0
	v_add_u32_e32 v2, 64, v24
	v_lshrrev_b32_e32 v11, 3, v2
	v_lshlrev_b32_e32 v47, 2, v11
	v_lshlrev_b32_e32 v2, 4, v2
	s_abs_i32 s2, s10
	v_add3_u32 v47, v47, v2, s1
	v_and_b32_e32 v2, 60, v11
	v_cvt_f32_u32_e32 v53, s2
	v_add3_u32 v49, v3, v2, s0
	v_add_u32_e32 v2, 0x60, v24
	v_lshrrev_b32_e32 v11, 3, v2
	v_lshlrev_b32_e32 v51, 2, v11
	v_lshlrev_b32_e32 v2, 4, v2
	v_add3_u32 v51, v51, v2, s1
	v_and_b32_e32 v2, 60, v11
	v_rcp_iflag_f32_e32 v11, v53
	v_lshlrev_b32_e32 v4, 2, v0
	v_ashrrev_i32_e32 v6, 3, v6
	v_and_b32_e32 v4, 12, v4
	v_lshlrev_b32_e32 v6, 2, v6
	v_add3_u32 v114, v6, v4, s1
	v_add_u32_e32 v29, 0x9050, v3
	v_and_b32_e32 v6, 28, v3
	v_add3_u32 v53, v3, v2, s0
	v_mul_f32_e32 v3, 0x4f7ffffe, v11
	v_cvt_u32_f32_e32 v3, v3
	s_sub_i32 s0, 0, s2
	s_waitcnt vmcnt(0)
	v_sub_u32_e32 v11, 0, v1
	v_max_i32_e32 v11, v1, v11
	v_mul_lo_u32 v58, s0, v3
	v_mul_hi_u32 v58, v3, v58
	v_add_u32_e32 v3, v3, v58
	v_mul_hi_u32 v3, v11, v3
	v_ashrrev_i32_e32 v7, 3, v7
	v_mul_lo_u32 v58, v3, s2
	v_lshlrev_b32_e32 v7, 2, v7
	v_sub_u32_e32 v11, v11, v58
	v_add3_u32 v112, v7, v4, s1
	v_add_u32_e32 v58, 1, v3
	v_cmp_le_u32_e64 s[0:1], s2, v11
	v_xor_b32_e32 v2, s10, v1
	v_ashrrev_i32_e32 v2, 31, v2
	v_cndmask_b32_e64 v3, v3, v58, s[0:1]
	v_subrev_u32_e32 v58, s2, v11
	v_cndmask_b32_e64 v11, v11, v58, s[0:1]
	v_add_u32_e32 v58, 1, v3
	v_cmp_le_u32_e64 s[0:1], s2, v11
	s_mul_i32 s4, s24, s11
	s_mul_hi_i32 s23, s4, 0xd2
	v_cndmask_b32_e64 v3, v3, v58, s[0:1]
	v_xor_b32_e32 v3, v3, v2
	v_sub_u32_e32 v2, v3, v2
	s_mul_i32 s22, s4, 0xd2
	v_mov_b32_e32 v23, 0
	v_and_b32_e32 v9, 7, v0
	v_cmp_gt_i32_e64 s[0:1], s7, v2
	v_mul_lo_u32 v60, v2, s8
	s_movk_i32 s6, 0xd2
	v_mov_b64_e32 v[2:3], s[22:23]
	v_mul_lo_u32 v10, v5, s24
	v_mov_b32_e32 v7, v23
	v_mad_u64_u32 v[2:3], s[2:3], v8, s6, v[2:3]
	v_lshlrev_b32_e32 v8, 1, v24
	v_lshlrev_b32_e32 v9, 2, v9
	s_waitcnt lgkmcnt(0)
	v_lshl_add_u64 v[58:59], s[14:15], 0, v[6:7]
	v_mad_i64_i32 v[6:7], s[2:3], v10, s6, v[2:3]
	v_and_or_b32 v8, v8, 32, v9
	v_mov_b32_e32 v9, v23
	v_lshl_add_u64 v[10:11], v[6:7], 0, v[8:9]
	v_lshl_add_u64 v[6:7], v[6:7], 0, v[22:23]
	;; [unrolled: 1-line block ×3, first 2 shown]
	s_mov_b64 s[2:3], 0x80
	v_lshl_add_u64 v[64:65], s[12:13], 0, v[6:7]
	v_mad_i64_i32 v[6:7], s[26:27], v12, s6, v[2:3]
	v_lshl_add_u64 v[62:63], v[10:11], 0, s[2:3]
	v_lshl_add_u64 v[10:11], v[6:7], 0, v[8:9]
	v_lshl_add_u64 v[6:7], v[6:7], 0, v[22:23]
	v_lshl_add_u64 v[10:11], s[12:13], 0, v[10:11]
	v_lshl_add_u64 v[68:69], s[12:13], 0, v[6:7]
	v_mad_i64_i32 v[6:7], s[26:27], v13, s6, v[2:3]
	v_lshl_add_u64 v[66:67], v[10:11], 0, s[2:3]
	v_lshl_add_u64 v[10:11], v[6:7], 0, v[8:9]
	v_lshl_add_u64 v[6:7], v[6:7], 0, v[22:23]
	v_lshl_add_u64 v[10:11], s[12:13], 0, v[10:11]
	;; [unrolled: 6-line block ×7, first 2 shown]
	v_lshl_add_u64 v[92:93], s[12:13], 0, v[6:7]
	v_mad_i64_i32 v[6:7], s[26:27], v19, s6, v[2:3]
	v_cmp_gt_u32_e32 vcc, 4, v24
	v_lshl_add_u64 v[90:91], v[10:11], 0, s[2:3]
	v_lshl_add_u64 v[10:11], v[6:7], 0, v[8:9]
	;; [unrolled: 1-line block ×3, first 2 shown]
	s_ashr_i32 s19, s18, 31
	s_and_b64 s[20:21], vcc, s[0:1]
	v_lshl_add_u64 v[10:11], s[12:13], 0, v[10:11]
	v_lshl_add_u64 v[96:97], s[12:13], 0, v[6:7]
	v_mad_i64_i32 v[6:7], s[26:27], v20, s6, v[2:3]
	v_lshl_add_u64 v[94:95], v[10:11], 0, s[2:3]
	v_lshl_add_u64 v[10:11], v[6:7], 0, v[8:9]
	s_add_u32 s22, s12, s22
	v_lshl_add_u64 v[10:11], s[12:13], 0, v[10:11]
	v_lshl_add_u64 v[6:7], v[6:7], 0, v[22:23]
	s_addc_u32 s23, s13, s23
	v_lshl_add_u64 v[98:99], v[10:11], 0, s[2:3]
	v_lshl_add_u64 v[100:101], s[12:13], 0, v[6:7]
	v_mad_i64_i32 v[6:7], s[26:27], v21, s6, v[2:3]
	v_mad_i64_i32 v[10:11], s[26:27], v102, s6, v[2:3]
	;; [unrolled: 1-line block ×6, first 2 shown]
	v_mov_b64_e32 v[18:19], s[22:23]
	v_mad_i64_i32 v[20:21], s[22:23], v106, s6, 0
	v_mov_b32_e32 v55, 0xd2
	v_mov_b32_e32 v5, v23
	v_mad_i64_i32 v[20:21], s[22:23], s4, v55, v[20:21]
	v_lshl_add_u64 v[104:105], v[6:7], 0, v[8:9]
	v_lshl_add_u64 v[6:7], v[6:7], 0, v[22:23]
	v_mad_i64_i32 v[102:103], s[22:23], v107, s6, 0
	v_lshl_add_u64 v[106:107], s[12:13], 0, v[6:7]
	v_lshl_add_u64 v[6:7], v[20:21], 0, v[4:5]
	;; [unrolled: 1-line block ×7, first 2 shown]
	v_mad_i64_i32 v[102:103], s[22:23], s4, v55, v[102:103]
	v_add_u32_e32 v55, v112, v113
	v_lshl_add_u64 v[112:113], v[10:11], 0, s[2:3]
	v_lshl_add_u64 v[10:11], v[12:13], 0, v[22:23]
	v_mad_i64_i32 v[18:19], s[22:23], v57, s6, v[18:19]
	v_add_u32_e32 v57, v114, v115
	v_lshl_add_u64 v[114:115], s[12:13], 0, v[10:11]
	v_lshl_add_u64 v[10:11], v[14:15], 0, v[8:9]
	;; [unrolled: 1-line block ×17, first 2 shown]
	s_mov_b64 s[2:3], 0xd0
	v_lshl_add_u64 v[4:5], v[102:103], 0, v[4:5]
	v_lshl_add_u64 v[126:127], s[12:13], 0, v[2:3]
	;; [unrolled: 1-line block ×4, first 2 shown]
	s_mov_b64 s[2:3], 0xc0
	v_lshl_add_u64 v[130:131], v[2:3], 0, s[2:3]
	v_lshl_add_u64 v[2:3], s[12:13], 0, v[4:5]
	;; [unrolled: 1-line block ×4, first 2 shown]
	v_cmp_lt_u16_e64 s[2:3], 7, v25
	v_ashrrev_i32_e32 v61, 31, v60
	v_lshl_add_u64 v[122:123], s[12:13], 0, v[10:11]
	s_movk_i32 s4, 0x80
	s_mov_b32 s6, 0x30303030
	s_movk_i32 s25, 0xe000
	s_movk_i32 s26, 0x3f00
	s_mov_b64 s[12:13], 0xd2
	v_add_u32_e32 v137, v31, v22
	v_mov_b32_e32 v22, v23
	v_mov_b32_e32 v102, v23
	;; [unrolled: 1-line block ×3, first 2 shown]
	v_cndmask_b32_e64 v144, 0, 2, s[2:3]
	v_mul_u32_u24_e32 v145, 0x104, v24
	s_branch .LBB236_6
.LBB236_4:                              ;   in Loop: Header=BB236_6 Depth=1
	s_or_b64 exec, exec, s[22:23]
	s_waitcnt lgkmcnt(0)
	s_barrier
	ds_read_b128 v[2:5], v31
	ds_read_b128 v[6:9], v31 offset:16
	ds_read_b128 v[10:13], v31 offset:32
	;; [unrolled: 1-line block ×3, first 2 shown]
	ds_read2_b32 v[18:19], v145 offset0:44 offset1:45
	ds_read2_b32 v[20:21], v145 offset0:38 offset1:39
	;; [unrolled: 1-line block ×7, first 2 shown]
	v_mov_b32_e32 v155, 0
	v_mov_b32_e32 v156, 0
	;; [unrolled: 1-line block ×3, first 2 shown]
	s_waitcnt lgkmcnt(4)
	v_dot4c_i32_i8_e32 v155, v134, v6
	s_waitcnt lgkmcnt(2)
	v_dot4c_i32_i8_e32 v156, v140, v2
	v_dot4c_i32_i8_e32 v25, v18, v14
	ds_read2_b32 v[148:149], v145 offset0:40 offset1:41
	v_dot4c_i32_i8_e32 v155, v135, v7
	v_dot4c_i32_i8_e32 v156, v141, v3
	;; [unrolled: 1-line block ×5, first 2 shown]
	v_add_u32_e32 v18, 0x2118, v145
	v_add_u32_e32 v20, 0x2110, v145
	;; [unrolled: 1-line block ×5, first 2 shown]
	s_waitcnt lgkmcnt(2)
	v_dot4c_i32_i8_e32 v25, v142, v16
	v_dot4c_i32_i8_e32 v155, v21, v9
	;; [unrolled: 1-line block ×3, first 2 shown]
	ds_read2_b32 v[18:19], v18 offset1:1
	ds_read2_b32 v[20:21], v20 offset1:1
	;; [unrolled: 1-line block ×5, first 2 shown]
	v_add_u32_e32 v136, 0x2130, v145
	v_dot4c_i32_i8_e32 v25, v143, v17
	ds_read2_b32 v[142:143], v136 offset1:1
	v_mov_b32_e32 v154, 0
	s_waitcnt lgkmcnt(6)
	v_dot4c_i32_i8_e32 v154, v148, v10
	v_dot4c_i32_i8_e32 v154, v149, v11
	;; [unrolled: 1-line block ×3, first 2 shown]
	v_mov_b32_e32 v157, 0
	v_add_u32_e32 v136, 0x2128, v145
	v_add_u32_e32 v148, 0x2120, v145
	;; [unrolled: 1-line block ×3, first 2 shown]
	v_mov_b32_e32 v159, 0
	v_mov_b32_e32 v160, 0
	v_dot4c_i32_i8_e32 v154, v147, v13
	ds_read2_b32 v[146:147], v136 offset1:1
	ds_read2_b32 v[148:149], v148 offset1:1
	;; [unrolled: 1-line block ×3, first 2 shown]
	s_waitcnt lgkmcnt(3)
	v_dot4c_i32_i8_e32 v157, v142, v14
	v_dot4c_i32_i8_e32 v159, v20, v6
	;; [unrolled: 1-line block ×9, first 2 shown]
	v_add_u32_e32 v18, 0x4190, v145
	v_add_u32_e32 v20, 0x4188, v145
	;; [unrolled: 1-line block ×4, first 2 shown]
	v_dot4c_i32_i8_e32 v157, v141, v17
	v_mov_b32_e32 v158, 0
	ds_read_b32 v136, v53 offset:384
	v_dot4c_i32_i8_e32 v159, v19, v9
	v_dot4c_i32_i8_e32 v160, v135, v5
	ds_read_b32 v135, v49 offset:256
	ds_read2_b32 v[18:19], v18 offset1:1
	ds_read2_b32 v[20:21], v20 offset1:1
	;; [unrolled: 1-line block ×4, first 2 shown]
	v_add_u32_e32 v134, 0x41b0, v145
	s_waitcnt lgkmcnt(7)
	v_dot4c_i32_i8_e32 v158, v148, v10
	ds_read2_b32 v[142:143], v134 offset1:1
	v_dot4c_i32_i8_e32 v158, v149, v11
	v_dot4c_i32_i8_e32 v158, v146, v12
	v_add_u32_e32 v134, 0x41a8, v145
	v_add_u32_e32 v148, 0x41a0, v145
	;; [unrolled: 1-line block ×3, first 2 shown]
	v_dot4c_i32_i8_e32 v158, v147, v13
	ds_read2_b32 v[146:147], v134 offset1:1
	ds_read2_b32 v[148:149], v148 offset1:1
	;; [unrolled: 1-line block ×3, first 2 shown]
	v_mov_b32_e32 v161, 0
	v_mov_b32_e32 v164, 0
	s_waitcnt lgkmcnt(3)
	v_dot4c_i32_i8_e32 v161, v142, v14
	v_dot4c_i32_i8_e32 v164, v138, v2
	v_dot4c_i32_i8_e32 v161, v143, v15
	v_mov_b32_e32 v162, 0
	v_mov_b32_e32 v163, 0
	v_dot4c_i32_i8_e32 v164, v139, v3
	v_dot4c_i32_i8_e32 v161, v140, v16
	s_waitcnt lgkmcnt(1)
	v_dot4c_i32_i8_e32 v162, v148, v10
	v_dot4c_i32_i8_e32 v163, v18, v6
	;; [unrolled: 1-line block ×3, first 2 shown]
	v_add_u32_e32 v18, 0x6210, v145
	v_add_u32_e32 v20, 0x6208, v145
	;; [unrolled: 1-line block ×4, first 2 shown]
	v_dot4c_i32_i8_e32 v161, v141, v17
	v_dot4c_i32_i8_e32 v162, v149, v11
	;; [unrolled: 1-line block ×4, first 2 shown]
	ds_read2_b32 v[18:19], v18 offset1:1
	ds_read2_b32 v[20:21], v20 offset1:1
	;; [unrolled: 1-line block ×4, first 2 shown]
	v_add_u32_e32 v134, 0x6230, v145
	v_dot4c_i32_i8_e32 v162, v146, v12
	v_dot4c_i32_i8_e32 v163, v150, v8
	ds_read2_b32 v[142:143], v134 offset1:1
	v_add_u32_e32 v134, 0x6228, v145
	v_add_u32_e32 v148, 0x6220, v145
	;; [unrolled: 1-line block ×3, first 2 shown]
	v_dot4c_i32_i8_e32 v162, v147, v13
	v_dot4c_i32_i8_e32 v163, v151, v9
	ds_read2_b32 v[146:147], v134 offset1:1
	ds_read2_b32 v[148:149], v148 offset1:1
	;; [unrolled: 1-line block ×3, first 2 shown]
	v_mov_b32_e32 v170, 0
	v_mov_b32_e32 v171, 0
	;; [unrolled: 1-line block ×4, first 2 shown]
	s_waitcnt lgkmcnt(3)
	v_dot4c_i32_i8_e32 v170, v142, v14
	s_waitcnt lgkmcnt(1)
	v_dot4c_i32_i8_e32 v171, v148, v10
	v_dot4c_i32_i8_e32 v172, v18, v6
	;; [unrolled: 1-line block ×15, first 2 shown]
	ds_read_b128 v[10:13], v31 offset:80
	ds_read_b128 v[6:9], v31 offset:64
	;; [unrolled: 1-line block ×4, first 2 shown]
	ds_read2_b32 v[2:3], v145 offset0:62 offset1:63
	ds_read2_b32 v[4:5], v145 offset0:60 offset1:61
	;; [unrolled: 1-line block ×6, first 2 shown]
	v_mov_b32_e32 v174, 0
	s_waitcnt lgkmcnt(4)
	v_dot4c_i32_i8_e32 v174, v4, v18
	v_dot4c_i32_i8_e32 v174, v5, v19
	;; [unrolled: 1-line block ×3, first 2 shown]
	ds_read2_b32 v[148:149], v145 offset0:58 offset1:59
	v_dot4c_i32_i8_e32 v174, v3, v21
	ds_read_b128 v[2:5], v33 offset:36944
	ds_read2_b32 v[152:153], v37 offset0:2 offset1:3
	v_mov_b32_e32 v175, 0
	s_waitcnt lgkmcnt(5)
	v_dot4c_i32_i8_e32 v175, v140, v10
	v_dot4c_i32_i8_e32 v175, v141, v11
	;; [unrolled: 1-line block ×3, first 2 shown]
	s_waitcnt lgkmcnt(0)
	v_ashrrev_i32_e32 v134, 24, v152
	v_bfe_i32 v138, v152, 8, 8
	v_dot4c_i32_i8_e32 v175, v139, v13
	v_mov_b32_e32 v176, 0
	v_bfe_i32 v140, v152, 16, 8
	v_bfe_i32 v139, v152, 0, 8
	v_mul_lo_u32 v134, v25, v134
	v_mul_lo_u32 v138, v155, v138
	v_dot4c_i32_i8_e32 v176, v146, v6
	v_mad_u64_u32 v[138:139], s[2:3], v156, v139, v[138:139]
	v_mad_u64_u32 v[140:141], s[2:3], v154, v140, v[134:135]
	v_dot4c_i32_i8_e32 v176, v147, v7
	v_cvt_f32_i32_e32 v147, v140
	v_cvt_f32_i32_e32 v146, v138
	ds_read_b32 v25, v39
	ds_read_b32 v134, v45 offset:128
	ds_read2_b32 v[138:139], v47 offset0:2 offset1:3
	ds_read2_b32 v[140:141], v43 offset0:2 offset1:3
	v_dot4c_i32_i8_e32 v176, v142, v8
	v_dot4c_i32_i8_e32 v176, v143, v9
	v_pk_mul_f32 v[142:143], v[2:3], v[146:147]
	s_waitcnt lgkmcnt(1)
	v_bfe_i32 v154, v138, 0, 8
	v_add_f32_e32 v152, 0, v142
	s_waitcnt lgkmcnt(0)
	v_bfe_i32 v146, v140, 8, 8
	v_bfe_i32 v142, v138, 8, 8
	v_mul_lo_u32 v142, v163, v142
	v_mul_lo_u32 v146, v159, v146
	v_bfe_i32 v147, v140, 0, 8
	v_mad_u64_u32 v[146:147], s[2:3], v160, v147, v[146:147]
	v_mad_u64_u32 v[154:155], s[2:3], v164, v154, v[142:143]
	v_cvt_f32_i32_e32 v147, v154
	v_bfe_i32 v142, v138, 16, 8
	v_bfe_i32 v154, v140, 16, 8
	v_ashrrev_i32_e32 v140, 24, v140
	v_ashrrev_i32_e32 v138, 24, v138
	v_mul_lo_u32 v138, v161, v138
	v_mul_lo_u32 v140, v157, v140
	v_cvt_f32_i32_e32 v146, v146
	v_mad_u64_u32 v[154:155], s[2:3], v158, v154, v[140:141]
	v_mad_u64_u32 v[156:157], s[2:3], v162, v142, v[138:139]
	v_cvt_f32_i32_e32 v155, v156
	v_cvt_f32_i32_e32 v154, v154
	v_add_f32_e32 v138, v152, v143
	v_pk_fma_f32 v[142:143], v[2:3], v[146:147], 0 op_sel_hi:[0,1,0]
	v_add_u32_e32 v140, 0x6250, v145
	v_add_u32_e32 v158, 0x6240, v145
	;; [unrolled: 1-line block ×3, first 2 shown]
	v_pk_fma_f32 v[142:143], v[2:3], v[154:155], v[142:143] op_sel:[1,0,0]
	ds_read2_b32 v[146:147], v51 offset0:2 offset1:3
	v_add_u32_e32 v152, 0x6248, v145
	ds_read2_b32 v[154:155], v140 offset1:1
	ds_read2_b32 v[156:157], v152 offset1:1
	;; [unrolled: 1-line block ×4, first 2 shown]
	v_add_u32_e32 v140, 0x6270, v145
	ds_read2_b32 v[162:163], v140 offset1:1
	v_add_u32_e32 v140, 0x6268, v145
	v_add_u32_e32 v166, 0x6260, v145
	;; [unrolled: 1-line block ×3, first 2 shown]
	ds_read2_b32 v[164:165], v140 offset1:1
	ds_read2_b32 v[166:167], v166 offset1:1
	;; [unrolled: 1-line block ×3, first 2 shown]
	v_mov_b32_e32 v140, 0
	s_waitcnt lgkmcnt(7)
	v_dot4c_i32_i8_e32 v140, v154, v10
	v_mov_b32_e32 v154, 0
	v_dot4c_i32_i8_e32 v140, v155, v11
	s_waitcnt lgkmcnt(5)
	v_dot4c_i32_i8_e32 v154, v158, v6
	v_dot4c_i32_i8_e32 v140, v150, v12
	;; [unrolled: 1-line block ×3, first 2 shown]
	v_mov_b32_e32 v152, 0
	v_dot4c_i32_i8_e32 v140, v151, v13
	v_bfe_i32 v150, v146, 8, 8
	v_bfe_i32 v151, v147, 8, 8
	v_dot4c_i32_i8_e32 v154, v156, v8
	s_waitcnt lgkmcnt(3)
	v_dot4c_i32_i8_e32 v152, v162, v18
	v_mul_lo_u32 v140, v140, v151
	v_mul_lo_u32 v150, v172, v150
	v_dot4c_i32_i8_e32 v154, v157, v9
	v_bfe_i32 v155, v147, 0, 8
	v_bfe_i32 v151, v146, 0, 8
	v_dot4c_i32_i8_e32 v152, v163, v19
	v_mad_u64_u32 v[150:151], s[2:3], v173, v151, v[150:151]
	v_mad_u64_u32 v[154:155], s[2:3], v154, v155, v[140:141]
	v_dot4c_i32_i8_e32 v152, v160, v20
	v_mov_b32_e32 v160, 0
	v_cvt_f32_i32_e32 v151, v154
	v_cvt_f32_i32_e32 v150, v150
	s_waitcnt lgkmcnt(1)
	v_dot4c_i32_i8_e32 v160, v166, v14
	ds_read2_b32 v[156:157], v145 offset0:56 offset1:57
	v_dot4c_i32_i8_e32 v160, v167, v15
	v_dot4c_i32_i8_e32 v152, v161, v21
	;; [unrolled: 1-line block ×3, first 2 shown]
	v_mov_b32_e32 v154, v2
	v_mov_b32_e32 v155, v4
	v_ashrrev_i32_e32 v140, 24, v146
	v_ashrrev_i32_e32 v2, 24, v147
	v_dot4c_i32_i8_e32 v160, v165, v17
	v_pk_fma_f32 v[150:151], v[154:155], v[150:151], 0 op_sel_hi:[1,1,0]
	v_bfe_i32 v154, v147, 16, 8
	v_bfe_i32 v155, v146, 16, 8
	v_mul_lo_u32 v2, v152, v2
	v_mul_lo_u32 v140, v170, v140
	v_mad_u64_u32 v[146:147], s[2:3], v171, v155, v[140:141]
	v_mad_u64_u32 v[154:155], s[2:3], v160, v154, v[2:3]
	v_mov_b32_e32 v2, v3
	v_mov_b32_e32 v3, 0
	s_waitcnt lgkmcnt(0)
	v_dot4c_i32_i8_e32 v3, v156, v14
	v_dot4c_i32_i8_e32 v3, v157, v15
	;; [unrolled: 1-line block ×3, first 2 shown]
	v_ashrrev_i32_e32 v140, 24, v153
	v_bfe_i32 v148, v153, 8, 8
	v_dot4c_i32_i8_e32 v3, v149, v17
	v_bfe_i32 v152, v153, 16, 8
	v_bfe_i32 v149, v153, 0, 8
	v_mul_lo_u32 v140, v174, v140
	v_mul_lo_u32 v148, v175, v148
	v_mad_u64_u32 v[148:149], s[2:3], v176, v149, v[148:149]
	v_mad_u64_u32 v[152:153], s[2:3], v3, v152, v[140:141]
	v_cvt_f32_i32_e32 v147, v154
	v_cvt_f32_i32_e32 v146, v146
	;; [unrolled: 1-line block ×4, first 2 shown]
	v_mov_b32_e32 v3, v5
	v_pk_fma_f32 v[2:3], v[2:3], v[146:147], v[150:151]
	v_add_u32_e32 v140, 0x2150, v145
	v_pk_mul_f32 v[146:147], v[4:5], v[148:149]
	v_pk_mul_f32 v[2:3], v[136:137], v[2:3] op_sel_hi:[0,1]
	v_add_f32_e32 v136, 0, v146
	v_add_u32_e32 v148, 0x2148, v145
	v_add_u32_e32 v150, 0x2140, v145
	;; [unrolled: 1-line block ×3, first 2 shown]
	v_add_f32_e32 v136, v136, v147
	ds_read2_b32 v[146:147], v140 offset1:1
	ds_read2_b32 v[148:149], v148 offset1:1
	;; [unrolled: 1-line block ×4, first 2 shown]
	v_add_u32_e32 v140, 0x2170, v145
	ds_read2_b32 v[154:155], v140 offset1:1
	v_add_u32_e32 v156, 0x2168, v145
	v_add_u32_e32 v158, 0x2160, v145
	;; [unrolled: 1-line block ×3, first 2 shown]
	ds_read2_b32 v[156:157], v156 offset1:1
	ds_read2_b32 v[158:159], v158 offset1:1
	;; [unrolled: 1-line block ×3, first 2 shown]
	v_mov_b32_e32 v140, 0
	v_mov_b32_e32 v164, 0
	s_waitcnt lgkmcnt(3)
	v_dot4c_i32_i8_e32 v140, v154, v18
	v_mov_b32_e32 v162, 0
	v_dot4c_i32_i8_e32 v164, v150, v6
	v_dot4c_i32_i8_e32 v140, v155, v19
	s_waitcnt lgkmcnt(1)
	v_dot4c_i32_i8_e32 v162, v158, v14
	v_mov_b32_e32 v163, 0
	v_dot4c_i32_i8_e32 v164, v151, v7
	v_dot4c_i32_i8_e32 v140, v152, v20
	;; [unrolled: 1-line block ×5, first 2 shown]
	v_add_u32_e32 v146, 0x41d0, v145
	v_add_u32_e32 v148, 0x41c8, v145
	;; [unrolled: 1-line block ×5, first 2 shown]
	v_dot4c_i32_i8_e32 v140, v153, v21
	v_dot4c_i32_i8_e32 v162, v156, v16
	v_dot4c_i32_i8_e32 v163, v147, v11
	v_dot4c_i32_i8_e32 v164, v149, v9
	ds_read2_b32 v[146:147], v146 offset1:1
	ds_read2_b32 v[148:149], v148 offset1:1
	;; [unrolled: 1-line block ×5, first 2 shown]
	v_add_u32_e32 v156, 0x41e8, v145
	v_add_u32_e32 v158, 0x41e0, v145
	v_dot4c_i32_i8_e32 v162, v157, v17
	ds_read2_b32 v[156:157], v156 offset1:1
	ds_read2_b32 v[158:159], v158 offset1:1
	v_mov_b32_e32 v165, 0
	s_waitcnt lgkmcnt(2)
	v_dot4c_i32_i8_e32 v165, v154, v18
	v_mov_b32_e32 v18, 0
	v_dot4c_i32_i8_e32 v163, v168, v12
	s_waitcnt lgkmcnt(0)
	v_dot4c_i32_i8_e32 v18, v158, v14
	v_mov_b32_e32 v14, 0
	v_dot4c_i32_i8_e32 v14, v146, v10
	v_mov_b32_e32 v10, 0
	v_dot4c_i32_i8_e32 v14, v147, v11
	v_dot4c_i32_i8_e32 v10, v150, v6
	;; [unrolled: 1-line block ×7, first 2 shown]
	v_bfe_i32 v7, v141, 8, 8
	v_bfe_i32 v6, v139, 8, 8
	v_dot4c_i32_i8_e32 v165, v155, v19
	v_dot4c_i32_i8_e32 v10, v149, v9
	v_mul_lo_u32 v6, v14, v6
	v_mul_lo_u32 v8, v163, v7
	v_bfe_i32 v7, v139, 0, 8
	v_bfe_i32 v9, v141, 0, 8
	v_dot4c_i32_i8_e32 v165, v152, v20
	v_dot4c_i32_i8_e32 v18, v159, v15
	v_mad_u64_u32 v[8:9], s[2:3], v164, v9, v[8:9]
	v_mad_u64_u32 v[6:7], s[2:3], v10, v7, v[6:7]
	v_dot4c_i32_i8_e32 v165, v153, v21
	v_dot4c_i32_i8_e32 v18, v156, v16
	v_cvt_f32_i32_e32 v7, v6
	v_cvt_f32_i32_e32 v6, v8
	v_ashrrev_i32_e32 v10, 24, v141
	v_ashrrev_i32_e32 v8, 24, v139
	v_dot4c_i32_i8_e32 v18, v157, v17
	v_bfe_i32 v9, v139, 16, 8
	v_bfe_i32 v11, v141, 16, 8
	v_mul_lo_u32 v8, v165, v8
	v_mul_lo_u32 v10, v140, v10
	v_mad_u64_u32 v[10:11], s[2:3], v162, v11, v[10:11]
	v_mad_u64_u32 v[8:9], s[2:3], v18, v9, v[8:9]
	v_cvt_f32_i32_e32 v9, v8
	v_cvt_f32_i32_e32 v8, v10
	v_pk_fma_f32 v[6:7], v[4:5], v[6:7], 0 op_sel_hi:[0,1,0]
	v_mov_b32_e32 v4, v5
	v_pk_mul_f32 v[142:143], v[134:135], v[142:143]
	v_pk_fma_f32 v[4:5], v[4:5], v[8:9], v[6:7] op_sel_hi:[0,1,1]
	v_mul_f32_e32 v138, v25, v138
	v_pk_mul_f32 v[4:5], v[134:135], v[4:5]
	v_mov_b32_e32 v139, v142
	v_pk_mov_b32 v[8:9], v[142:143], v[2:3] op_sel:[1,0]
	v_mul_f32_e32 v10, v25, v136
	v_pk_add_f32 v[6:7], v[22:23], v[138:139]
	v_pk_add_f32 v[8:9], v[102:103], v[8:9]
	v_mov_b32_e32 v2, v5
	v_mov_b32_e32 v11, v4
	v_pk_add_f32 v[102:103], v[8:9], v[2:3]
	v_pk_add_f32 v[22:23], v[6:7], v[10:11]
	s_barrier
.LBB236_5:                              ;   in Loop: Header=BB236_6 Depth=1
	s_add_i32 s24, s24, -1
	s_addk_i32 s4, 0x100
	v_add_u32_e32 v41, 8, v41
	v_add_u32_e32 v35, 8, v35
	v_add_u32_e32 v24, 8, v24
	v_lshl_add_u64 v[62:63], v[62:63], 0, s[12:13]
	v_lshl_add_u64 v[64:65], v[64:65], 0, s[12:13]
	;; [unrolled: 1-line block ×34, first 2 shown]
	s_cmp_eq_u32 s24, 0
	v_lshl_add_u64 v[132:133], v[132:133], 0, s[12:13]
	s_cbranch_scc1 .LBB236_17
.LBB236_6:                              ; =>This Inner Loop Header: Depth=1
	v_lshl_add_u64 v[2:3], v[64:65], 0, s[18:19]
	global_load_dword v10, v[2:3], off
	v_lshl_add_u64 v[2:3], v[62:63], 0, s[18:19]
	global_load_dword v11, v[2:3], off
	;; [unrolled: 2-line block ×6, first 2 shown]
	v_lshl_add_u64 v[2:3], v[76:77], 0, s[18:19]
	v_lshl_add_u64 v[4:5], v[74:75], 0, s[18:19]
	;; [unrolled: 1-line block ×4, first 2 shown]
	global_load_dword v16, v[2:3], off
	s_nop 0
	global_load_dword v4, v[4:5], off
	s_nop 0
	;; [unrolled: 2-line block ×3, first 2 shown]
	global_load_dword v6, v[8:9], off
	s_add_i32 s2, s4, 0xffffff80
	s_cmp_lt_i32 s2, s5
	s_waitcnt vmcnt(9)
	v_lshrrev_b32_e32 v3, 4, v10
	v_and_b32_e32 v2, 0xf0f0f0f, v10
	s_waitcnt vmcnt(8)
	v_ashrrev_i32_e32 v7, v144, v11
	v_and_b32_e32 v3, 0xf0f0f0f, v3
	s_waitcnt vmcnt(7)
	v_and_b32_e32 v8, 0xf0f0f0f, v12
	v_lshrrev_b32_e32 v9, 4, v12
	s_waitcnt vmcnt(6)
	v_ashrrev_i32_e32 v10, v144, v13
	v_and_b32_e32 v9, 0xf0f0f0f, v9
	s_waitcnt vmcnt(5)
	v_and_b32_e32 v11, 0xf0f0f0f, v14
	v_lshrrev_b32_e32 v12, 4, v14
	s_waitcnt vmcnt(4)
	v_ashrrev_i32_e32 v13, v144, v15
	v_lshlrev_b32_e32 v14, 4, v7
	v_lshlrev_b32_e32 v15, 4, v10
	;; [unrolled: 1-line block ×3, first 2 shown]
	v_and_or_b32 v2, v14, s6, v2
	v_and_or_b32 v3, v7, s6, v3
	;; [unrolled: 1-line block ×5, first 2 shown]
	v_lshrrev_b32_e32 v10, 16, v2
	v_lshlrev_b16_e32 v11, 8, v2
	v_lshrrev_b32_e32 v14, 16, v3
	v_lshlrev_b16_e32 v15, 8, v3
	;; [unrolled: 2-line block ×4, first 2 shown]
	v_add_u16_e32 v11, 0xe000, v11
	v_lshlrev_b16_e32 v134, 8, v10
	v_add_u16_e32 v15, 0xe000, v15
	v_lshlrev_b16_e32 v135, 8, v14
	v_add_u16_e32 v18, 0xe000, v18
	v_lshlrev_b16_e32 v136, 8, v17
	v_add_u16_e32 v20, 0xe000, v20
	v_lshlrev_b16_e32 v138, 8, v19
	v_lshrrev_b16_e32 v11, 8, v11
	v_add_u16_e32 v134, 0xe000, v134
	v_lshrrev_b16_e32 v15, 8, v15
	v_add_u16_e32 v135, 0xe000, v135
	;; [unrolled: 2-line block ×4, first 2 shown]
	v_bitop3_b16 v2, v2, v11, s26 bitop3:0xec
	v_lshrrev_b16_e32 v11, 8, v134
	v_bitop3_b16 v3, v3, v15, s26 bitop3:0xec
	v_lshrrev_b16_e32 v15, 8, v135
	;; [unrolled: 2-line block ×4, first 2 shown]
	v_bitop3_b16 v10, v10, v11, s26 bitop3:0xec
	v_bitop3_b16 v11, v14, v15, s26 bitop3:0xec
	v_add_u16_e32 v2, 0xe000, v2
	v_add_u16_e32 v3, 0xe000, v3
	v_bitop3_b16 v14, v17, v18, s26 bitop3:0xec
	v_bitop3_b16 v15, v19, v20, s26 bitop3:0xec
	v_add_u16_sdwa v10, v10, s25 dst_sel:WORD_1 dst_unused:UNUSED_PAD src0_sel:DWORD src1_sel:DWORD
	v_add_u16_sdwa v11, v11, s25 dst_sel:WORD_1 dst_unused:UNUSED_PAD src0_sel:DWORD src1_sel:DWORD
	v_lshrrev_b32_e32 v21, 16, v9
	v_add_u16_e32 v7, 0xe000, v7
	v_add_u16_e32 v8, 0xe000, v8
	v_add_u16_sdwa v14, v14, s25 dst_sel:WORD_1 dst_unused:UNUSED_PAD src0_sel:DWORD src1_sel:DWORD
	v_add_u16_sdwa v15, v15, s25 dst_sel:WORD_1 dst_unused:UNUSED_PAD src0_sel:DWORD src1_sel:DWORD
	v_or_b32_e32 v2, v2, v10
	v_or_b32_e32 v3, v3, v11
	v_lshlrev_b16_e32 v25, 8, v9
	v_or_b32_e32 v7, v7, v14
	v_or_b32_e32 v8, v8, v15
	ds_write2_b32 v26, v2, v3 offset1:16
	ds_write2_b32 v28, v7, v8 offset1:16
	v_lshlrev_b16_e32 v3, 8, v21
	v_add_u16_e32 v2, 0xe000, v25
	v_add_u16_e32 v3, 0xe000, v3
	v_lshrrev_b16_e32 v2, 8, v2
	v_lshrrev_b16_e32 v3, 8, v3
	v_bitop3_b16 v2, v9, v2, s26 bitop3:0xec
	v_bitop3_b16 v3, v21, v3, s26 bitop3:0xec
	v_and_b32_e32 v12, 0xf0f0f0f, v12
	v_add_u16_e32 v2, 0xe000, v2
	v_add_u16_sdwa v3, v3, s25 dst_sel:WORD_1 dst_unused:UNUSED_PAD src0_sel:DWORD src1_sel:DWORD
	s_waitcnt vmcnt(2)
	v_ashrrev_i32_e32 v4, v144, v4
	v_or_b32_e32 v7, v2, v3
	v_and_or_b32 v2, v13, s6, v12
	v_lshlrev_b16_e32 v3, 8, v2
	v_add_u16_e32 v3, 0xe000, v3
	v_lshrrev_b16_e32 v3, 8, v3
	v_lshrrev_b32_e32 v8, 16, v2
	v_bitop3_b16 v2, v2, v3, s26 bitop3:0xec
	v_add_u16_e32 v9, 0xe000, v2
	v_lshlrev_b16_e32 v2, 8, v8
	v_add_u16_e32 v10, 0xe000, v2
	v_lshl_add_u64 v[2:3], v[84:85], 0, s[18:19]
	global_load_dword v11, v[2:3], off
	v_lshl_add_u64 v[2:3], v[82:83], 0, s[18:19]
	v_lshrrev_b16_e32 v10, 8, v10
	global_load_dword v12, v[2:3], off
	v_bitop3_b16 v2, v8, v10, s26 bitop3:0xec
	v_add_u16_sdwa v2, v2, s25 dst_sel:WORD_1 dst_unused:UNUSED_PAD src0_sel:DWORD src1_sel:DWORD
	v_lshrrev_b32_e32 v3, 4, v16
	v_or_b32_e32 v2, v9, v2
	ds_write2_b32 v30, v7, v2 offset1:16
	v_and_b32_e32 v2, 0xf0f0f0f, v16
	v_lshlrev_b32_e32 v7, 4, v4
	v_and_or_b32 v2, v7, s6, v2
	v_lshlrev_b16_e32 v8, 8, v2
	v_add_u16_e32 v8, 0xe000, v8
	v_lshrrev_b32_e32 v7, 16, v2
	v_lshrrev_b16_e32 v8, 8, v8
	v_bitop3_b16 v2, v2, v8, s26 bitop3:0xec
	v_lshlrev_b16_e32 v8, 8, v7
	v_add_u16_e32 v8, 0xe000, v8
	v_lshrrev_b16_e32 v8, 8, v8
	v_bitop3_b16 v7, v7, v8, s26 bitop3:0xec
	v_and_b32_e32 v3, 0xf0f0f0f, v3
	v_add_u16_e32 v2, 0xe000, v2
	v_add_u16_sdwa v7, v7, s25 dst_sel:WORD_1 dst_unused:UNUSED_PAD src0_sel:DWORD src1_sel:DWORD
	s_nop 0
	v_or_b32_e32 v7, v2, v7
	v_and_or_b32 v2, v4, s6, v3
	v_lshlrev_b16_e32 v3, 8, v2
	v_add_u16_e32 v3, 0xe000, v3
	v_lshrrev_b16_e32 v3, 8, v3
	v_lshrrev_b32_e32 v4, 16, v2
	v_bitop3_b16 v2, v2, v3, s26 bitop3:0xec
	v_add_u16_e32 v8, 0xe000, v2
	v_lshlrev_b16_e32 v2, 8, v4
	v_add_u16_e32 v9, 0xe000, v2
	v_lshl_add_u64 v[2:3], v[88:89], 0, s[18:19]
	global_load_dword v10, v[2:3], off
	v_lshl_add_u64 v[2:3], v[86:87], 0, s[18:19]
	global_load_dword v13, v[2:3], off
	v_lshrrev_b16_e32 v9, 8, v9
	v_bitop3_b16 v2, v4, v9, s26 bitop3:0xec
	v_add_u16_sdwa v2, v2, s25 dst_sel:WORD_1 dst_unused:UNUSED_PAD src0_sel:DWORD src1_sel:DWORD
	s_waitcnt vmcnt(4)
	v_ashrrev_i32_e32 v4, v144, v6
	v_or_b32_e32 v2, v8, v2
	ds_write2_b32 v32, v7, v2 offset1:16
	v_and_b32_e32 v2, 0xf0f0f0f, v5
	v_lshrrev_b32_e32 v3, 4, v5
	v_lshlrev_b32_e32 v5, 4, v4
	v_and_or_b32 v2, v5, s6, v2
	v_lshlrev_b16_e32 v6, 8, v2
	v_add_u16_e32 v6, 0xe000, v6
	v_lshrrev_b32_e32 v5, 16, v2
	v_lshrrev_b16_e32 v6, 8, v6
	v_bitop3_b16 v2, v2, v6, s26 bitop3:0xec
	v_lshlrev_b16_e32 v6, 8, v5
	v_add_u16_e32 v6, 0xe000, v6
	v_lshrrev_b16_e32 v6, 8, v6
	v_bitop3_b16 v5, v5, v6, s26 bitop3:0xec
	v_and_b32_e32 v3, 0xf0f0f0f, v3
	v_add_u16_e32 v2, 0xe000, v2
	v_add_u16_sdwa v5, v5, s25 dst_sel:WORD_1 dst_unused:UNUSED_PAD src0_sel:DWORD src1_sel:DWORD
	s_nop 0
	v_or_b32_e32 v5, v2, v5
	v_and_or_b32 v2, v4, s6, v3
	v_lshlrev_b16_e32 v3, 8, v2
	v_add_u16_e32 v3, 0xe000, v3
	v_lshrrev_b16_e32 v3, 8, v3
	v_lshrrev_b32_e32 v4, 16, v2
	v_bitop3_b16 v2, v2, v3, s26 bitop3:0xec
	v_add_u16_e32 v6, 0xe000, v2
	v_lshlrev_b16_e32 v2, 8, v4
	v_add_u16_e32 v7, 0xe000, v2
	v_lshl_add_u64 v[2:3], v[92:93], 0, s[18:19]
	global_load_dword v8, v[2:3], off
	v_lshl_add_u64 v[2:3], v[90:91], 0, s[18:19]
	global_load_dword v9, v[2:3], off
	v_lshrrev_b16_e32 v7, 8, v7
	v_bitop3_b16 v2, v4, v7, s26 bitop3:0xec
	v_add_u16_sdwa v2, v2, s25 dst_sel:WORD_1 dst_unused:UNUSED_PAD src0_sel:DWORD src1_sel:DWORD
	s_waitcnt vmcnt(5)
	v_lshrrev_b32_e32 v3, 4, v11
	v_or_b32_e32 v2, v6, v2
	ds_write2_b32 v34, v5, v2 offset1:16
	s_waitcnt vmcnt(4)
	v_ashrrev_i32_e32 v4, v144, v12
	v_and_b32_e32 v2, 0xf0f0f0f, v11
	v_lshlrev_b32_e32 v5, 4, v4
	v_and_or_b32 v2, v5, s6, v2
	v_lshlrev_b16_e32 v6, 8, v2
	v_add_u16_e32 v6, 0xe000, v6
	v_lshrrev_b32_e32 v5, 16, v2
	v_lshrrev_b16_e32 v6, 8, v6
	v_bitop3_b16 v2, v2, v6, s26 bitop3:0xec
	v_lshlrev_b16_e32 v6, 8, v5
	v_add_u16_e32 v6, 0xe000, v6
	v_lshrrev_b16_e32 v6, 8, v6
	v_bitop3_b16 v5, v5, v6, s26 bitop3:0xec
	v_and_b32_e32 v3, 0xf0f0f0f, v3
	v_add_u16_e32 v2, 0xe000, v2
	v_add_u16_sdwa v5, v5, s25 dst_sel:WORD_1 dst_unused:UNUSED_PAD src0_sel:DWORD src1_sel:DWORD
	s_nop 0
	v_or_b32_e32 v5, v2, v5
	v_and_or_b32 v2, v4, s6, v3
	v_lshlrev_b16_e32 v3, 8, v2
	v_add_u16_e32 v3, 0xe000, v3
	v_lshrrev_b16_e32 v3, 8, v3
	v_lshrrev_b32_e32 v4, 16, v2
	v_bitop3_b16 v2, v2, v3, s26 bitop3:0xec
	v_add_u16_e32 v6, 0xe000, v2
	v_lshlrev_b16_e32 v2, 8, v4
	v_add_u16_e32 v7, 0xe000, v2
	v_lshl_add_u64 v[2:3], v[96:97], 0, s[18:19]
	global_load_dword v11, v[2:3], off
	v_lshl_add_u64 v[2:3], v[94:95], 0, s[18:19]
	v_lshrrev_b16_e32 v7, 8, v7
	global_load_dword v12, v[2:3], off
	v_bitop3_b16 v2, v4, v7, s26 bitop3:0xec
	v_add_u16_sdwa v2, v2, s25 dst_sel:WORD_1 dst_unused:UNUSED_PAD src0_sel:DWORD src1_sel:DWORD
	s_waitcnt vmcnt(5)
	v_lshrrev_b32_e32 v3, 4, v10
	v_or_b32_e32 v2, v6, v2
	s_waitcnt vmcnt(4)
	v_ashrrev_i32_e32 v4, v144, v13
	ds_write2_b32 v36, v5, v2 offset1:16
	v_and_b32_e32 v2, 0xf0f0f0f, v10
	v_lshlrev_b32_e32 v5, 4, v4
	v_and_or_b32 v2, v5, s6, v2
	v_lshlrev_b16_e32 v6, 8, v2
	v_add_u16_e32 v6, 0xe000, v6
	v_lshrrev_b32_e32 v5, 16, v2
	v_lshrrev_b16_e32 v6, 8, v6
	v_bitop3_b16 v2, v2, v6, s26 bitop3:0xec
	v_lshlrev_b16_e32 v6, 8, v5
	v_add_u16_e32 v6, 0xe000, v6
	v_lshrrev_b16_e32 v6, 8, v6
	v_bitop3_b16 v5, v5, v6, s26 bitop3:0xec
	v_and_b32_e32 v3, 0xf0f0f0f, v3
	v_add_u16_e32 v2, 0xe000, v2
	v_add_u16_sdwa v5, v5, s25 dst_sel:WORD_1 dst_unused:UNUSED_PAD src0_sel:DWORD src1_sel:DWORD
	s_nop 0
	v_or_b32_e32 v5, v2, v5
	v_and_or_b32 v2, v4, s6, v3
	v_lshlrev_b16_e32 v3, 8, v2
	v_add_u16_e32 v3, 0xe000, v3
	v_lshrrev_b16_e32 v3, 8, v3
	v_lshrrev_b32_e32 v4, 16, v2
	v_bitop3_b16 v2, v2, v3, s26 bitop3:0xec
	v_add_u16_e32 v6, 0xe000, v2
	v_lshlrev_b16_e32 v2, 8, v4
	v_add_u16_e32 v7, 0xe000, v2
	v_lshl_add_u64 v[2:3], v[100:101], 0, s[18:19]
	global_load_dword v10, v[2:3], off
	v_lshl_add_u64 v[2:3], v[98:99], 0, s[18:19]
	global_load_dword v13, v[2:3], off
	v_lshrrev_b16_e32 v7, 8, v7
	v_bitop3_b16 v2, v4, v7, s26 bitop3:0xec
	v_add_u16_sdwa v2, v2, s25 dst_sel:WORD_1 dst_unused:UNUSED_PAD src0_sel:DWORD src1_sel:DWORD
	s_waitcnt vmcnt(5)
	v_lshrrev_b32_e32 v3, 4, v8
	v_or_b32_e32 v2, v6, v2
	s_waitcnt vmcnt(4)
	v_ashrrev_i32_e32 v4, v144, v9
	ds_write2_b32 v38, v5, v2 offset1:16
	v_and_b32_e32 v2, 0xf0f0f0f, v8
	v_lshlrev_b32_e32 v5, 4, v4
	v_and_or_b32 v2, v5, s6, v2
	v_lshlrev_b16_e32 v6, 8, v2
	v_add_u16_e32 v6, 0xe000, v6
	v_lshrrev_b32_e32 v5, 16, v2
	v_lshrrev_b16_e32 v6, 8, v6
	v_bitop3_b16 v2, v2, v6, s26 bitop3:0xec
	v_lshlrev_b16_e32 v6, 8, v5
	v_add_u16_e32 v6, 0xe000, v6
	v_lshrrev_b16_e32 v6, 8, v6
	v_bitop3_b16 v5, v5, v6, s26 bitop3:0xec
	v_and_b32_e32 v3, 0xf0f0f0f, v3
	v_add_u16_e32 v2, 0xe000, v2
	v_add_u16_sdwa v5, v5, s25 dst_sel:WORD_1 dst_unused:UNUSED_PAD src0_sel:DWORD src1_sel:DWORD
	s_nop 0
	v_or_b32_e32 v5, v2, v5
	v_and_or_b32 v2, v4, s6, v3
	v_lshlrev_b16_e32 v3, 8, v2
	v_add_u16_e32 v3, 0xe000, v3
	v_lshrrev_b16_e32 v3, 8, v3
	v_lshrrev_b32_e32 v4, 16, v2
	v_bitop3_b16 v2, v2, v3, s26 bitop3:0xec
	v_add_u16_e32 v6, 0xe000, v2
	v_lshlrev_b16_e32 v2, 8, v4
	v_add_u16_e32 v7, 0xe000, v2
	v_lshl_add_u64 v[2:3], v[106:107], 0, s[18:19]
	global_load_dword v8, v[2:3], off
	v_lshl_add_u64 v[2:3], v[104:105], 0, s[18:19]
	global_load_dword v9, v[2:3], off
	v_lshrrev_b16_e32 v7, 8, v7
	v_bitop3_b16 v2, v4, v7, s26 bitop3:0xec
	v_add_u16_sdwa v2, v2, s25 dst_sel:WORD_1 dst_unused:UNUSED_PAD src0_sel:DWORD src1_sel:DWORD
	s_waitcnt vmcnt(5)
	v_lshrrev_b32_e32 v3, 4, v11
	v_or_b32_e32 v2, v6, v2
	ds_write2_b32 v40, v5, v2 offset1:16
	s_waitcnt vmcnt(4)
	v_ashrrev_i32_e32 v4, v144, v12
	v_and_b32_e32 v2, 0xf0f0f0f, v11
	v_lshlrev_b32_e32 v5, 4, v4
	v_and_or_b32 v2, v5, s6, v2
	v_lshlrev_b16_e32 v6, 8, v2
	v_add_u16_e32 v6, 0xe000, v6
	v_lshrrev_b32_e32 v5, 16, v2
	v_lshrrev_b16_e32 v6, 8, v6
	v_bitop3_b16 v2, v2, v6, s26 bitop3:0xec
	v_lshlrev_b16_e32 v6, 8, v5
	v_add_u16_e32 v6, 0xe000, v6
	v_lshrrev_b16_e32 v6, 8, v6
	v_bitop3_b16 v5, v5, v6, s26 bitop3:0xec
	v_and_b32_e32 v3, 0xf0f0f0f, v3
	v_add_u16_e32 v2, 0xe000, v2
	v_add_u16_sdwa v5, v5, s25 dst_sel:WORD_1 dst_unused:UNUSED_PAD src0_sel:DWORD src1_sel:DWORD
	s_nop 0
	v_or_b32_e32 v5, v2, v5
	v_and_or_b32 v2, v4, s6, v3
	v_lshlrev_b16_e32 v3, 8, v2
	v_add_u16_e32 v3, 0xe000, v3
	v_lshrrev_b16_e32 v3, 8, v3
	v_lshrrev_b32_e32 v4, 16, v2
	v_bitop3_b16 v2, v2, v3, s26 bitop3:0xec
	v_add_u16_e32 v6, 0xe000, v2
	v_lshlrev_b16_e32 v2, 8, v4
	v_add_u16_e32 v7, 0xe000, v2
	v_lshl_add_u64 v[2:3], v[110:111], 0, s[18:19]
	global_load_dword v11, v[2:3], off
	v_lshl_add_u64 v[2:3], v[108:109], 0, s[18:19]
	v_lshrrev_b16_e32 v7, 8, v7
	global_load_dword v12, v[2:3], off
	v_bitop3_b16 v2, v4, v7, s26 bitop3:0xec
	v_add_u16_sdwa v2, v2, s25 dst_sel:WORD_1 dst_unused:UNUSED_PAD src0_sel:DWORD src1_sel:DWORD
	s_waitcnt vmcnt(5)
	v_lshrrev_b32_e32 v3, 4, v10
	v_or_b32_e32 v2, v6, v2
	s_waitcnt vmcnt(4)
	v_ashrrev_i32_e32 v4, v144, v13
	ds_write2_b32 v42, v5, v2 offset1:16
	v_and_b32_e32 v2, 0xf0f0f0f, v10
	v_lshlrev_b32_e32 v5, 4, v4
	v_and_or_b32 v2, v5, s6, v2
	v_lshlrev_b16_e32 v6, 8, v2
	v_add_u16_e32 v6, 0xe000, v6
	v_lshrrev_b32_e32 v5, 16, v2
	v_lshrrev_b16_e32 v6, 8, v6
	v_bitop3_b16 v2, v2, v6, s26 bitop3:0xec
	v_lshlrev_b16_e32 v6, 8, v5
	v_add_u16_e32 v6, 0xe000, v6
	v_lshrrev_b16_e32 v6, 8, v6
	v_bitop3_b16 v5, v5, v6, s26 bitop3:0xec
	v_and_b32_e32 v3, 0xf0f0f0f, v3
	v_add_u16_e32 v2, 0xe000, v2
	v_add_u16_sdwa v5, v5, s25 dst_sel:WORD_1 dst_unused:UNUSED_PAD src0_sel:DWORD src1_sel:DWORD
	s_nop 0
	v_or_b32_e32 v5, v2, v5
	v_and_or_b32 v2, v4, s6, v3
	v_lshlrev_b16_e32 v3, 8, v2
	v_add_u16_e32 v3, 0xe000, v3
	v_lshrrev_b16_e32 v3, 8, v3
	v_lshrrev_b32_e32 v4, 16, v2
	v_bitop3_b16 v2, v2, v3, s26 bitop3:0xec
	v_add_u16_e32 v6, 0xe000, v2
	v_lshlrev_b16_e32 v2, 8, v4
	v_add_u16_e32 v7, 0xe000, v2
	v_lshl_add_u64 v[2:3], v[114:115], 0, s[18:19]
	global_load_dword v10, v[2:3], off
	v_lshl_add_u64 v[2:3], v[112:113], 0, s[18:19]
	global_load_dword v13, v[2:3], off
	v_lshrrev_b16_e32 v7, 8, v7
	v_bitop3_b16 v2, v4, v7, s26 bitop3:0xec
	v_add_u16_sdwa v2, v2, s25 dst_sel:WORD_1 dst_unused:UNUSED_PAD src0_sel:DWORD src1_sel:DWORD
	s_waitcnt vmcnt(5)
	v_lshrrev_b32_e32 v3, 4, v8
	v_or_b32_e32 v2, v6, v2
	s_waitcnt vmcnt(4)
	v_ashrrev_i32_e32 v4, v144, v9
	ds_write2_b32 v44, v5, v2 offset1:16
	v_and_b32_e32 v2, 0xf0f0f0f, v8
	v_lshlrev_b32_e32 v5, 4, v4
	v_and_or_b32 v2, v5, s6, v2
	v_lshlrev_b16_e32 v6, 8, v2
	v_add_u16_e32 v6, 0xe000, v6
	v_lshrrev_b32_e32 v5, 16, v2
	v_lshrrev_b16_e32 v6, 8, v6
	v_bitop3_b16 v2, v2, v6, s26 bitop3:0xec
	v_lshlrev_b16_e32 v6, 8, v5
	v_add_u16_e32 v6, 0xe000, v6
	v_lshrrev_b16_e32 v6, 8, v6
	v_bitop3_b16 v5, v5, v6, s26 bitop3:0xec
	v_and_b32_e32 v3, 0xf0f0f0f, v3
	v_add_u16_e32 v2, 0xe000, v2
	v_add_u16_sdwa v5, v5, s25 dst_sel:WORD_1 dst_unused:UNUSED_PAD src0_sel:DWORD src1_sel:DWORD
	s_nop 0
	v_or_b32_e32 v5, v2, v5
	v_and_or_b32 v2, v4, s6, v3
	v_lshlrev_b16_e32 v3, 8, v2
	v_add_u16_e32 v3, 0xe000, v3
	v_lshrrev_b16_e32 v3, 8, v3
	v_lshrrev_b32_e32 v4, 16, v2
	v_bitop3_b16 v2, v2, v3, s26 bitop3:0xec
	v_add_u16_e32 v6, 0xe000, v2
	v_lshlrev_b16_e32 v2, 8, v4
	v_add_u16_e32 v7, 0xe000, v2
	v_lshl_add_u64 v[2:3], v[118:119], 0, s[18:19]
	global_load_dword v8, v[2:3], off
	v_lshl_add_u64 v[2:3], v[116:117], 0, s[18:19]
	global_load_dword v9, v[2:3], off
	v_lshrrev_b16_e32 v7, 8, v7
	v_bitop3_b16 v2, v4, v7, s26 bitop3:0xec
	v_add_u16_sdwa v2, v2, s25 dst_sel:WORD_1 dst_unused:UNUSED_PAD src0_sel:DWORD src1_sel:DWORD
	s_waitcnt vmcnt(5)
	v_lshrrev_b32_e32 v3, 4, v11
	v_or_b32_e32 v2, v6, v2
	ds_write2_b32 v46, v5, v2 offset1:16
	s_waitcnt vmcnt(4)
	v_ashrrev_i32_e32 v4, v144, v12
	v_and_b32_e32 v2, 0xf0f0f0f, v11
	v_lshlrev_b32_e32 v5, 4, v4
	v_and_or_b32 v2, v5, s6, v2
	v_lshlrev_b16_e32 v6, 8, v2
	v_add_u16_e32 v6, 0xe000, v6
	v_lshrrev_b32_e32 v5, 16, v2
	v_lshrrev_b16_e32 v6, 8, v6
	v_bitop3_b16 v2, v2, v6, s26 bitop3:0xec
	v_lshlrev_b16_e32 v6, 8, v5
	v_add_u16_e32 v6, 0xe000, v6
	v_lshrrev_b16_e32 v6, 8, v6
	v_bitop3_b16 v5, v5, v6, s26 bitop3:0xec
	v_and_b32_e32 v3, 0xf0f0f0f, v3
	v_add_u16_e32 v2, 0xe000, v2
	v_add_u16_sdwa v5, v5, s25 dst_sel:WORD_1 dst_unused:UNUSED_PAD src0_sel:DWORD src1_sel:DWORD
	s_nop 0
	v_or_b32_e32 v5, v2, v5
	v_and_or_b32 v2, v4, s6, v3
	v_lshlrev_b16_e32 v4, 8, v2
	v_add_u16_e32 v4, 0xe000, v4
	v_lshrrev_b16_e32 v4, 8, v4
	v_lshrrev_b32_e32 v3, 16, v2
	v_bitop3_b16 v2, v2, v4, s26 bitop3:0xec
	v_add_u16_e32 v4, 0xe000, v2
	v_lshlrev_b16_e32 v2, 8, v3
	v_add_u16_e32 v2, 0xe000, v2
	v_lshrrev_b16_e32 v2, 8, v2
	v_bitop3_b16 v6, v3, v2, s26 bitop3:0xec
	v_lshl_add_u64 v[2:3], v[122:123], 0, s[18:19]
	global_load_dword v7, v[2:3], off
	v_lshl_add_u64 v[2:3], v[120:121], 0, s[18:19]
	v_add_u16_sdwa v6, v6, s25 dst_sel:WORD_1 dst_unused:UNUSED_PAD src0_sel:DWORD src1_sel:DWORD
	global_load_dword v11, v[2:3], off
	v_or_b32_e32 v2, v4, v6
	ds_write2_b32 v48, v5, v2 offset1:16
	s_waitcnt vmcnt(4)
	v_ashrrev_i32_e32 v4, v144, v13
	v_and_b32_e32 v2, 0xf0f0f0f, v10
	v_lshlrev_b32_e32 v5, 4, v4
	v_and_or_b32 v2, v5, s6, v2
	v_lshlrev_b16_e32 v6, 8, v2
	v_add_u16_e32 v6, 0xe000, v6
	v_lshrrev_b32_e32 v5, 16, v2
	v_lshrrev_b16_e32 v6, 8, v6
	v_bitop3_b16 v2, v2, v6, s26 bitop3:0xec
	v_lshlrev_b16_e32 v6, 8, v5
	v_add_u16_e32 v6, 0xe000, v6
	v_lshrrev_b16_e32 v6, 8, v6
	v_lshrrev_b32_e32 v3, 4, v10
	v_bitop3_b16 v5, v5, v6, s26 bitop3:0xec
	v_and_b32_e32 v3, 0xf0f0f0f, v3
	v_add_u16_e32 v2, 0xe000, v2
	v_add_u16_sdwa v5, v5, s25 dst_sel:WORD_1 dst_unused:UNUSED_PAD src0_sel:DWORD src1_sel:DWORD
	s_nop 0
	v_or_b32_e32 v5, v2, v5
	v_and_or_b32 v2, v4, s6, v3
	v_lshlrev_b16_e32 v3, 8, v2
	v_add_u16_e32 v3, 0xe000, v3
	v_lshrrev_b16_e32 v3, 8, v3
	v_lshrrev_b32_e32 v4, 16, v2
	v_bitop3_b16 v2, v2, v3, s26 bitop3:0xec
	v_add_u16_e32 v6, 0xe000, v2
	v_lshl_add_u64 v[2:3], v[126:127], 0, s[18:19]
	global_load_dword v10, v[2:3], off
	v_lshlrev_b16_e32 v12, 8, v4
	v_lshl_add_u64 v[2:3], v[124:125], 0, s[18:19]
	global_load_dword v13, v[2:3], off
	v_add_u16_e32 v2, 0xe000, v12
	v_lshrrev_b16_e32 v2, 8, v2
	v_bitop3_b16 v2, v4, v2, s26 bitop3:0xec
	v_add_u16_sdwa v2, v2, s25 dst_sel:WORD_1 dst_unused:UNUSED_PAD src0_sel:DWORD src1_sel:DWORD
	s_waitcnt vmcnt(5)
	v_lshrrev_b32_e32 v3, 4, v8
	v_or_b32_e32 v2, v6, v2
	ds_write2_b32 v50, v5, v2 offset1:16
	s_waitcnt vmcnt(4)
	v_ashrrev_i32_e32 v5, v144, v9
	v_and_b32_e32 v2, 0xf0f0f0f, v8
	v_and_b32_e32 v4, 0xf0f0f0f, v3
	v_lshlrev_b32_e32 v3, 4, v5
	v_and_or_b32 v2, v3, s6, v2
	v_lshlrev_b16_e32 v6, 8, v2
	v_add_u16_e32 v6, 0xe000, v6
	v_lshrrev_b32_e32 v3, 16, v2
	v_lshrrev_b16_e32 v6, 8, v6
	v_bitop3_b16 v2, v2, v6, s26 bitop3:0xec
	v_lshlrev_b16_e32 v6, 8, v3
	v_add_u16_e32 v6, 0xe000, v6
	v_lshrrev_b16_e32 v6, 8, v6
	v_bitop3_b16 v3, v3, v6, s26 bitop3:0xec
	v_add_u16_e32 v2, 0xe000, v2
	v_add_u16_sdwa v3, v3, s25 dst_sel:WORD_1 dst_unused:UNUSED_PAD src0_sel:DWORD src1_sel:DWORD
	v_and_or_b32 v4, v5, s6, v4
	v_or_b32_e32 v6, v2, v3
	v_lshl_add_u64 v[2:3], v[128:129], 0, s[18:19]
	global_load_ushort v8, v[2:3], off
	v_lshl_add_u64 v[2:3], v[130:131], 0, s[18:19]
	global_load_dword v12, v[2:3], off
	v_lshl_add_u64 v[2:3], v[132:133], 0, s[18:19]
	global_load_dword v2, v[2:3], off
	v_lshlrev_b16_e32 v9, 8, v4
	v_add_u16_e32 v9, 0xe000, v9
	v_lshrrev_b32_e32 v5, 16, v4
	v_lshrrev_b16_e32 v3, 8, v9
	v_bitop3_b16 v3, v4, v3, s26 bitop3:0xec
	v_lshlrev_b16_e32 v4, 8, v5
	v_add_u16_e32 v4, 0xe000, v4
	v_lshrrev_b16_e32 v4, 8, v4
	v_bitop3_b16 v4, v5, v4, s26 bitop3:0xec
	v_add_u16_e32 v3, 0xe000, v3
	v_add_u16_sdwa v4, v4, s25 dst_sel:WORD_1 dst_unused:UNUSED_PAD src0_sel:DWORD src1_sel:DWORD
	s_waitcnt vmcnt(5)
	v_ashrrev_i32_e32 v5, v144, v11
	v_or_b32_e32 v3, v3, v4
	ds_write2_b32 v52, v6, v3 offset1:16
	v_and_b32_e32 v3, 0xf0f0f0f, v7
	v_lshlrev_b32_e32 v6, 4, v5
	v_and_or_b32 v3, v6, s6, v3
	v_lshrrev_b32_e32 v4, 4, v7
	v_lshlrev_b16_e32 v7, 8, v3
	v_add_u16_e32 v7, 0xe000, v7
	v_lshrrev_b32_e32 v6, 16, v3
	v_lshrrev_b16_e32 v7, 8, v7
	v_bitop3_b16 v3, v3, v7, s26 bitop3:0xec
	v_lshlrev_b16_e32 v7, 8, v6
	v_add_u16_e32 v7, 0xe000, v7
	v_lshrrev_b16_e32 v7, 8, v7
	v_and_b32_e32 v4, 0xf0f0f0f, v4
	v_bitop3_b16 v6, v6, v7, s26 bitop3:0xec
	v_add_u16_e32 v3, 0xe000, v3
	v_add_u16_sdwa v6, v6, s25 dst_sel:WORD_1 dst_unused:UNUSED_PAD src0_sel:DWORD src1_sel:DWORD
	v_and_or_b32 v4, v5, s6, v4
	v_or_b32_e32 v3, v3, v6
	v_lshlrev_b16_e32 v6, 8, v4
	v_add_u16_e32 v6, 0xe000, v6
	v_lshrrev_b32_e32 v5, 16, v4
	v_lshrrev_b16_e32 v6, 8, v6
	v_bitop3_b16 v4, v4, v6, s26 bitop3:0xec
	v_lshlrev_b16_e32 v6, 8, v5
	v_add_u16_e32 v6, 0xe000, v6
	v_lshrrev_b16_e32 v6, 8, v6
	v_bitop3_b16 v5, v5, v6, s26 bitop3:0xec
	v_add_u16_e32 v4, 0xe000, v4
	v_add_u16_sdwa v5, v5, s25 dst_sel:WORD_1 dst_unused:UNUSED_PAD src0_sel:DWORD src1_sel:DWORD
	s_nop 0
	v_or_b32_e32 v4, v4, v5
	s_waitcnt vmcnt(3)
	v_ashrrev_i32_e32 v5, v144, v13
	ds_write2_b32 v54, v3, v4 offset1:16
	v_and_b32_e32 v3, 0xf0f0f0f, v10
	v_lshlrev_b32_e32 v6, 4, v5
	v_and_or_b32 v3, v6, s6, v3
	v_lshlrev_b16_e32 v7, 8, v3
	v_add_u16_e32 v7, 0xe000, v7
	v_lshrrev_b32_e32 v6, 16, v3
	v_lshrrev_b16_e32 v7, 8, v7
	v_bitop3_b16 v3, v3, v7, s26 bitop3:0xec
	v_lshlrev_b16_e32 v7, 8, v6
	v_add_u16_e32 v7, 0xe000, v7
	v_lshrrev_b32_e32 v4, 4, v10
	v_lshrrev_b16_e32 v7, 8, v7
	v_and_b32_e32 v4, 0xf0f0f0f, v4
	v_bitop3_b16 v6, v6, v7, s26 bitop3:0xec
	v_add_u16_e32 v3, 0xe000, v3
	v_add_u16_sdwa v6, v6, s25 dst_sel:WORD_1 dst_unused:UNUSED_PAD src0_sel:DWORD src1_sel:DWORD
	v_and_or_b32 v4, v5, s6, v4
	v_or_b32_e32 v3, v3, v6
	v_lshlrev_b16_e32 v6, 8, v4
	v_add_u16_e32 v6, 0xe000, v6
	v_lshrrev_b32_e32 v5, 16, v4
	v_lshrrev_b16_e32 v6, 8, v6
	v_bitop3_b16 v4, v4, v6, s26 bitop3:0xec
	v_lshlrev_b16_e32 v6, 8, v5
	v_add_u16_e32 v6, 0xe000, v6
	v_lshrrev_b16_e32 v6, 8, v6
	v_bitop3_b16 v5, v5, v6, s26 bitop3:0xec
	s_waitcnt vmcnt(2)
	v_cvt_f32_f16_e32 v6, v8
	v_add_u16_e32 v4, 0xe000, v4
	v_add_u16_sdwa v5, v5, s25 dst_sel:WORD_1 dst_unused:UNUSED_PAD src0_sel:DWORD src1_sel:DWORD
	s_nop 0
	v_or_b32_e32 v4, v4, v5
	ds_write2_b32 v56, v3, v4 offset1:16
	ds_write_b32 v27, v6
	s_waitcnt vmcnt(1)
	ds_write_b32 v55, v12
	s_waitcnt vmcnt(0)
	ds_write_b32 v57, v2
	s_cbranch_scc0 .LBB236_5
; %bb.7:                                ;   in Loop: Header=BB236_6 Depth=1
	v_cmp_gt_i32_e64 s[2:3], s8, v35
	s_and_b64 s[22:23], s[0:1], s[2:3]
	s_and_saveexec_b64 s[2:3], s[22:23]
	s_cbranch_execz .LBB236_9
; %bb.8:                                ;   in Loop: Header=BB236_6 Depth=1
	v_add_u32_e32 v2, v60, v35
	v_mad_i64_i32 v[2:3], s[22:23], v2, 36, v[58:59]
	global_load_dword v2, v[2:3], off offset:4
	s_waitcnt vmcnt(0)
	ds_write_b32 v137, v2
.LBB236_9:                              ;   in Loop: Header=BB236_6 Depth=1
	s_or_b64 exec, exec, s[2:3]
	v_cmp_gt_i32_e64 s[2:3], s8, v24
	s_and_b64 s[22:23], s[20:21], s[2:3]
	s_and_saveexec_b64 s[2:3], s[22:23]
	s_cbranch_execz .LBB236_11
; %bb.10:                               ;   in Loop: Header=BB236_6 Depth=1
	v_add_u32_e32 v2, v60, v24
	v_mad_i64_i32 v[2:3], s[22:23], v2, 36, s[14:15]
	global_load_dword v2, v[2:3], off
	v_add_u32_e32 v3, v29, v33
	s_waitcnt vmcnt(0)
	v_cvt_f32_f16_e32 v2, v2
	ds_write_b32 v3, v2
.LBB236_11:                             ;   in Loop: Header=BB236_6 Depth=1
	s_or_b64 exec, exec, s[2:3]
	s_waitcnt lgkmcnt(0)
	s_barrier
	ds_read_b128 v[2:5], v31
	ds_read_b128 v[6:9], v31 offset:16
	ds_read_b128 v[10:13], v31 offset:32
	;; [unrolled: 1-line block ×3, first 2 shown]
	ds_read2_b32 v[18:19], v145 offset0:12 offset1:13
	ds_read2_b32 v[20:21], v145 offset0:6 offset1:7
	;; [unrolled: 1-line block ×4, first 2 shown]
	ds_read2_b32 v[140:141], v145 offset1:1
	ds_read2_b32 v[142:143], v145 offset0:14 offset1:15
	ds_read2_b32 v[146:147], v145 offset0:10 offset1:11
	v_mov_b32_e32 v155, 0
	v_mov_b32_e32 v156, 0
	;; [unrolled: 1-line block ×3, first 2 shown]
	s_waitcnt lgkmcnt(4)
	v_dot4c_i32_i8_e32 v155, v134, v6
	s_waitcnt lgkmcnt(2)
	v_dot4c_i32_i8_e32 v156, v140, v2
	v_dot4c_i32_i8_e32 v25, v18, v14
	ds_read2_b32 v[148:149], v145 offset0:8 offset1:9
	v_dot4c_i32_i8_e32 v155, v135, v7
	v_dot4c_i32_i8_e32 v156, v141, v3
	;; [unrolled: 1-line block ×5, first 2 shown]
	v_add_u32_e32 v18, 0x2098, v145
	v_add_u32_e32 v20, 0x2090, v145
	;; [unrolled: 1-line block ×5, first 2 shown]
	s_waitcnt lgkmcnt(2)
	v_dot4c_i32_i8_e32 v25, v142, v16
	v_dot4c_i32_i8_e32 v155, v21, v9
	;; [unrolled: 1-line block ×3, first 2 shown]
	ds_read2_b32 v[18:19], v18 offset1:1
	ds_read2_b32 v[20:21], v20 offset1:1
	;; [unrolled: 1-line block ×5, first 2 shown]
	v_add_u32_e32 v136, 0x20b0, v145
	v_dot4c_i32_i8_e32 v25, v143, v17
	ds_read2_b32 v[142:143], v136 offset1:1
	v_mov_b32_e32 v154, 0
	s_waitcnt lgkmcnt(6)
	v_dot4c_i32_i8_e32 v154, v148, v10
	v_dot4c_i32_i8_e32 v154, v149, v11
	;; [unrolled: 1-line block ×3, first 2 shown]
	v_mov_b32_e32 v157, 0
	v_add_u32_e32 v136, 0x20a8, v145
	v_add_u32_e32 v148, 0x20a0, v145
	;; [unrolled: 1-line block ×3, first 2 shown]
	v_mov_b32_e32 v159, 0
	v_mov_b32_e32 v160, 0
	v_dot4c_i32_i8_e32 v154, v147, v13
	ds_read2_b32 v[146:147], v136 offset1:1
	ds_read2_b32 v[148:149], v148 offset1:1
	;; [unrolled: 1-line block ×3, first 2 shown]
	s_waitcnt lgkmcnt(3)
	v_dot4c_i32_i8_e32 v157, v142, v14
	v_dot4c_i32_i8_e32 v159, v20, v6
	;; [unrolled: 1-line block ×9, first 2 shown]
	v_add_u32_e32 v18, 0x4110, v145
	v_add_u32_e32 v20, 0x4108, v145
	;; [unrolled: 1-line block ×4, first 2 shown]
	v_dot4c_i32_i8_e32 v157, v141, v17
	v_mov_b32_e32 v158, 0
	ds_read_b32 v136, v53 offset:384
	v_dot4c_i32_i8_e32 v159, v19, v9
	v_dot4c_i32_i8_e32 v160, v135, v5
	ds_read_b32 v135, v49 offset:256
	ds_read2_b32 v[18:19], v18 offset1:1
	ds_read2_b32 v[20:21], v20 offset1:1
	;; [unrolled: 1-line block ×4, first 2 shown]
	v_add_u32_e32 v134, 0x4130, v145
	s_waitcnt lgkmcnt(7)
	v_dot4c_i32_i8_e32 v158, v148, v10
	ds_read2_b32 v[142:143], v134 offset1:1
	v_dot4c_i32_i8_e32 v158, v149, v11
	v_dot4c_i32_i8_e32 v158, v146, v12
	v_add_u32_e32 v134, 0x4128, v145
	v_add_u32_e32 v148, 0x4120, v145
	;; [unrolled: 1-line block ×3, first 2 shown]
	v_dot4c_i32_i8_e32 v158, v147, v13
	ds_read2_b32 v[146:147], v134 offset1:1
	ds_read2_b32 v[148:149], v148 offset1:1
	;; [unrolled: 1-line block ×3, first 2 shown]
	v_mov_b32_e32 v161, 0
	v_mov_b32_e32 v164, 0
	s_waitcnt lgkmcnt(3)
	v_dot4c_i32_i8_e32 v161, v142, v14
	v_dot4c_i32_i8_e32 v164, v138, v2
	;; [unrolled: 1-line block ×3, first 2 shown]
	v_mov_b32_e32 v162, 0
	v_mov_b32_e32 v163, 0
	v_dot4c_i32_i8_e32 v164, v139, v3
	v_dot4c_i32_i8_e32 v161, v140, v16
	s_waitcnt lgkmcnt(1)
	v_dot4c_i32_i8_e32 v162, v148, v10
	v_dot4c_i32_i8_e32 v163, v18, v6
	;; [unrolled: 1-line block ×3, first 2 shown]
	v_add_u32_e32 v18, 0x6190, v145
	v_add_u32_e32 v20, 0x6188, v145
	;; [unrolled: 1-line block ×4, first 2 shown]
	v_dot4c_i32_i8_e32 v161, v141, v17
	v_dot4c_i32_i8_e32 v162, v149, v11
	;; [unrolled: 1-line block ×4, first 2 shown]
	ds_read2_b32 v[18:19], v18 offset1:1
	ds_read2_b32 v[20:21], v20 offset1:1
	;; [unrolled: 1-line block ×4, first 2 shown]
	v_add_u32_e32 v134, 0x61b0, v145
	v_dot4c_i32_i8_e32 v162, v146, v12
	v_dot4c_i32_i8_e32 v163, v150, v8
	ds_read2_b32 v[142:143], v134 offset1:1
	v_add_u32_e32 v134, 0x61a8, v145
	v_add_u32_e32 v148, 0x61a0, v145
	;; [unrolled: 1-line block ×3, first 2 shown]
	v_dot4c_i32_i8_e32 v162, v147, v13
	v_dot4c_i32_i8_e32 v163, v151, v9
	ds_read2_b32 v[146:147], v134 offset1:1
	ds_read2_b32 v[148:149], v148 offset1:1
	;; [unrolled: 1-line block ×3, first 2 shown]
	v_mov_b32_e32 v170, 0
	v_mov_b32_e32 v171, 0
	;; [unrolled: 1-line block ×4, first 2 shown]
	s_waitcnt lgkmcnt(3)
	v_dot4c_i32_i8_e32 v170, v142, v14
	s_waitcnt lgkmcnt(1)
	v_dot4c_i32_i8_e32 v171, v148, v10
	v_dot4c_i32_i8_e32 v172, v18, v6
	;; [unrolled: 1-line block ×15, first 2 shown]
	ds_read_b128 v[10:13], v31 offset:80
	ds_read_b128 v[6:9], v31 offset:64
	;; [unrolled: 1-line block ×4, first 2 shown]
	ds_read2_b32 v[2:3], v145 offset0:30 offset1:31
	ds_read2_b32 v[4:5], v145 offset0:28 offset1:29
	;; [unrolled: 1-line block ×6, first 2 shown]
	v_mov_b32_e32 v174, 0
	s_waitcnt lgkmcnt(4)
	v_dot4c_i32_i8_e32 v174, v4, v18
	v_dot4c_i32_i8_e32 v174, v5, v19
	;; [unrolled: 1-line block ×3, first 2 shown]
	ds_read2_b32 v[148:149], v145 offset0:26 offset1:27
	v_dot4c_i32_i8_e32 v174, v3, v21
	ds_read_b128 v[2:5], v33 offset:36944
	ds_read2_b32 v[152:153], v37 offset1:1
	v_mov_b32_e32 v175, 0
	s_waitcnt lgkmcnt(5)
	v_dot4c_i32_i8_e32 v175, v140, v10
	v_dot4c_i32_i8_e32 v175, v141, v11
	;; [unrolled: 1-line block ×3, first 2 shown]
	s_waitcnt lgkmcnt(0)
	v_ashrrev_i32_e32 v134, 24, v152
	v_bfe_i32 v138, v152, 8, 8
	v_dot4c_i32_i8_e32 v175, v139, v13
	v_mov_b32_e32 v176, 0
	v_bfe_i32 v140, v152, 16, 8
	v_bfe_i32 v139, v152, 0, 8
	v_mul_lo_u32 v134, v25, v134
	v_mul_lo_u32 v138, v155, v138
	v_dot4c_i32_i8_e32 v176, v146, v6
	v_mad_u64_u32 v[138:139], s[2:3], v156, v139, v[138:139]
	v_mad_u64_u32 v[140:141], s[2:3], v154, v140, v[134:135]
	v_dot4c_i32_i8_e32 v176, v147, v7
	v_cvt_f32_i32_e32 v147, v140
	v_cvt_f32_i32_e32 v146, v138
	ds_read_b32 v25, v39
	ds_read_b32 v134, v45 offset:128
	ds_read2_b32 v[138:139], v47 offset1:1
	ds_read2_b32 v[140:141], v43 offset1:1
	v_dot4c_i32_i8_e32 v176, v142, v8
	v_dot4c_i32_i8_e32 v176, v143, v9
	v_pk_mul_f32 v[142:143], v[2:3], v[146:147]
	s_waitcnt lgkmcnt(1)
	v_bfe_i32 v154, v138, 0, 8
	v_add_f32_e32 v152, 0, v142
	s_waitcnt lgkmcnt(0)
	v_bfe_i32 v146, v140, 8, 8
	v_bfe_i32 v142, v138, 8, 8
	v_mul_lo_u32 v142, v163, v142
	v_mul_lo_u32 v146, v159, v146
	v_bfe_i32 v147, v140, 0, 8
	v_mad_u64_u32 v[146:147], s[2:3], v160, v147, v[146:147]
	v_mad_u64_u32 v[154:155], s[2:3], v164, v154, v[142:143]
	v_cvt_f32_i32_e32 v147, v154
	v_bfe_i32 v142, v138, 16, 8
	v_bfe_i32 v154, v140, 16, 8
	v_ashrrev_i32_e32 v140, 24, v140
	v_ashrrev_i32_e32 v138, 24, v138
	v_mul_lo_u32 v138, v161, v138
	v_mul_lo_u32 v140, v157, v140
	v_cvt_f32_i32_e32 v146, v146
	v_mad_u64_u32 v[154:155], s[2:3], v158, v154, v[140:141]
	v_mad_u64_u32 v[156:157], s[2:3], v162, v142, v[138:139]
	v_cvt_f32_i32_e32 v155, v156
	v_cvt_f32_i32_e32 v154, v154
	v_add_f32_e32 v138, v152, v143
	v_pk_fma_f32 v[142:143], v[2:3], v[146:147], 0 op_sel_hi:[0,1,0]
	v_add_u32_e32 v140, 0x61d0, v145
	v_add_u32_e32 v158, 0x61c0, v145
	;; [unrolled: 1-line block ×3, first 2 shown]
	v_pk_fma_f32 v[142:143], v[2:3], v[154:155], v[142:143] op_sel:[1,0,0]
	ds_read2_b32 v[146:147], v51 offset1:1
	v_add_u32_e32 v152, 0x61c8, v145
	ds_read2_b32 v[154:155], v140 offset1:1
	ds_read2_b32 v[156:157], v152 offset1:1
	ds_read2_b32 v[158:159], v158 offset1:1
	ds_read2_b32 v[160:161], v160 offset1:1
	v_add_u32_e32 v140, 0x61f0, v145
	ds_read2_b32 v[162:163], v140 offset1:1
	v_add_u32_e32 v140, 0x61e8, v145
	v_add_u32_e32 v166, 0x61e0, v145
	;; [unrolled: 1-line block ×3, first 2 shown]
	ds_read2_b32 v[164:165], v140 offset1:1
	ds_read2_b32 v[166:167], v166 offset1:1
	;; [unrolled: 1-line block ×3, first 2 shown]
	v_mov_b32_e32 v140, 0
	s_waitcnt lgkmcnt(7)
	v_dot4c_i32_i8_e32 v140, v154, v10
	v_mov_b32_e32 v154, 0
	v_dot4c_i32_i8_e32 v140, v155, v11
	s_waitcnt lgkmcnt(5)
	v_dot4c_i32_i8_e32 v154, v158, v6
	v_dot4c_i32_i8_e32 v140, v150, v12
	;; [unrolled: 1-line block ×3, first 2 shown]
	v_mov_b32_e32 v152, 0
	v_dot4c_i32_i8_e32 v140, v151, v13
	v_bfe_i32 v150, v146, 8, 8
	v_bfe_i32 v151, v147, 8, 8
	v_dot4c_i32_i8_e32 v154, v156, v8
	s_waitcnt lgkmcnt(3)
	v_dot4c_i32_i8_e32 v152, v162, v18
	v_mul_lo_u32 v140, v140, v151
	v_mul_lo_u32 v150, v172, v150
	v_dot4c_i32_i8_e32 v154, v157, v9
	v_bfe_i32 v155, v147, 0, 8
	v_bfe_i32 v151, v146, 0, 8
	v_dot4c_i32_i8_e32 v152, v163, v19
	v_mad_u64_u32 v[150:151], s[2:3], v173, v151, v[150:151]
	v_mad_u64_u32 v[154:155], s[2:3], v154, v155, v[140:141]
	v_dot4c_i32_i8_e32 v152, v160, v20
	v_mov_b32_e32 v160, 0
	v_cvt_f32_i32_e32 v151, v154
	v_cvt_f32_i32_e32 v150, v150
	s_waitcnt lgkmcnt(1)
	v_dot4c_i32_i8_e32 v160, v166, v14
	ds_read2_b32 v[156:157], v145 offset0:24 offset1:25
	v_dot4c_i32_i8_e32 v160, v167, v15
	v_dot4c_i32_i8_e32 v152, v161, v21
	;; [unrolled: 1-line block ×3, first 2 shown]
	v_mov_b32_e32 v154, v2
	v_mov_b32_e32 v155, v4
	v_ashrrev_i32_e32 v140, 24, v146
	v_ashrrev_i32_e32 v2, 24, v147
	v_dot4c_i32_i8_e32 v160, v165, v17
	v_pk_fma_f32 v[150:151], v[154:155], v[150:151], 0 op_sel_hi:[1,1,0]
	v_bfe_i32 v154, v147, 16, 8
	v_bfe_i32 v155, v146, 16, 8
	v_mul_lo_u32 v2, v152, v2
	v_mul_lo_u32 v140, v170, v140
	v_mad_u64_u32 v[146:147], s[2:3], v171, v155, v[140:141]
	v_mad_u64_u32 v[154:155], s[2:3], v160, v154, v[2:3]
	v_mov_b32_e32 v2, v3
	v_mov_b32_e32 v3, 0
	s_waitcnt lgkmcnt(0)
	v_dot4c_i32_i8_e32 v3, v156, v14
	v_dot4c_i32_i8_e32 v3, v157, v15
	;; [unrolled: 1-line block ×3, first 2 shown]
	v_ashrrev_i32_e32 v140, 24, v153
	v_bfe_i32 v148, v153, 8, 8
	v_dot4c_i32_i8_e32 v3, v149, v17
	v_bfe_i32 v152, v153, 16, 8
	v_bfe_i32 v149, v153, 0, 8
	v_mul_lo_u32 v140, v174, v140
	v_mul_lo_u32 v148, v175, v148
	v_mad_u64_u32 v[148:149], s[2:3], v176, v149, v[148:149]
	v_mad_u64_u32 v[152:153], s[2:3], v3, v152, v[140:141]
	v_cvt_f32_i32_e32 v147, v154
	v_cvt_f32_i32_e32 v146, v146
	;; [unrolled: 1-line block ×4, first 2 shown]
	v_mov_b32_e32 v3, v5
	v_pk_fma_f32 v[2:3], v[2:3], v[146:147], v[150:151]
	v_add_u32_e32 v140, 0x20d0, v145
	v_pk_mul_f32 v[146:147], v[4:5], v[148:149]
	v_pk_mul_f32 v[2:3], v[136:137], v[2:3] op_sel_hi:[0,1]
	v_add_f32_e32 v136, 0, v146
	v_add_u32_e32 v148, 0x20c8, v145
	v_add_u32_e32 v150, 0x20c0, v145
	;; [unrolled: 1-line block ×3, first 2 shown]
	v_add_f32_e32 v136, v136, v147
	ds_read2_b32 v[146:147], v140 offset1:1
	ds_read2_b32 v[148:149], v148 offset1:1
	;; [unrolled: 1-line block ×4, first 2 shown]
	v_add_u32_e32 v140, 0x20f0, v145
	ds_read2_b32 v[154:155], v140 offset1:1
	v_add_u32_e32 v156, 0x20e8, v145
	v_add_u32_e32 v158, 0x20e0, v145
	;; [unrolled: 1-line block ×3, first 2 shown]
	ds_read2_b32 v[156:157], v156 offset1:1
	ds_read2_b32 v[158:159], v158 offset1:1
	;; [unrolled: 1-line block ×3, first 2 shown]
	v_mov_b32_e32 v140, 0
	v_mov_b32_e32 v164, 0
	s_waitcnt lgkmcnt(3)
	v_dot4c_i32_i8_e32 v140, v154, v18
	v_mov_b32_e32 v162, 0
	v_dot4c_i32_i8_e32 v164, v150, v6
	v_dot4c_i32_i8_e32 v140, v155, v19
	s_waitcnt lgkmcnt(1)
	v_dot4c_i32_i8_e32 v162, v158, v14
	v_mov_b32_e32 v163, 0
	v_dot4c_i32_i8_e32 v164, v151, v7
	v_dot4c_i32_i8_e32 v140, v152, v20
	;; [unrolled: 1-line block ×5, first 2 shown]
	v_add_u32_e32 v146, 0x4150, v145
	v_add_u32_e32 v148, 0x4148, v145
	;; [unrolled: 1-line block ×5, first 2 shown]
	v_dot4c_i32_i8_e32 v140, v153, v21
	v_dot4c_i32_i8_e32 v162, v156, v16
	;; [unrolled: 1-line block ×4, first 2 shown]
	ds_read2_b32 v[146:147], v146 offset1:1
	ds_read2_b32 v[148:149], v148 offset1:1
	;; [unrolled: 1-line block ×5, first 2 shown]
	v_add_u32_e32 v156, 0x4168, v145
	v_add_u32_e32 v158, 0x4160, v145
	v_dot4c_i32_i8_e32 v162, v157, v17
	ds_read2_b32 v[156:157], v156 offset1:1
	ds_read2_b32 v[158:159], v158 offset1:1
	v_mov_b32_e32 v165, 0
	s_waitcnt lgkmcnt(2)
	v_dot4c_i32_i8_e32 v165, v154, v18
	v_mov_b32_e32 v18, 0
	v_dot4c_i32_i8_e32 v163, v168, v12
	s_waitcnt lgkmcnt(0)
	v_dot4c_i32_i8_e32 v18, v158, v14
	v_mov_b32_e32 v14, 0
	v_dot4c_i32_i8_e32 v14, v146, v10
	v_mov_b32_e32 v10, 0
	v_dot4c_i32_i8_e32 v14, v147, v11
	v_dot4c_i32_i8_e32 v10, v150, v6
	;; [unrolled: 1-line block ×7, first 2 shown]
	v_bfe_i32 v7, v141, 8, 8
	v_bfe_i32 v6, v139, 8, 8
	v_dot4c_i32_i8_e32 v165, v155, v19
	v_dot4c_i32_i8_e32 v10, v149, v9
	v_mul_lo_u32 v6, v14, v6
	v_mul_lo_u32 v8, v163, v7
	v_bfe_i32 v7, v139, 0, 8
	v_bfe_i32 v9, v141, 0, 8
	v_dot4c_i32_i8_e32 v165, v152, v20
	v_dot4c_i32_i8_e32 v18, v159, v15
	v_mad_u64_u32 v[8:9], s[2:3], v164, v9, v[8:9]
	v_mad_u64_u32 v[6:7], s[2:3], v10, v7, v[6:7]
	v_dot4c_i32_i8_e32 v165, v153, v21
	v_dot4c_i32_i8_e32 v18, v156, v16
	v_cvt_f32_i32_e32 v7, v6
	v_cvt_f32_i32_e32 v6, v8
	v_ashrrev_i32_e32 v10, 24, v141
	v_ashrrev_i32_e32 v8, 24, v139
	v_dot4c_i32_i8_e32 v18, v157, v17
	v_bfe_i32 v9, v139, 16, 8
	v_bfe_i32 v11, v141, 16, 8
	v_mul_lo_u32 v8, v165, v8
	v_mul_lo_u32 v10, v140, v10
	v_mad_u64_u32 v[10:11], s[2:3], v162, v11, v[10:11]
	v_mad_u64_u32 v[8:9], s[2:3], v18, v9, v[8:9]
	v_cvt_f32_i32_e32 v9, v8
	v_cvt_f32_i32_e32 v8, v10
	v_pk_fma_f32 v[6:7], v[4:5], v[6:7], 0 op_sel_hi:[0,1,0]
	v_mov_b32_e32 v4, v5
	v_pk_mul_f32 v[142:143], v[134:135], v[142:143]
	v_pk_fma_f32 v[4:5], v[4:5], v[8:9], v[6:7] op_sel_hi:[0,1,1]
	v_mul_f32_e32 v138, v25, v138
	v_pk_mul_f32 v[4:5], v[134:135], v[4:5]
	v_mov_b32_e32 v139, v142
	v_pk_mov_b32 v[8:9], v[142:143], v[2:3] op_sel:[1,0]
	v_mul_f32_e32 v10, v25, v136
	v_pk_add_f32 v[6:7], v[22:23], v[138:139]
	v_pk_add_f32 v[8:9], v[102:103], v[8:9]
	v_mov_b32_e32 v2, v5
	v_mov_b32_e32 v11, v4
	v_pk_add_f32 v[102:103], v[8:9], v[2:3]
	v_pk_add_f32 v[22:23], v[6:7], v[10:11]
	s_cmp_ge_i32 s4, s5
	s_barrier
	s_cbranch_scc1 .LBB236_5
; %bb.12:                               ;   in Loop: Header=BB236_6 Depth=1
	v_cmp_gt_i32_e64 s[2:3], s8, v41
	s_and_b64 s[22:23], s[0:1], s[2:3]
	s_and_saveexec_b64 s[2:3], s[22:23]
	s_cbranch_execz .LBB236_14
; %bb.13:                               ;   in Loop: Header=BB236_6 Depth=1
	v_add_u32_e32 v2, v60, v41
	v_mad_i64_i32 v[2:3], s[22:23], v2, 36, v[58:59]
	global_load_dword v2, v[2:3], off offset:4
	s_waitcnt vmcnt(0)
	ds_write_b32 v137, v2
.LBB236_14:                             ;   in Loop: Header=BB236_6 Depth=1
	s_or_b64 exec, exec, s[2:3]
	s_and_saveexec_b64 s[22:23], vcc
	s_cbranch_execz .LBB236_4
; %bb.15:                               ;   in Loop: Header=BB236_6 Depth=1
	v_add_u32_e32 v2, 4, v24
	v_cmp_gt_i32_e64 s[2:3], s8, v2
	s_and_b64 s[2:3], s[0:1], s[2:3]
	s_and_b64 exec, exec, s[2:3]
	s_cbranch_execz .LBB236_4
; %bb.16:                               ;   in Loop: Header=BB236_6 Depth=1
	v_ashrrev_i32_e32 v25, 31, v24
	v_lshl_add_u64 v[2:3], v[60:61], 0, v[24:25]
	v_mad_u64_u32 v[4:5], s[2:3], v2, 36, s[14:15]
	v_mad_i32_i24 v5, v3, 36, v5
	global_load_dword v2, v[4:5], off offset:144
	v_add_u32_e32 v3, v29, v33
	s_waitcnt vmcnt(0)
	v_cvt_f32_f16_e32 v2, v2
	ds_write_b32 v3, v2
	s_branch .LBB236_4
.LBB236_17:
	s_mul_i32 s0, s10, s7
	s_waitcnt vmcnt(0)
	v_cmp_gt_i32_e32 vcc, s0, v1
	s_and_saveexec_b64 s[0:1], vcc
	s_cbranch_execz .LBB236_26
; %bb.18:
	v_and_b32_e32 v0, 0x3ff, v0
	v_add_u32_e32 v2, s11, v0
	v_mul_lo_u32 v0, v1, s9
	v_cmp_gt_u32_e32 vcc, s9, v2
	s_and_saveexec_b64 s[0:1], vcc
	s_cbranch_execz .LBB236_20
; %bb.19:
	v_bfe_u32 v1, v22, 16, 1
	s_movk_i32 s2, 0x7fff
	v_add3_u32 v1, v22, v1, s2
	v_cmp_o_f32_e32 vcc, v22, v22
	v_mov_b32_e32 v3, 0x7fc0
	v_add_u32_e32 v4, v0, v2
	v_mov_b32_e32 v5, 0
	v_cndmask_b32_sdwa v1, v3, v1, vcc dst_sel:DWORD dst_unused:UNUSED_PAD src0_sel:DWORD src1_sel:WORD_1
	v_lshl_add_u64 v[4:5], v[4:5], 1, s[16:17]
	global_store_short v[4:5], v1, off
.LBB236_20:
	s_or_b64 exec, exec, s[0:1]
	v_add_u32_e32 v1, 32, v2
	v_cmp_gt_u32_e32 vcc, s9, v1
	s_and_saveexec_b64 s[0:1], vcc
	s_cbranch_execz .LBB236_22
; %bb.21:
	v_bfe_u32 v3, v23, 16, 1
	s_movk_i32 s2, 0x7fff
	v_add3_u32 v3, v23, v3, s2
	v_cmp_o_f32_e32 vcc, v23, v23
	v_mov_b32_e32 v4, 0x7fc0
	v_mov_b32_e32 v5, 0
	v_cndmask_b32_sdwa v3, v4, v3, vcc dst_sel:DWORD dst_unused:UNUSED_PAD src0_sel:DWORD src1_sel:WORD_1
	v_add_u32_e32 v4, v0, v1
	v_lshl_add_u64 v[4:5], v[4:5], 1, s[16:17]
	global_store_short v[4:5], v3, off
.LBB236_22:
	s_or_b64 exec, exec, s[0:1]
	v_add_u32_e32 v1, 64, v2
	v_cmp_gt_u32_e32 vcc, s9, v1
	s_and_saveexec_b64 s[0:1], vcc
	s_cbranch_execz .LBB236_24
; %bb.23:
	v_bfe_u32 v3, v102, 16, 1
	s_movk_i32 s2, 0x7fff
	v_add3_u32 v3, v102, v3, s2
	v_cmp_o_f32_e32 vcc, v102, v102
	v_mov_b32_e32 v4, 0x7fc0
	v_mov_b32_e32 v5, 0
	v_cndmask_b32_sdwa v3, v4, v3, vcc dst_sel:DWORD dst_unused:UNUSED_PAD src0_sel:DWORD src1_sel:WORD_1
	v_add_u32_e32 v4, v0, v1
	v_lshl_add_u64 v[4:5], v[4:5], 1, s[16:17]
	global_store_short v[4:5], v3, off
.LBB236_24:
	s_or_b64 exec, exec, s[0:1]
	v_add_u32_e32 v1, 0x60, v2
	v_cmp_gt_u32_e32 vcc, s9, v1
	s_and_b64 exec, exec, vcc
	s_cbranch_execz .LBB236_26
; %bb.25:
	v_bfe_u32 v2, v103, 16, 1
	s_movk_i32 s0, 0x7fff
	v_add3_u32 v2, v103, v2, s0
	v_cmp_o_f32_e32 vcc, v103, v103
	v_mov_b32_e32 v3, 0x7fc0
	v_add_u32_e32 v0, v0, v1
	v_mov_b32_e32 v1, 0
	v_cndmask_b32_sdwa v2, v3, v2, vcc dst_sel:DWORD dst_unused:UNUSED_PAD src0_sel:DWORD src1_sel:WORD_1
	v_lshl_add_u64 v[0:1], v[0:1], 1, s[16:17]
	global_store_short v[0:1], v2, off
.LBB236_26:
	s_endpgm
	.section	.rodata,"a",@progbits
	.p2align	6, 0x0
	.amdhsa_kernel _ZL8moe_q6_KIN3c108BFloat16ELb1EEvPKvS3_PT_PKiS7_S7_iiiiiii
		.amdhsa_group_segment_fixed_size 37072
		.amdhsa_private_segment_fixed_size 0
		.amdhsa_kernarg_size 76
		.amdhsa_user_sgpr_count 2
		.amdhsa_user_sgpr_dispatch_ptr 0
		.amdhsa_user_sgpr_queue_ptr 0
		.amdhsa_user_sgpr_kernarg_segment_ptr 1
		.amdhsa_user_sgpr_dispatch_id 0
		.amdhsa_user_sgpr_kernarg_preload_length 0
		.amdhsa_user_sgpr_kernarg_preload_offset 0
		.amdhsa_user_sgpr_private_segment_size 0
		.amdhsa_uses_dynamic_stack 0
		.amdhsa_enable_private_segment 0
		.amdhsa_system_sgpr_workgroup_id_x 1
		.amdhsa_system_sgpr_workgroup_id_y 1
		.amdhsa_system_sgpr_workgroup_id_z 0
		.amdhsa_system_sgpr_workgroup_info 0
		.amdhsa_system_vgpr_workitem_id 1
		.amdhsa_next_free_vgpr 177
		.amdhsa_next_free_sgpr 96
		.amdhsa_accum_offset 180
		.amdhsa_reserve_vcc 1
		.amdhsa_float_round_mode_32 0
		.amdhsa_float_round_mode_16_64 0
		.amdhsa_float_denorm_mode_32 3
		.amdhsa_float_denorm_mode_16_64 3
		.amdhsa_dx10_clamp 1
		.amdhsa_ieee_mode 1
		.amdhsa_fp16_overflow 0
		.amdhsa_tg_split 0
		.amdhsa_exception_fp_ieee_invalid_op 0
		.amdhsa_exception_fp_denorm_src 0
		.amdhsa_exception_fp_ieee_div_zero 0
		.amdhsa_exception_fp_ieee_overflow 0
		.amdhsa_exception_fp_ieee_underflow 0
		.amdhsa_exception_fp_ieee_inexact 0
		.amdhsa_exception_int_div_zero 0
	.end_amdhsa_kernel
	.section	.text._ZL8moe_q6_KIN3c108BFloat16ELb1EEvPKvS3_PT_PKiS7_S7_iiiiiii,"axG",@progbits,_ZL8moe_q6_KIN3c108BFloat16ELb1EEvPKvS3_PT_PKiS7_S7_iiiiiii,comdat
.Lfunc_end236:
	.size	_ZL8moe_q6_KIN3c108BFloat16ELb1EEvPKvS3_PT_PKiS7_S7_iiiiiii, .Lfunc_end236-_ZL8moe_q6_KIN3c108BFloat16ELb1EEvPKvS3_PT_PKiS7_S7_iiiiiii
                                        ; -- End function
	.set _ZL8moe_q6_KIN3c108BFloat16ELb1EEvPKvS3_PT_PKiS7_S7_iiiiiii.num_vgpr, 177
	.set _ZL8moe_q6_KIN3c108BFloat16ELb1EEvPKvS3_PT_PKiS7_S7_iiiiiii.num_agpr, 0
	.set _ZL8moe_q6_KIN3c108BFloat16ELb1EEvPKvS3_PT_PKiS7_S7_iiiiiii.numbered_sgpr, 28
	.set _ZL8moe_q6_KIN3c108BFloat16ELb1EEvPKvS3_PT_PKiS7_S7_iiiiiii.num_named_barrier, 0
	.set _ZL8moe_q6_KIN3c108BFloat16ELb1EEvPKvS3_PT_PKiS7_S7_iiiiiii.private_seg_size, 0
	.set _ZL8moe_q6_KIN3c108BFloat16ELb1EEvPKvS3_PT_PKiS7_S7_iiiiiii.uses_vcc, 1
	.set _ZL8moe_q6_KIN3c108BFloat16ELb1EEvPKvS3_PT_PKiS7_S7_iiiiiii.uses_flat_scratch, 0
	.set _ZL8moe_q6_KIN3c108BFloat16ELb1EEvPKvS3_PT_PKiS7_S7_iiiiiii.has_dyn_sized_stack, 0
	.set _ZL8moe_q6_KIN3c108BFloat16ELb1EEvPKvS3_PT_PKiS7_S7_iiiiiii.has_recursion, 0
	.set _ZL8moe_q6_KIN3c108BFloat16ELb1EEvPKvS3_PT_PKiS7_S7_iiiiiii.has_indirect_call, 0
	.section	.AMDGPU.csdata,"",@progbits
; Kernel info:
; codeLenInByte = 12260
; TotalNumSgprs: 34
; NumVgprs: 177
; NumAgprs: 0
; TotalNumVgprs: 177
; ScratchSize: 0
; MemoryBound: 0
; FloatMode: 240
; IeeeMode: 1
; LDSByteSize: 37072 bytes/workgroup (compile time only)
; SGPRBlocks: 12
; VGPRBlocks: 22
; NumSGPRsForWavesPerEU: 102
; NumVGPRsForWavesPerEU: 177
; AccumOffset: 180
; Occupancy: 2
; WaveLimiterHint : 1
; COMPUTE_PGM_RSRC2:SCRATCH_EN: 0
; COMPUTE_PGM_RSRC2:USER_SGPR: 2
; COMPUTE_PGM_RSRC2:TRAP_HANDLER: 0
; COMPUTE_PGM_RSRC2:TGID_X_EN: 1
; COMPUTE_PGM_RSRC2:TGID_Y_EN: 1
; COMPUTE_PGM_RSRC2:TGID_Z_EN: 0
; COMPUTE_PGM_RSRC2:TIDIG_COMP_CNT: 1
; COMPUTE_PGM_RSRC3_GFX90A:ACCUM_OFFSET: 44
; COMPUTE_PGM_RSRC3_GFX90A:TG_SPLIT: 0
	.section	.text._ZL9moe_vec_qIfLi32ELi4E10block_q4_0Li2EXadL_ZL17vec_dot_q4_0_q8_1PKvPK10block_q8_1RKiEEEvS2_S2_PT_PS6_iiii,"axG",@progbits,_ZL9moe_vec_qIfLi32ELi4E10block_q4_0Li2EXadL_ZL17vec_dot_q4_0_q8_1PKvPK10block_q8_1RKiEEEvS2_S2_PT_PS6_iiii,comdat
	.globl	_ZL9moe_vec_qIfLi32ELi4E10block_q4_0Li2EXadL_ZL17vec_dot_q4_0_q8_1PKvPK10block_q8_1RKiEEEvS2_S2_PT_PS6_iiii ; -- Begin function _ZL9moe_vec_qIfLi32ELi4E10block_q4_0Li2EXadL_ZL17vec_dot_q4_0_q8_1PKvPK10block_q8_1RKiEEEvS2_S2_PT_PS6_iiii
	.p2align	8
	.type	_ZL9moe_vec_qIfLi32ELi4E10block_q4_0Li2EXadL_ZL17vec_dot_q4_0_q8_1PKvPK10block_q8_1RKiEEEvS2_S2_PT_PS6_iiii,@function
_ZL9moe_vec_qIfLi32ELi4E10block_q4_0Li2EXadL_ZL17vec_dot_q4_0_q8_1PKvPK10block_q8_1RKiEEEvS2_S2_PT_PS6_iiii: ; @_ZL9moe_vec_qIfLi32ELi4E10block_q4_0Li2EXadL_ZL17vec_dot_q4_0_q8_1PKvPK10block_q8_1RKiEEEvS2_S2_PT_PS6_iiii
; %bb.0:
	s_mov_b32 s8, s3
	s_load_dword s3, s[0:1], 0x3c
	s_load_dwordx4 s[4:7], s[0:1], 0x20
	v_bfe_u32 v1, v0, 10, 10
	s_waitcnt lgkmcnt(0)
	s_lshr_b32 s3, s3, 16
	s_mul_i32 s2, s2, s3
	v_add_u32_e32 v4, s2, v1
	v_cmp_gt_u32_e32 vcc, s6, v4
	s_and_saveexec_b64 s[2:3], vcc
	s_cbranch_execz .LBB237_7
; %bb.1:
	v_cvt_f32_u32_e32 v1, s4
	v_and_b32_e32 v5, 0x3ff, v0
	v_bfe_u32 v6, v0, 1, 9
	s_load_dwordx2 s[2:3], s[0:1], 0x10
	v_rcp_iflag_f32_e32 v1, v1
	s_ashr_i32 s9, s5, 31
	s_lshr_b32 s9, s9, 27
	s_add_i32 s5, s5, s9
	v_mul_f32_e32 v0, 0x4f7ffffe, v1
	v_cvt_u32_f32_e32 v0, v0
	s_ashr_i32 s14, s5, 5
	v_cmp_gt_u32_e32 vcc, s14, v6
	v_mov_b32_e32 v7, 0
	v_readfirstlane_b32 s5, v0
	s_and_saveexec_b64 s[10:11], vcc
	s_cbranch_execz .LBB237_5
; %bb.2:
	s_sub_i32 s12, 0, s4
	s_mul_i32 s15, s12, s5
	s_load_dwordx4 s[16:19], s[0:1], 0x0
	s_load_dwordx2 s[12:13], s[0:1], 0x18
	s_mov_b32 s9, 0
	s_mul_hi_u32 s0, s5, s15
	s_add_i32 s5, s5, s0
	s_lshl_b64 s[0:1], s[8:9], 2
	s_waitcnt lgkmcnt(0)
	s_add_u32 s0, s12, s0
	s_mul_hi_u32 s5, s8, s5
	s_addc_u32 s1, s13, s1
	s_load_dword s0, s[0:1], 0x0
	s_mul_i32 s1, s5, s4
	s_sub_i32 s1, s8, s1
	s_add_i32 s12, s5, 1
	s_sub_i32 s13, s1, s4
	s_cmp_ge_u32 s1, s4
	s_cselect_b32 s5, s12, s5
	s_cselect_b32 s1, s13, s1
	s_add_i32 s12, s5, 1
	s_cmp_ge_u32 s1, s4
	s_mul_i32 s1, s14, s6
	s_waitcnt lgkmcnt(0)
	s_mul_i32 s0, s1, s0
	s_cselect_b32 s4, s12, s5
	s_mul_hi_i32 s1, s0, 18
	s_mul_i32 s0, s0, 18
	s_add_u32 s0, s16, s0
	s_mul_i32 s4, s4, s7
	s_mov_b32 s5, s9
	s_addc_u32 s1, s17, s1
	s_lshl_b64 s[4:5], s[4:5], 2
	s_add_u32 s4, s18, s4
	v_lshlrev_b32_e32 v0, 3, v5
	v_mov_b32_e32 v1, 0
	s_addc_u32 s5, s19, s5
	v_mul_lo_u32 v8, v4, s14
	v_and_b32_e32 v0, 8, v0
	s_mov_b64 s[12:13], 0
	v_mov_b32_e32 v3, 4.0
	v_mov_b32_e32 v7, v1
.LBB237_3:                              ; =>This Inner Loop Header: Depth=1
	v_add_u32_e32 v2, v8, v6
	v_mad_i64_i32 v[10:11], s[16:17], v6, 36, s[4:5]
	v_mad_i64_i32 v[12:13], s[16:17], v2, 18, s[0:1]
	v_lshl_add_u64 v[14:15], v[10:11], 0, v[0:1]
	v_lshl_add_u64 v[16:17], v[12:13], 0, v[0:1]
	global_load_dwordx2 v[18:19], v[14:15], off offset:4
	global_load_dwordx2 v[20:21], v[14:15], off offset:20
	global_load_dwordx2 v[22:23], v[16:17], off offset:2
	global_load_dword v2, v[10:11], off
	global_load_ushort v9, v[12:13], off
	v_mov_b32_e32 v12, 0
	v_add_u32_e32 v6, 32, v6
	v_cmp_le_u32_e32 vcc, s14, v6
	s_or_b64 s[12:13], vcc, s[12:13]
	s_waitcnt vmcnt(2)
	v_lshrrev_b32_e32 v13, 4, v22
	s_waitcnt vmcnt(1)
	v_cvt_f32_f16_e32 v10, v2
	v_cvt_f32_f16_sdwa v11, v2 dst_sel:DWORD dst_unused:UNUSED_PAD src0_sel:WORD_1
	v_and_b32_e32 v2, 0xf0f0f0f, v22
	v_and_b32_e32 v13, 0xf0f0f0f, v13
	v_dot4c_i32_i8_e32 v12, v2, v18
	v_and_b32_e32 v14, 0xf0f0f0f, v23
	v_lshrrev_b32_e32 v15, 4, v23
	v_dot4c_i32_i8_e32 v12, v13, v20
	v_and_b32_e32 v2, 0xf0f0f0f, v15
	v_dot4c_i32_i8_e32 v12, v14, v19
	v_dot4c_i32_i8_e32 v12, v2, v21
	s_nop 2
	v_cvt_f32_i32_e32 v2, v12
	v_pk_mul_f32 v[10:11], v[2:3], v[10:11]
	s_nop 0
	v_sub_f32_e32 v2, v10, v11
	s_waitcnt vmcnt(0)
	v_fma_mix_f32 v7, v2, v9, v7 op_sel_hi:[0,1,0]
	s_andn2_b64 exec, exec, s[12:13]
	s_cbranch_execnz .LBB237_3
; %bb.4:
	s_or_b64 exec, exec, s[12:13]
.LBB237_5:
	s_or_b64 exec, exec, s[10:11]
	v_mbcnt_lo_u32_b32 v0, -1, 0
	v_mbcnt_hi_u32_b32 v1, -1, v0
	v_and_b32_e32 v0, 64, v1
	v_add_u32_e32 v2, 64, v0
	v_xor_b32_e32 v0, 32, v1
	v_cmp_lt_i32_e32 vcc, v0, v2
	v_xor_b32_e32 v3, 16, v1
	v_xor_b32_e32 v6, 8, v1
	v_cndmask_b32_e32 v0, v1, v0, vcc
	v_lshlrev_b32_e32 v0, 2, v0
	ds_bpermute_b32 v0, v0, v7
	v_cmp_lt_i32_e32 vcc, v3, v2
	s_waitcnt lgkmcnt(0)
	v_add_f32_e32 v0, v7, v0
	v_cndmask_b32_e32 v3, v1, v3, vcc
	v_lshlrev_b32_e32 v3, 2, v3
	ds_bpermute_b32 v3, v3, v0
	v_cmp_lt_i32_e32 vcc, v6, v2
	s_waitcnt lgkmcnt(0)
	v_add_f32_e32 v0, v0, v3
	v_cndmask_b32_e32 v3, v1, v6, vcc
	v_lshlrev_b32_e32 v3, 2, v3
	ds_bpermute_b32 v3, v3, v0
	v_xor_b32_e32 v6, 4, v1
	v_cmp_lt_i32_e32 vcc, v6, v2
	s_waitcnt lgkmcnt(0)
	v_add_f32_e32 v0, v0, v3
	v_cndmask_b32_e32 v3, v1, v6, vcc
	v_lshlrev_b32_e32 v3, 2, v3
	ds_bpermute_b32 v3, v3, v0
	v_xor_b32_e32 v6, 2, v1
	;; [unrolled: 7-line block ×3, first 2 shown]
	v_cmp_lt_i32_e32 vcc, v6, v2
	s_waitcnt lgkmcnt(0)
	v_add_f32_e32 v0, v0, v3
	v_cndmask_b32_e32 v1, v1, v6, vcc
	v_lshlrev_b32_e32 v1, 2, v1
	ds_bpermute_b32 v1, v1, v0
	v_cmp_eq_u32_e32 vcc, 0, v5
	s_and_b64 exec, exec, vcc
	s_cbranch_execz .LBB237_7
; %bb.6:
	s_mul_i32 s0, s6, s8
	s_waitcnt lgkmcnt(0)
	v_add_f32_e32 v2, v0, v1
	v_add_u32_e32 v0, s0, v4
	v_mov_b32_e32 v1, 0
	v_lshl_add_u64 v[0:1], v[0:1], 2, s[2:3]
	global_store_dword v[0:1], v2, off
.LBB237_7:
	s_endpgm
	.section	.rodata,"a",@progbits
	.p2align	6, 0x0
	.amdhsa_kernel _ZL9moe_vec_qIfLi32ELi4E10block_q4_0Li2EXadL_ZL17vec_dot_q4_0_q8_1PKvPK10block_q8_1RKiEEEvS2_S2_PT_PS6_iiii
		.amdhsa_group_segment_fixed_size 0
		.amdhsa_private_segment_fixed_size 0
		.amdhsa_kernarg_size 304
		.amdhsa_user_sgpr_count 2
		.amdhsa_user_sgpr_dispatch_ptr 0
		.amdhsa_user_sgpr_queue_ptr 0
		.amdhsa_user_sgpr_kernarg_segment_ptr 1
		.amdhsa_user_sgpr_dispatch_id 0
		.amdhsa_user_sgpr_kernarg_preload_length 0
		.amdhsa_user_sgpr_kernarg_preload_offset 0
		.amdhsa_user_sgpr_private_segment_size 0
		.amdhsa_uses_dynamic_stack 0
		.amdhsa_enable_private_segment 0
		.amdhsa_system_sgpr_workgroup_id_x 1
		.amdhsa_system_sgpr_workgroup_id_y 0
		.amdhsa_system_sgpr_workgroup_id_z 1
		.amdhsa_system_sgpr_workgroup_info 0
		.amdhsa_system_vgpr_workitem_id 1
		.amdhsa_next_free_vgpr 24
		.amdhsa_next_free_sgpr 20
		.amdhsa_accum_offset 24
		.amdhsa_reserve_vcc 1
		.amdhsa_float_round_mode_32 0
		.amdhsa_float_round_mode_16_64 0
		.amdhsa_float_denorm_mode_32 3
		.amdhsa_float_denorm_mode_16_64 3
		.amdhsa_dx10_clamp 1
		.amdhsa_ieee_mode 1
		.amdhsa_fp16_overflow 0
		.amdhsa_tg_split 0
		.amdhsa_exception_fp_ieee_invalid_op 0
		.amdhsa_exception_fp_denorm_src 0
		.amdhsa_exception_fp_ieee_div_zero 0
		.amdhsa_exception_fp_ieee_overflow 0
		.amdhsa_exception_fp_ieee_underflow 0
		.amdhsa_exception_fp_ieee_inexact 0
		.amdhsa_exception_int_div_zero 0
	.end_amdhsa_kernel
	.section	.text._ZL9moe_vec_qIfLi32ELi4E10block_q4_0Li2EXadL_ZL17vec_dot_q4_0_q8_1PKvPK10block_q8_1RKiEEEvS2_S2_PT_PS6_iiii,"axG",@progbits,_ZL9moe_vec_qIfLi32ELi4E10block_q4_0Li2EXadL_ZL17vec_dot_q4_0_q8_1PKvPK10block_q8_1RKiEEEvS2_S2_PT_PS6_iiii,comdat
.Lfunc_end237:
	.size	_ZL9moe_vec_qIfLi32ELi4E10block_q4_0Li2EXadL_ZL17vec_dot_q4_0_q8_1PKvPK10block_q8_1RKiEEEvS2_S2_PT_PS6_iiii, .Lfunc_end237-_ZL9moe_vec_qIfLi32ELi4E10block_q4_0Li2EXadL_ZL17vec_dot_q4_0_q8_1PKvPK10block_q8_1RKiEEEvS2_S2_PT_PS6_iiii
                                        ; -- End function
	.set _ZL9moe_vec_qIfLi32ELi4E10block_q4_0Li2EXadL_ZL17vec_dot_q4_0_q8_1PKvPK10block_q8_1RKiEEEvS2_S2_PT_PS6_iiii.num_vgpr, 24
	.set _ZL9moe_vec_qIfLi32ELi4E10block_q4_0Li2EXadL_ZL17vec_dot_q4_0_q8_1PKvPK10block_q8_1RKiEEEvS2_S2_PT_PS6_iiii.num_agpr, 0
	.set _ZL9moe_vec_qIfLi32ELi4E10block_q4_0Li2EXadL_ZL17vec_dot_q4_0_q8_1PKvPK10block_q8_1RKiEEEvS2_S2_PT_PS6_iiii.numbered_sgpr, 20
	.set _ZL9moe_vec_qIfLi32ELi4E10block_q4_0Li2EXadL_ZL17vec_dot_q4_0_q8_1PKvPK10block_q8_1RKiEEEvS2_S2_PT_PS6_iiii.num_named_barrier, 0
	.set _ZL9moe_vec_qIfLi32ELi4E10block_q4_0Li2EXadL_ZL17vec_dot_q4_0_q8_1PKvPK10block_q8_1RKiEEEvS2_S2_PT_PS6_iiii.private_seg_size, 0
	.set _ZL9moe_vec_qIfLi32ELi4E10block_q4_0Li2EXadL_ZL17vec_dot_q4_0_q8_1PKvPK10block_q8_1RKiEEEvS2_S2_PT_PS6_iiii.uses_vcc, 1
	.set _ZL9moe_vec_qIfLi32ELi4E10block_q4_0Li2EXadL_ZL17vec_dot_q4_0_q8_1PKvPK10block_q8_1RKiEEEvS2_S2_PT_PS6_iiii.uses_flat_scratch, 0
	.set _ZL9moe_vec_qIfLi32ELi4E10block_q4_0Li2EXadL_ZL17vec_dot_q4_0_q8_1PKvPK10block_q8_1RKiEEEvS2_S2_PT_PS6_iiii.has_dyn_sized_stack, 0
	.set _ZL9moe_vec_qIfLi32ELi4E10block_q4_0Li2EXadL_ZL17vec_dot_q4_0_q8_1PKvPK10block_q8_1RKiEEEvS2_S2_PT_PS6_iiii.has_recursion, 0
	.set _ZL9moe_vec_qIfLi32ELi4E10block_q4_0Li2EXadL_ZL17vec_dot_q4_0_q8_1PKvPK10block_q8_1RKiEEEvS2_S2_PT_PS6_iiii.has_indirect_call, 0
	.section	.AMDGPU.csdata,"",@progbits
; Kernel info:
; codeLenInByte = 800
; TotalNumSgprs: 26
; NumVgprs: 24
; NumAgprs: 0
; TotalNumVgprs: 24
; ScratchSize: 0
; MemoryBound: 0
; FloatMode: 240
; IeeeMode: 1
; LDSByteSize: 0 bytes/workgroup (compile time only)
; SGPRBlocks: 3
; VGPRBlocks: 2
; NumSGPRsForWavesPerEU: 26
; NumVGPRsForWavesPerEU: 24
; AccumOffset: 24
; Occupancy: 8
; WaveLimiterHint : 1
; COMPUTE_PGM_RSRC2:SCRATCH_EN: 0
; COMPUTE_PGM_RSRC2:USER_SGPR: 2
; COMPUTE_PGM_RSRC2:TRAP_HANDLER: 0
; COMPUTE_PGM_RSRC2:TGID_X_EN: 1
; COMPUTE_PGM_RSRC2:TGID_Y_EN: 0
; COMPUTE_PGM_RSRC2:TGID_Z_EN: 1
; COMPUTE_PGM_RSRC2:TIDIG_COMP_CNT: 1
; COMPUTE_PGM_RSRC3_GFX90A:ACCUM_OFFSET: 5
; COMPUTE_PGM_RSRC3_GFX90A:TG_SPLIT: 0
	.section	.text._ZL9moe_vec_qIfLi32ELi4E10block_q4_1Li2EXadL_ZL17vec_dot_q4_1_q8_1PKvPK10block_q8_1RKiEEEvS2_S2_PT_PS6_iiii,"axG",@progbits,_ZL9moe_vec_qIfLi32ELi4E10block_q4_1Li2EXadL_ZL17vec_dot_q4_1_q8_1PKvPK10block_q8_1RKiEEEvS2_S2_PT_PS6_iiii,comdat
	.globl	_ZL9moe_vec_qIfLi32ELi4E10block_q4_1Li2EXadL_ZL17vec_dot_q4_1_q8_1PKvPK10block_q8_1RKiEEEvS2_S2_PT_PS6_iiii ; -- Begin function _ZL9moe_vec_qIfLi32ELi4E10block_q4_1Li2EXadL_ZL17vec_dot_q4_1_q8_1PKvPK10block_q8_1RKiEEEvS2_S2_PT_PS6_iiii
	.p2align	8
	.type	_ZL9moe_vec_qIfLi32ELi4E10block_q4_1Li2EXadL_ZL17vec_dot_q4_1_q8_1PKvPK10block_q8_1RKiEEEvS2_S2_PT_PS6_iiii,@function
_ZL9moe_vec_qIfLi32ELi4E10block_q4_1Li2EXadL_ZL17vec_dot_q4_1_q8_1PKvPK10block_q8_1RKiEEEvS2_S2_PT_PS6_iiii: ; @_ZL9moe_vec_qIfLi32ELi4E10block_q4_1Li2EXadL_ZL17vec_dot_q4_1_q8_1PKvPK10block_q8_1RKiEEEvS2_S2_PT_PS6_iiii
; %bb.0:
	s_mov_b32 s8, s3
	s_load_dword s3, s[0:1], 0x3c
	s_load_dwordx4 s[4:7], s[0:1], 0x20
	v_bfe_u32 v1, v0, 10, 10
	s_waitcnt lgkmcnt(0)
	s_lshr_b32 s3, s3, 16
	s_mul_i32 s2, s2, s3
	v_add_u32_e32 v4, s2, v1
	v_cmp_gt_u32_e32 vcc, s6, v4
	s_and_saveexec_b64 s[2:3], vcc
	s_cbranch_execz .LBB238_7
; %bb.1:
	v_cvt_f32_u32_e32 v1, s4
	v_and_b32_e32 v5, 0x3ff, v0
	v_bfe_u32 v6, v0, 1, 9
	s_load_dwordx2 s[2:3], s[0:1], 0x10
	v_rcp_iflag_f32_e32 v1, v1
	s_ashr_i32 s9, s5, 31
	s_lshr_b32 s9, s9, 27
	s_add_i32 s5, s5, s9
	v_mul_f32_e32 v0, 0x4f7ffffe, v1
	v_cvt_u32_f32_e32 v0, v0
	s_ashr_i32 s14, s5, 5
	v_cmp_gt_u32_e32 vcc, s14, v6
	v_mov_b32_e32 v7, 0
	v_readfirstlane_b32 s5, v0
	s_and_saveexec_b64 s[10:11], vcc
	s_cbranch_execz .LBB238_5
; %bb.2:
	s_sub_i32 s12, 0, s4
	s_mul_i32 s15, s12, s5
	s_load_dwordx4 s[16:19], s[0:1], 0x0
	s_load_dwordx2 s[12:13], s[0:1], 0x18
	s_mov_b32 s9, 0
	s_mul_hi_u32 s0, s5, s15
	s_add_i32 s5, s5, s0
	s_lshl_b64 s[0:1], s[8:9], 2
	s_waitcnt lgkmcnt(0)
	s_add_u32 s0, s12, s0
	s_mul_hi_u32 s5, s8, s5
	s_addc_u32 s1, s13, s1
	s_load_dword s0, s[0:1], 0x0
	s_mul_i32 s1, s5, s4
	s_sub_i32 s1, s8, s1
	s_add_i32 s12, s5, 1
	s_sub_i32 s13, s1, s4
	s_cmp_ge_u32 s1, s4
	s_cselect_b32 s5, s12, s5
	s_cselect_b32 s1, s13, s1
	s_add_i32 s12, s5, 1
	s_cmp_ge_u32 s1, s4
	s_mul_i32 s1, s14, s6
	s_waitcnt lgkmcnt(0)
	s_mul_i32 s0, s1, s0
	s_cselect_b32 s4, s12, s5
	s_mul_hi_i32 s1, s0, 20
	s_mul_i32 s0, s0, 20
	s_add_u32 s0, s16, s0
	s_mul_i32 s4, s4, s7
	s_mov_b32 s5, s9
	s_addc_u32 s1, s17, s1
	s_lshl_b64 s[4:5], s[4:5], 2
	s_add_u32 s4, s18, s4
	v_lshlrev_b32_e32 v0, 3, v5
	v_mov_b32_e32 v1, 0
	s_addc_u32 s5, s19, s5
	v_mul_lo_u32 v8, v4, s14
	v_and_b32_e32 v0, 8, v0
	s_mov_b64 s[12:13], 0
	v_mov_b32_e32 v3, 0.5
	v_mov_b32_e32 v7, v1
.LBB238_3:                              ; =>This Inner Loop Header: Depth=1
	v_add_u32_e32 v2, v8, v6
	v_mad_i64_i32 v[10:11], s[16:17], v6, 36, s[4:5]
	v_mad_i64_i32 v[12:13], s[16:17], v2, 20, s[0:1]
	v_lshl_add_u64 v[14:15], v[10:11], 0, v[0:1]
	global_load_dword v2, v[10:11], off
	v_lshl_add_u64 v[10:11], v[12:13], 0, v[0:1]
	global_load_dwordx2 v[16:17], v[14:15], off offset:4
	global_load_dwordx2 v[18:19], v[14:15], off offset:20
	;; [unrolled: 1-line block ×3, first 2 shown]
	global_load_dword v9, v[12:13], off
	v_mov_b32_e32 v12, 0
	v_add_u32_e32 v6, 32, v6
	v_cmp_le_u32_e32 vcc, s14, v6
	s_or_b64 s[12:13], vcc, s[12:13]
	s_waitcnt vmcnt(1)
	v_lshrrev_b32_e32 v13, 4, v20
	s_waitcnt vmcnt(0)
	v_pk_mul_f16 v2, v9, v2
	v_and_b32_e32 v9, 0xf0f0f0f, v20
	v_cvt_f32_f16_e32 v10, v2
	v_cvt_f32_f16_sdwa v11, v2 dst_sel:DWORD dst_unused:UNUSED_PAD src0_sel:WORD_1
	v_and_b32_e32 v2, 0xf0f0f0f, v13
	v_dot4c_i32_i8_e32 v12, v9, v16
	v_and_b32_e32 v14, 0xf0f0f0f, v21
	v_lshrrev_b32_e32 v15, 4, v21
	v_dot4c_i32_i8_e32 v12, v2, v18
	v_and_b32_e32 v9, 0xf0f0f0f, v15
	v_dot4c_i32_i8_e32 v12, v14, v17
	v_dot4c_i32_i8_e32 v12, v9, v19
	s_nop 2
	v_cvt_f32_i32_e32 v2, v12
	v_pk_mul_f32 v[10:11], v[2:3], v[10:11]
	s_nop 0
	v_add_f32_e32 v2, v11, v10
	v_add_f32_e32 v7, v7, v2
	s_andn2_b64 exec, exec, s[12:13]
	s_cbranch_execnz .LBB238_3
; %bb.4:
	s_or_b64 exec, exec, s[12:13]
.LBB238_5:
	s_or_b64 exec, exec, s[10:11]
	v_mbcnt_lo_u32_b32 v0, -1, 0
	v_mbcnt_hi_u32_b32 v1, -1, v0
	v_and_b32_e32 v0, 64, v1
	v_add_u32_e32 v2, 64, v0
	v_xor_b32_e32 v0, 32, v1
	v_cmp_lt_i32_e32 vcc, v0, v2
	v_xor_b32_e32 v3, 16, v1
	v_xor_b32_e32 v6, 8, v1
	v_cndmask_b32_e32 v0, v1, v0, vcc
	v_lshlrev_b32_e32 v0, 2, v0
	ds_bpermute_b32 v0, v0, v7
	v_cmp_lt_i32_e32 vcc, v3, v2
	s_waitcnt lgkmcnt(0)
	v_add_f32_e32 v0, v7, v0
	v_cndmask_b32_e32 v3, v1, v3, vcc
	v_lshlrev_b32_e32 v3, 2, v3
	ds_bpermute_b32 v3, v3, v0
	v_cmp_lt_i32_e32 vcc, v6, v2
	s_waitcnt lgkmcnt(0)
	v_add_f32_e32 v0, v0, v3
	v_cndmask_b32_e32 v3, v1, v6, vcc
	v_lshlrev_b32_e32 v3, 2, v3
	ds_bpermute_b32 v3, v3, v0
	v_xor_b32_e32 v6, 4, v1
	v_cmp_lt_i32_e32 vcc, v6, v2
	s_waitcnt lgkmcnt(0)
	v_add_f32_e32 v0, v0, v3
	v_cndmask_b32_e32 v3, v1, v6, vcc
	v_lshlrev_b32_e32 v3, 2, v3
	ds_bpermute_b32 v3, v3, v0
	v_xor_b32_e32 v6, 2, v1
	;; [unrolled: 7-line block ×3, first 2 shown]
	v_cmp_lt_i32_e32 vcc, v6, v2
	s_waitcnt lgkmcnt(0)
	v_add_f32_e32 v0, v0, v3
	v_cndmask_b32_e32 v1, v1, v6, vcc
	v_lshlrev_b32_e32 v1, 2, v1
	ds_bpermute_b32 v1, v1, v0
	v_cmp_eq_u32_e32 vcc, 0, v5
	s_and_b64 exec, exec, vcc
	s_cbranch_execz .LBB238_7
; %bb.6:
	s_mul_i32 s0, s6, s8
	s_waitcnt lgkmcnt(0)
	v_add_f32_e32 v2, v0, v1
	v_add_u32_e32 v0, s0, v4
	v_mov_b32_e32 v1, 0
	v_lshl_add_u64 v[0:1], v[0:1], 2, s[2:3]
	global_store_dword v[0:1], v2, off
.LBB238_7:
	s_endpgm
	.section	.rodata,"a",@progbits
	.p2align	6, 0x0
	.amdhsa_kernel _ZL9moe_vec_qIfLi32ELi4E10block_q4_1Li2EXadL_ZL17vec_dot_q4_1_q8_1PKvPK10block_q8_1RKiEEEvS2_S2_PT_PS6_iiii
		.amdhsa_group_segment_fixed_size 0
		.amdhsa_private_segment_fixed_size 0
		.amdhsa_kernarg_size 304
		.amdhsa_user_sgpr_count 2
		.amdhsa_user_sgpr_dispatch_ptr 0
		.amdhsa_user_sgpr_queue_ptr 0
		.amdhsa_user_sgpr_kernarg_segment_ptr 1
		.amdhsa_user_sgpr_dispatch_id 0
		.amdhsa_user_sgpr_kernarg_preload_length 0
		.amdhsa_user_sgpr_kernarg_preload_offset 0
		.amdhsa_user_sgpr_private_segment_size 0
		.amdhsa_uses_dynamic_stack 0
		.amdhsa_enable_private_segment 0
		.amdhsa_system_sgpr_workgroup_id_x 1
		.amdhsa_system_sgpr_workgroup_id_y 0
		.amdhsa_system_sgpr_workgroup_id_z 1
		.amdhsa_system_sgpr_workgroup_info 0
		.amdhsa_system_vgpr_workitem_id 1
		.amdhsa_next_free_vgpr 22
		.amdhsa_next_free_sgpr 20
		.amdhsa_accum_offset 24
		.amdhsa_reserve_vcc 1
		.amdhsa_float_round_mode_32 0
		.amdhsa_float_round_mode_16_64 0
		.amdhsa_float_denorm_mode_32 3
		.amdhsa_float_denorm_mode_16_64 3
		.amdhsa_dx10_clamp 1
		.amdhsa_ieee_mode 1
		.amdhsa_fp16_overflow 0
		.amdhsa_tg_split 0
		.amdhsa_exception_fp_ieee_invalid_op 0
		.amdhsa_exception_fp_denorm_src 0
		.amdhsa_exception_fp_ieee_div_zero 0
		.amdhsa_exception_fp_ieee_overflow 0
		.amdhsa_exception_fp_ieee_underflow 0
		.amdhsa_exception_fp_ieee_inexact 0
		.amdhsa_exception_int_div_zero 0
	.end_amdhsa_kernel
	.section	.text._ZL9moe_vec_qIfLi32ELi4E10block_q4_1Li2EXadL_ZL17vec_dot_q4_1_q8_1PKvPK10block_q8_1RKiEEEvS2_S2_PT_PS6_iiii,"axG",@progbits,_ZL9moe_vec_qIfLi32ELi4E10block_q4_1Li2EXadL_ZL17vec_dot_q4_1_q8_1PKvPK10block_q8_1RKiEEEvS2_S2_PT_PS6_iiii,comdat
.Lfunc_end238:
	.size	_ZL9moe_vec_qIfLi32ELi4E10block_q4_1Li2EXadL_ZL17vec_dot_q4_1_q8_1PKvPK10block_q8_1RKiEEEvS2_S2_PT_PS6_iiii, .Lfunc_end238-_ZL9moe_vec_qIfLi32ELi4E10block_q4_1Li2EXadL_ZL17vec_dot_q4_1_q8_1PKvPK10block_q8_1RKiEEEvS2_S2_PT_PS6_iiii
                                        ; -- End function
	.set _ZL9moe_vec_qIfLi32ELi4E10block_q4_1Li2EXadL_ZL17vec_dot_q4_1_q8_1PKvPK10block_q8_1RKiEEEvS2_S2_PT_PS6_iiii.num_vgpr, 22
	.set _ZL9moe_vec_qIfLi32ELi4E10block_q4_1Li2EXadL_ZL17vec_dot_q4_1_q8_1PKvPK10block_q8_1RKiEEEvS2_S2_PT_PS6_iiii.num_agpr, 0
	.set _ZL9moe_vec_qIfLi32ELi4E10block_q4_1Li2EXadL_ZL17vec_dot_q4_1_q8_1PKvPK10block_q8_1RKiEEEvS2_S2_PT_PS6_iiii.numbered_sgpr, 20
	.set _ZL9moe_vec_qIfLi32ELi4E10block_q4_1Li2EXadL_ZL17vec_dot_q4_1_q8_1PKvPK10block_q8_1RKiEEEvS2_S2_PT_PS6_iiii.num_named_barrier, 0
	.set _ZL9moe_vec_qIfLi32ELi4E10block_q4_1Li2EXadL_ZL17vec_dot_q4_1_q8_1PKvPK10block_q8_1RKiEEEvS2_S2_PT_PS6_iiii.private_seg_size, 0
	.set _ZL9moe_vec_qIfLi32ELi4E10block_q4_1Li2EXadL_ZL17vec_dot_q4_1_q8_1PKvPK10block_q8_1RKiEEEvS2_S2_PT_PS6_iiii.uses_vcc, 1
	.set _ZL9moe_vec_qIfLi32ELi4E10block_q4_1Li2EXadL_ZL17vec_dot_q4_1_q8_1PKvPK10block_q8_1RKiEEEvS2_S2_PT_PS6_iiii.uses_flat_scratch, 0
	.set _ZL9moe_vec_qIfLi32ELi4E10block_q4_1Li2EXadL_ZL17vec_dot_q4_1_q8_1PKvPK10block_q8_1RKiEEEvS2_S2_PT_PS6_iiii.has_dyn_sized_stack, 0
	.set _ZL9moe_vec_qIfLi32ELi4E10block_q4_1Li2EXadL_ZL17vec_dot_q4_1_q8_1PKvPK10block_q8_1RKiEEEvS2_S2_PT_PS6_iiii.has_recursion, 0
	.set _ZL9moe_vec_qIfLi32ELi4E10block_q4_1Li2EXadL_ZL17vec_dot_q4_1_q8_1PKvPK10block_q8_1RKiEEEvS2_S2_PT_PS6_iiii.has_indirect_call, 0
	.section	.AMDGPU.csdata,"",@progbits
; Kernel info:
; codeLenInByte = 800
; TotalNumSgprs: 26
; NumVgprs: 22
; NumAgprs: 0
; TotalNumVgprs: 22
; ScratchSize: 0
; MemoryBound: 0
; FloatMode: 240
; IeeeMode: 1
; LDSByteSize: 0 bytes/workgroup (compile time only)
; SGPRBlocks: 3
; VGPRBlocks: 2
; NumSGPRsForWavesPerEU: 26
; NumVGPRsForWavesPerEU: 22
; AccumOffset: 24
; Occupancy: 8
; WaveLimiterHint : 1
; COMPUTE_PGM_RSRC2:SCRATCH_EN: 0
; COMPUTE_PGM_RSRC2:USER_SGPR: 2
; COMPUTE_PGM_RSRC2:TRAP_HANDLER: 0
; COMPUTE_PGM_RSRC2:TGID_X_EN: 1
; COMPUTE_PGM_RSRC2:TGID_Y_EN: 0
; COMPUTE_PGM_RSRC2:TGID_Z_EN: 1
; COMPUTE_PGM_RSRC2:TIDIG_COMP_CNT: 1
; COMPUTE_PGM_RSRC3_GFX90A:ACCUM_OFFSET: 5
; COMPUTE_PGM_RSRC3_GFX90A:TG_SPLIT: 0
	.section	.text._ZL9moe_vec_qIfLi32ELi4E10block_q5_0Li2EXadL_ZL17vec_dot_q5_0_q8_1PKvPK10block_q8_1RKiEEEvS2_S2_PT_PS6_iiii,"axG",@progbits,_ZL9moe_vec_qIfLi32ELi4E10block_q5_0Li2EXadL_ZL17vec_dot_q5_0_q8_1PKvPK10block_q8_1RKiEEEvS2_S2_PT_PS6_iiii,comdat
	.globl	_ZL9moe_vec_qIfLi32ELi4E10block_q5_0Li2EXadL_ZL17vec_dot_q5_0_q8_1PKvPK10block_q8_1RKiEEEvS2_S2_PT_PS6_iiii ; -- Begin function _ZL9moe_vec_qIfLi32ELi4E10block_q5_0Li2EXadL_ZL17vec_dot_q5_0_q8_1PKvPK10block_q8_1RKiEEEvS2_S2_PT_PS6_iiii
	.p2align	8
	.type	_ZL9moe_vec_qIfLi32ELi4E10block_q5_0Li2EXadL_ZL17vec_dot_q5_0_q8_1PKvPK10block_q8_1RKiEEEvS2_S2_PT_PS6_iiii,@function
_ZL9moe_vec_qIfLi32ELi4E10block_q5_0Li2EXadL_ZL17vec_dot_q5_0_q8_1PKvPK10block_q8_1RKiEEEvS2_S2_PT_PS6_iiii: ; @_ZL9moe_vec_qIfLi32ELi4E10block_q5_0Li2EXadL_ZL17vec_dot_q5_0_q8_1PKvPK10block_q8_1RKiEEEvS2_S2_PT_PS6_iiii
; %bb.0:
	s_mov_b32 s8, s3
	s_load_dword s3, s[0:1], 0x3c
	s_load_dwordx4 s[4:7], s[0:1], 0x20
	v_bfe_u32 v1, v0, 10, 10
	s_waitcnt lgkmcnt(0)
	s_lshr_b32 s3, s3, 16
	s_mul_i32 s2, s2, s3
	v_add_u32_e32 v4, s2, v1
	v_cmp_gt_u32_e32 vcc, s6, v4
	s_and_saveexec_b64 s[2:3], vcc
	s_cbranch_execz .LBB239_7
; %bb.1:
	v_cvt_f32_u32_e32 v1, s4
	v_and_b32_e32 v5, 0x3ff, v0
	v_bfe_u32 v6, v0, 1, 9
	s_load_dwordx2 s[2:3], s[0:1], 0x10
	v_rcp_iflag_f32_e32 v1, v1
	s_ashr_i32 s9, s5, 31
	s_lshr_b32 s9, s9, 27
	s_add_i32 s5, s5, s9
	v_mul_f32_e32 v0, 0x4f7ffffe, v1
	v_cvt_u32_f32_e32 v0, v0
	s_ashr_i32 s14, s5, 5
	v_cmp_gt_u32_e32 vcc, s14, v6
	v_mov_b32_e32 v7, 0
	v_readfirstlane_b32 s5, v0
	s_and_saveexec_b64 s[10:11], vcc
	s_cbranch_execz .LBB239_5
; %bb.2:
	s_sub_i32 s12, 0, s4
	s_mul_i32 s15, s12, s5
	s_load_dwordx4 s[16:19], s[0:1], 0x0
	s_load_dwordx2 s[12:13], s[0:1], 0x18
	s_mov_b32 s9, 0
	s_mul_hi_u32 s0, s5, s15
	s_add_i32 s5, s5, s0
	s_lshl_b64 s[0:1], s[8:9], 2
	s_waitcnt lgkmcnt(0)
	s_add_u32 s0, s12, s0
	s_mul_hi_u32 s5, s8, s5
	s_addc_u32 s1, s13, s1
	s_load_dword s0, s[0:1], 0x0
	s_mul_i32 s1, s5, s4
	s_sub_i32 s1, s8, s1
	s_add_i32 s12, s5, 1
	s_sub_i32 s13, s1, s4
	s_cmp_ge_u32 s1, s4
	s_cselect_b32 s5, s12, s5
	s_cselect_b32 s1, s13, s1
	s_add_i32 s12, s5, 1
	s_cmp_ge_u32 s1, s4
	s_mul_i32 s1, s14, s6
	s_waitcnt lgkmcnt(0)
	s_mul_i32 s0, s1, s0
	s_cselect_b32 s4, s12, s5
	s_mul_hi_i32 s1, s0, 22
	s_mul_i32 s0, s0, 22
	s_add_u32 s0, s16, s0
	s_mul_i32 s4, s4, s7
	s_mov_b32 s5, s9
	s_addc_u32 s1, s17, s1
	s_lshl_b64 s[4:5], s[4:5], 2
	v_lshlrev_b32_e32 v0, 3, v5
	s_add_u32 s4, s18, s4
	v_and_b32_e32 v0, 8, v0
	v_mov_b32_e32 v1, 0
	s_addc_u32 s5, s19, s5
	v_mul_lo_u32 v8, v4, s14
	v_or_b32_e32 v9, 4, v0
	s_mov_b64 s[12:13], 0
	v_mov_b32_e32 v3, 0x41000000
	v_mov_b32_e32 v7, v1
.LBB239_3:                              ; =>This Inner Loop Header: Depth=1
	v_add_u32_e32 v2, v8, v6
	v_mad_i64_i32 v[12:13], s[16:17], v2, 22, s[0:1]
	global_load_dword v2, v[12:13], off offset:2
	v_mad_i64_i32 v[10:11], s[16:17], v6, 36, s[4:5]
	v_lshl_add_u64 v[14:15], v[10:11], 0, v[0:1]
	v_lshl_add_u64 v[16:17], v[12:13], 0, v[0:1]
	global_load_dwordx2 v[18:19], v[14:15], off offset:4
	global_load_dwordx2 v[20:21], v[14:15], off offset:20
	;; [unrolled: 1-line block ×3, first 2 shown]
	global_load_dword v24, v[10:11], off
	global_load_ushort v25, v[12:13], off
	v_mov_b32_e32 v12, 0
	v_add_u32_e32 v6, 32, v6
	v_cmp_le_u32_e32 vcc, s14, v6
	s_or_b64 s[12:13], vcc, s[12:13]
	s_waitcnt vmcnt(5)
	v_ashrrev_i32_e32 v13, v0, v2
	v_lshlrev_b32_e32 v15, 4, v13
	v_lshlrev_b32_e32 v16, 11, v13
	v_ashrrev_i32_e32 v2, v9, v2
	s_waitcnt vmcnt(1)
	v_cvt_f32_f16_e32 v10, v24
	v_cvt_f32_f16_sdwa v11, v24 dst_sel:DWORD dst_unused:UNUSED_PAD src0_sel:WORD_1
	v_and_b32_e32 v14, 0xf0f0f0f, v22
	v_lshlrev_b32_e32 v17, 18, v13
	v_lshlrev_b32_e32 v24, 25, v13
	v_lshrrev_b32_e32 v26, 12, v13
	v_lshrrev_b32_e32 v27, 5, v13
	v_lshlrev_b32_e32 v28, 2, v13
	v_and_b32_e32 v15, 16, v15
	v_and_b32_e32 v16, 0x1000, v16
	v_lshrrev_b32_e32 v22, 4, v22
	v_lshlrev_b32_e32 v13, 9, v13
	v_lshlrev_b32_e32 v30, 4, v2
	;; [unrolled: 1-line block ×4, first 2 shown]
	v_and_b32_e32 v17, 0x100000, v17
	v_and_b32_e32 v24, 0x10000000, v24
	;; [unrolled: 1-line block ×5, first 2 shown]
	v_or3_b32 v14, v15, v14, v16
	v_lshlrev_b32_e32 v33, 25, v2
	v_lshrrev_b32_e32 v34, 12, v2
	v_lshrrev_b32_e32 v35, 5, v2
	v_lshlrev_b32_e32 v36, 2, v2
	v_and_b32_e32 v22, 0xf0f0f0f, v22
	v_and_b32_e32 v13, 0x10000000, v13
	;; [unrolled: 1-line block ×5, first 2 shown]
	v_or3_b32 v15, v27, v26, v28
	v_or3_b32 v14, v14, v17, v24
	v_and_b32_e32 v29, 0xf0f0f0f, v23
	v_lshrrev_b32_e32 v23, 4, v23
	v_lshlrev_b32_e32 v2, 9, v2
	v_and_b32_e32 v33, 0x10000000, v33
	v_and_b32_e32 v34, 16, v34
	;; [unrolled: 1-line block ×4, first 2 shown]
	v_or3_b32 v16, v31, v30, v32
	v_or3_b32 v13, v15, v13, v22
	v_dot4c_i32_i8_e32 v12, v14, v18
	v_and_b32_e32 v23, 0xf0f0f0f, v23
	v_and_b32_e32 v2, 0x10000000, v2
	v_or3_b32 v26, v35, v34, v36
	v_or3_b32 v15, v16, v33, v29
	v_dot4c_i32_i8_e32 v12, v13, v20
	v_or3_b32 v2, v26, v2, v23
	v_dot4c_i32_i8_e32 v12, v15, v19
	v_dot4c_i32_i8_e32 v12, v2, v21
	s_nop 2
	v_cvt_f32_i32_e32 v2, v12
	v_pk_mul_f32 v[10:11], v[2:3], v[10:11]
	s_nop 0
	v_sub_f32_e32 v2, v10, v11
	s_waitcnt vmcnt(0)
	v_fma_mix_f32 v7, v2, v25, v7 op_sel_hi:[0,1,0]
	s_andn2_b64 exec, exec, s[12:13]
	s_cbranch_execnz .LBB239_3
; %bb.4:
	s_or_b64 exec, exec, s[12:13]
.LBB239_5:
	s_or_b64 exec, exec, s[10:11]
	v_mbcnt_lo_u32_b32 v0, -1, 0
	v_mbcnt_hi_u32_b32 v1, -1, v0
	v_and_b32_e32 v0, 64, v1
	v_add_u32_e32 v2, 64, v0
	v_xor_b32_e32 v0, 32, v1
	v_cmp_lt_i32_e32 vcc, v0, v2
	v_xor_b32_e32 v3, 16, v1
	v_xor_b32_e32 v6, 8, v1
	v_cndmask_b32_e32 v0, v1, v0, vcc
	v_lshlrev_b32_e32 v0, 2, v0
	ds_bpermute_b32 v0, v0, v7
	v_cmp_lt_i32_e32 vcc, v3, v2
	s_waitcnt lgkmcnt(0)
	v_add_f32_e32 v0, v7, v0
	v_cndmask_b32_e32 v3, v1, v3, vcc
	v_lshlrev_b32_e32 v3, 2, v3
	ds_bpermute_b32 v3, v3, v0
	v_cmp_lt_i32_e32 vcc, v6, v2
	s_waitcnt lgkmcnt(0)
	v_add_f32_e32 v0, v0, v3
	v_cndmask_b32_e32 v3, v1, v6, vcc
	v_lshlrev_b32_e32 v3, 2, v3
	ds_bpermute_b32 v3, v3, v0
	v_xor_b32_e32 v6, 4, v1
	v_cmp_lt_i32_e32 vcc, v6, v2
	s_waitcnt lgkmcnt(0)
	v_add_f32_e32 v0, v0, v3
	v_cndmask_b32_e32 v3, v1, v6, vcc
	v_lshlrev_b32_e32 v3, 2, v3
	ds_bpermute_b32 v3, v3, v0
	v_xor_b32_e32 v6, 2, v1
	;; [unrolled: 7-line block ×3, first 2 shown]
	v_cmp_lt_i32_e32 vcc, v6, v2
	s_waitcnt lgkmcnt(0)
	v_add_f32_e32 v0, v0, v3
	v_cndmask_b32_e32 v1, v1, v6, vcc
	v_lshlrev_b32_e32 v1, 2, v1
	ds_bpermute_b32 v1, v1, v0
	v_cmp_eq_u32_e32 vcc, 0, v5
	s_and_b64 exec, exec, vcc
	s_cbranch_execz .LBB239_7
; %bb.6:
	s_mul_i32 s0, s6, s8
	s_waitcnt lgkmcnt(0)
	v_add_f32_e32 v2, v0, v1
	v_add_u32_e32 v0, s0, v4
	v_mov_b32_e32 v1, 0
	v_lshl_add_u64 v[0:1], v[0:1], 2, s[2:3]
	global_store_dword v[0:1], v2, off
.LBB239_7:
	s_endpgm
	.section	.rodata,"a",@progbits
	.p2align	6, 0x0
	.amdhsa_kernel _ZL9moe_vec_qIfLi32ELi4E10block_q5_0Li2EXadL_ZL17vec_dot_q5_0_q8_1PKvPK10block_q8_1RKiEEEvS2_S2_PT_PS6_iiii
		.amdhsa_group_segment_fixed_size 0
		.amdhsa_private_segment_fixed_size 0
		.amdhsa_kernarg_size 304
		.amdhsa_user_sgpr_count 2
		.amdhsa_user_sgpr_dispatch_ptr 0
		.amdhsa_user_sgpr_queue_ptr 0
		.amdhsa_user_sgpr_kernarg_segment_ptr 1
		.amdhsa_user_sgpr_dispatch_id 0
		.amdhsa_user_sgpr_kernarg_preload_length 0
		.amdhsa_user_sgpr_kernarg_preload_offset 0
		.amdhsa_user_sgpr_private_segment_size 0
		.amdhsa_uses_dynamic_stack 0
		.amdhsa_enable_private_segment 0
		.amdhsa_system_sgpr_workgroup_id_x 1
		.amdhsa_system_sgpr_workgroup_id_y 0
		.amdhsa_system_sgpr_workgroup_id_z 1
		.amdhsa_system_sgpr_workgroup_info 0
		.amdhsa_system_vgpr_workitem_id 1
		.amdhsa_next_free_vgpr 37
		.amdhsa_next_free_sgpr 20
		.amdhsa_accum_offset 40
		.amdhsa_reserve_vcc 1
		.amdhsa_float_round_mode_32 0
		.amdhsa_float_round_mode_16_64 0
		.amdhsa_float_denorm_mode_32 3
		.amdhsa_float_denorm_mode_16_64 3
		.amdhsa_dx10_clamp 1
		.amdhsa_ieee_mode 1
		.amdhsa_fp16_overflow 0
		.amdhsa_tg_split 0
		.amdhsa_exception_fp_ieee_invalid_op 0
		.amdhsa_exception_fp_denorm_src 0
		.amdhsa_exception_fp_ieee_div_zero 0
		.amdhsa_exception_fp_ieee_overflow 0
		.amdhsa_exception_fp_ieee_underflow 0
		.amdhsa_exception_fp_ieee_inexact 0
		.amdhsa_exception_int_div_zero 0
	.end_amdhsa_kernel
	.section	.text._ZL9moe_vec_qIfLi32ELi4E10block_q5_0Li2EXadL_ZL17vec_dot_q5_0_q8_1PKvPK10block_q8_1RKiEEEvS2_S2_PT_PS6_iiii,"axG",@progbits,_ZL9moe_vec_qIfLi32ELi4E10block_q5_0Li2EXadL_ZL17vec_dot_q5_0_q8_1PKvPK10block_q8_1RKiEEEvS2_S2_PT_PS6_iiii,comdat
.Lfunc_end239:
	.size	_ZL9moe_vec_qIfLi32ELi4E10block_q5_0Li2EXadL_ZL17vec_dot_q5_0_q8_1PKvPK10block_q8_1RKiEEEvS2_S2_PT_PS6_iiii, .Lfunc_end239-_ZL9moe_vec_qIfLi32ELi4E10block_q5_0Li2EXadL_ZL17vec_dot_q5_0_q8_1PKvPK10block_q8_1RKiEEEvS2_S2_PT_PS6_iiii
                                        ; -- End function
	.set _ZL9moe_vec_qIfLi32ELi4E10block_q5_0Li2EXadL_ZL17vec_dot_q5_0_q8_1PKvPK10block_q8_1RKiEEEvS2_S2_PT_PS6_iiii.num_vgpr, 37
	.set _ZL9moe_vec_qIfLi32ELi4E10block_q5_0Li2EXadL_ZL17vec_dot_q5_0_q8_1PKvPK10block_q8_1RKiEEEvS2_S2_PT_PS6_iiii.num_agpr, 0
	.set _ZL9moe_vec_qIfLi32ELi4E10block_q5_0Li2EXadL_ZL17vec_dot_q5_0_q8_1PKvPK10block_q8_1RKiEEEvS2_S2_PT_PS6_iiii.numbered_sgpr, 20
	.set _ZL9moe_vec_qIfLi32ELi4E10block_q5_0Li2EXadL_ZL17vec_dot_q5_0_q8_1PKvPK10block_q8_1RKiEEEvS2_S2_PT_PS6_iiii.num_named_barrier, 0
	.set _ZL9moe_vec_qIfLi32ELi4E10block_q5_0Li2EXadL_ZL17vec_dot_q5_0_q8_1PKvPK10block_q8_1RKiEEEvS2_S2_PT_PS6_iiii.private_seg_size, 0
	.set _ZL9moe_vec_qIfLi32ELi4E10block_q5_0Li2EXadL_ZL17vec_dot_q5_0_q8_1PKvPK10block_q8_1RKiEEEvS2_S2_PT_PS6_iiii.uses_vcc, 1
	.set _ZL9moe_vec_qIfLi32ELi4E10block_q5_0Li2EXadL_ZL17vec_dot_q5_0_q8_1PKvPK10block_q8_1RKiEEEvS2_S2_PT_PS6_iiii.uses_flat_scratch, 0
	.set _ZL9moe_vec_qIfLi32ELi4E10block_q5_0Li2EXadL_ZL17vec_dot_q5_0_q8_1PKvPK10block_q8_1RKiEEEvS2_S2_PT_PS6_iiii.has_dyn_sized_stack, 0
	.set _ZL9moe_vec_qIfLi32ELi4E10block_q5_0Li2EXadL_ZL17vec_dot_q5_0_q8_1PKvPK10block_q8_1RKiEEEvS2_S2_PT_PS6_iiii.has_recursion, 0
	.set _ZL9moe_vec_qIfLi32ELi4E10block_q5_0Li2EXadL_ZL17vec_dot_q5_0_q8_1PKvPK10block_q8_1RKiEEEvS2_S2_PT_PS6_iiii.has_indirect_call, 0
	.section	.AMDGPU.csdata,"",@progbits
; Kernel info:
; codeLenInByte = 1064
; TotalNumSgprs: 26
; NumVgprs: 37
; NumAgprs: 0
; TotalNumVgprs: 37
; ScratchSize: 0
; MemoryBound: 0
; FloatMode: 240
; IeeeMode: 1
; LDSByteSize: 0 bytes/workgroup (compile time only)
; SGPRBlocks: 3
; VGPRBlocks: 4
; NumSGPRsForWavesPerEU: 26
; NumVGPRsForWavesPerEU: 37
; AccumOffset: 40
; Occupancy: 8
; WaveLimiterHint : 1
; COMPUTE_PGM_RSRC2:SCRATCH_EN: 0
; COMPUTE_PGM_RSRC2:USER_SGPR: 2
; COMPUTE_PGM_RSRC2:TRAP_HANDLER: 0
; COMPUTE_PGM_RSRC2:TGID_X_EN: 1
; COMPUTE_PGM_RSRC2:TGID_Y_EN: 0
; COMPUTE_PGM_RSRC2:TGID_Z_EN: 1
; COMPUTE_PGM_RSRC2:TIDIG_COMP_CNT: 1
; COMPUTE_PGM_RSRC3_GFX90A:ACCUM_OFFSET: 9
; COMPUTE_PGM_RSRC3_GFX90A:TG_SPLIT: 0
	.section	.text._ZL9moe_vec_qIfLi32ELi4E10block_q5_1Li2EXadL_ZL17vec_dot_q5_1_q8_1PKvPK10block_q8_1RKiEEEvS2_S2_PT_PS6_iiii,"axG",@progbits,_ZL9moe_vec_qIfLi32ELi4E10block_q5_1Li2EXadL_ZL17vec_dot_q5_1_q8_1PKvPK10block_q8_1RKiEEEvS2_S2_PT_PS6_iiii,comdat
	.globl	_ZL9moe_vec_qIfLi32ELi4E10block_q5_1Li2EXadL_ZL17vec_dot_q5_1_q8_1PKvPK10block_q8_1RKiEEEvS2_S2_PT_PS6_iiii ; -- Begin function _ZL9moe_vec_qIfLi32ELi4E10block_q5_1Li2EXadL_ZL17vec_dot_q5_1_q8_1PKvPK10block_q8_1RKiEEEvS2_S2_PT_PS6_iiii
	.p2align	8
	.type	_ZL9moe_vec_qIfLi32ELi4E10block_q5_1Li2EXadL_ZL17vec_dot_q5_1_q8_1PKvPK10block_q8_1RKiEEEvS2_S2_PT_PS6_iiii,@function
_ZL9moe_vec_qIfLi32ELi4E10block_q5_1Li2EXadL_ZL17vec_dot_q5_1_q8_1PKvPK10block_q8_1RKiEEEvS2_S2_PT_PS6_iiii: ; @_ZL9moe_vec_qIfLi32ELi4E10block_q5_1Li2EXadL_ZL17vec_dot_q5_1_q8_1PKvPK10block_q8_1RKiEEEvS2_S2_PT_PS6_iiii
; %bb.0:
	s_mov_b32 s8, s3
	s_load_dword s3, s[0:1], 0x3c
	s_load_dwordx4 s[4:7], s[0:1], 0x20
	v_bfe_u32 v1, v0, 10, 10
	s_waitcnt lgkmcnt(0)
	s_lshr_b32 s3, s3, 16
	s_mul_i32 s2, s2, s3
	v_add_u32_e32 v4, s2, v1
	v_cmp_gt_u32_e32 vcc, s6, v4
	s_and_saveexec_b64 s[2:3], vcc
	s_cbranch_execz .LBB240_7
; %bb.1:
	v_cvt_f32_u32_e32 v1, s4
	v_and_b32_e32 v5, 0x3ff, v0
	v_bfe_u32 v6, v0, 1, 9
	s_load_dwordx2 s[2:3], s[0:1], 0x10
	v_rcp_iflag_f32_e32 v1, v1
	s_ashr_i32 s9, s5, 31
	s_lshr_b32 s9, s9, 27
	s_add_i32 s5, s5, s9
	v_mul_f32_e32 v0, 0x4f7ffffe, v1
	v_cvt_u32_f32_e32 v0, v0
	s_ashr_i32 s14, s5, 5
	v_cmp_gt_u32_e32 vcc, s14, v6
	v_mov_b32_e32 v7, 0
	v_readfirstlane_b32 s5, v0
	s_and_saveexec_b64 s[10:11], vcc
	s_cbranch_execz .LBB240_5
; %bb.2:
	s_sub_i32 s12, 0, s4
	s_mul_i32 s15, s12, s5
	s_load_dwordx4 s[16:19], s[0:1], 0x0
	s_load_dwordx2 s[12:13], s[0:1], 0x18
	s_mov_b32 s9, 0
	s_mul_hi_u32 s0, s5, s15
	s_add_i32 s5, s5, s0
	s_lshl_b64 s[0:1], s[8:9], 2
	s_waitcnt lgkmcnt(0)
	s_add_u32 s0, s12, s0
	s_mul_hi_u32 s5, s8, s5
	s_addc_u32 s1, s13, s1
	s_load_dword s0, s[0:1], 0x0
	s_mul_i32 s1, s5, s4
	s_sub_i32 s1, s8, s1
	s_add_i32 s12, s5, 1
	s_sub_i32 s13, s1, s4
	s_cmp_ge_u32 s1, s4
	s_cselect_b32 s5, s12, s5
	s_cselect_b32 s1, s13, s1
	s_add_i32 s12, s5, 1
	s_cmp_ge_u32 s1, s4
	s_mul_i32 s1, s14, s6
	s_waitcnt lgkmcnt(0)
	s_mul_i32 s0, s1, s0
	s_cselect_b32 s4, s12, s5
	s_mul_hi_i32 s1, s0, 24
	s_mul_i32 s0, s0, 24
	s_add_u32 s0, s16, s0
	s_mul_i32 s4, s4, s7
	s_mov_b32 s5, s9
	s_addc_u32 s1, s17, s1
	s_lshl_b64 s[4:5], s[4:5], 2
	v_lshlrev_b32_e32 v0, 3, v5
	s_add_u32 s4, s18, s4
	v_and_b32_e32 v0, 8, v0
	v_mov_b32_e32 v1, 0
	s_addc_u32 s5, s19, s5
	v_mul_lo_u32 v8, v4, s14
	v_or_b32_e32 v9, 4, v0
	s_mov_b64 s[12:13], 0
	v_mov_b32_e32 v3, 0.5
	v_mov_b32_e32 v7, v1
.LBB240_3:                              ; =>This Inner Loop Header: Depth=1
	v_add_u32_e32 v2, v8, v6
	v_mad_i64_i32 v[10:11], s[16:17], v6, 36, s[4:5]
	v_mad_i64_i32 v[12:13], s[16:17], v2, 24, s[0:1]
	v_lshl_add_u64 v[14:15], v[10:11], 0, v[0:1]
	global_load_dwordx2 v[16:17], v[12:13], off
	v_lshl_add_u64 v[12:13], v[12:13], 0, v[0:1]
	global_load_dwordx2 v[18:19], v[14:15], off offset:4
	global_load_dwordx2 v[20:21], v[14:15], off offset:20
	;; [unrolled: 1-line block ×3, first 2 shown]
	global_load_dword v2, v[10:11], off
	v_mov_b32_e32 v12, 0
	v_add_u32_e32 v6, 32, v6
	v_cmp_le_u32_e32 vcc, s14, v6
	s_or_b64 s[12:13], vcc, s[12:13]
	s_waitcnt vmcnt(4)
	v_ashrrev_i32_e32 v10, v0, v17
	v_ashrrev_i32_e32 v11, v9, v17
	s_waitcnt vmcnt(0)
	v_pk_mul_f16 v2, v16, v2
	v_lshlrev_b32_e32 v14, 4, v10
	v_lshlrev_b32_e32 v15, 11, v10
	v_and_b32_e32 v13, 0xf0f0f0f, v22
	v_lshlrev_b32_e32 v16, 18, v10
	v_lshlrev_b32_e32 v17, 25, v10
	v_lshrrev_b32_e32 v22, 4, v22
	v_lshrrev_b32_e32 v24, 12, v10
	;; [unrolled: 1-line block ×3, first 2 shown]
	v_lshlrev_b32_e32 v26, 2, v10
	v_lshlrev_b32_e32 v27, 9, v10
	;; [unrolled: 1-line block ×6, first 2 shown]
	v_lshrrev_b32_e32 v33, 12, v11
	v_lshrrev_b32_e32 v34, 5, v11
	v_lshlrev_b32_e32 v35, 2, v11
	v_lshlrev_b32_e32 v36, 9, v11
	v_cvt_f32_f16_e32 v10, v2
	v_cvt_f32_f16_sdwa v11, v2 dst_sel:DWORD dst_unused:UNUSED_PAD src0_sel:WORD_1
	v_and_b32_e32 v2, 16, v14
	v_and_b32_e32 v14, 0x1000, v15
	;; [unrolled: 1-line block ×8, first 2 shown]
	v_or3_b32 v2, v2, v13, v14
	v_and_b32_e32 v26, 0x10000000, v27
	v_and_b32_e32 v27, 16, v29
	;; [unrolled: 1-line block ×4, first 2 shown]
	v_or3_b32 v13, v24, v22, v25
	v_or3_b32 v2, v2, v15, v16
	v_and_b32_e32 v28, 0xf0f0f0f, v23
	v_lshrrev_b32_e32 v23, 4, v23
	v_and_b32_e32 v31, 0x10000000, v32
	v_and_b32_e32 v32, 16, v33
	;; [unrolled: 1-line block ×4, first 2 shown]
	v_or3_b32 v14, v29, v27, v30
	v_or3_b32 v13, v13, v26, v17
	v_dot4c_i32_i8_e32 v12, v2, v18
	v_and_b32_e32 v23, 0xf0f0f0f, v23
	v_and_b32_e32 v35, 0x10000000, v36
	v_or3_b32 v22, v33, v32, v34
	v_or3_b32 v14, v14, v31, v28
	v_dot4c_i32_i8_e32 v12, v13, v20
	v_or3_b32 v15, v22, v35, v23
	v_dot4c_i32_i8_e32 v12, v14, v19
	v_dot4c_i32_i8_e32 v12, v15, v21
	s_nop 2
	v_cvt_f32_i32_e32 v2, v12
	v_pk_mul_f32 v[10:11], v[2:3], v[10:11]
	s_nop 0
	v_add_f32_e32 v2, v11, v10
	v_add_f32_e32 v7, v7, v2
	s_andn2_b64 exec, exec, s[12:13]
	s_cbranch_execnz .LBB240_3
; %bb.4:
	s_or_b64 exec, exec, s[12:13]
.LBB240_5:
	s_or_b64 exec, exec, s[10:11]
	v_mbcnt_lo_u32_b32 v0, -1, 0
	v_mbcnt_hi_u32_b32 v1, -1, v0
	v_and_b32_e32 v0, 64, v1
	v_add_u32_e32 v2, 64, v0
	v_xor_b32_e32 v0, 32, v1
	v_cmp_lt_i32_e32 vcc, v0, v2
	v_xor_b32_e32 v3, 16, v1
	v_xor_b32_e32 v6, 8, v1
	v_cndmask_b32_e32 v0, v1, v0, vcc
	v_lshlrev_b32_e32 v0, 2, v0
	ds_bpermute_b32 v0, v0, v7
	v_cmp_lt_i32_e32 vcc, v3, v2
	s_waitcnt lgkmcnt(0)
	v_add_f32_e32 v0, v7, v0
	v_cndmask_b32_e32 v3, v1, v3, vcc
	v_lshlrev_b32_e32 v3, 2, v3
	ds_bpermute_b32 v3, v3, v0
	v_cmp_lt_i32_e32 vcc, v6, v2
	s_waitcnt lgkmcnt(0)
	v_add_f32_e32 v0, v0, v3
	v_cndmask_b32_e32 v3, v1, v6, vcc
	v_lshlrev_b32_e32 v3, 2, v3
	ds_bpermute_b32 v3, v3, v0
	v_xor_b32_e32 v6, 4, v1
	v_cmp_lt_i32_e32 vcc, v6, v2
	s_waitcnt lgkmcnt(0)
	v_add_f32_e32 v0, v0, v3
	v_cndmask_b32_e32 v3, v1, v6, vcc
	v_lshlrev_b32_e32 v3, 2, v3
	ds_bpermute_b32 v3, v3, v0
	v_xor_b32_e32 v6, 2, v1
	;; [unrolled: 7-line block ×3, first 2 shown]
	v_cmp_lt_i32_e32 vcc, v6, v2
	s_waitcnt lgkmcnt(0)
	v_add_f32_e32 v0, v0, v3
	v_cndmask_b32_e32 v1, v1, v6, vcc
	v_lshlrev_b32_e32 v1, 2, v1
	ds_bpermute_b32 v1, v1, v0
	v_cmp_eq_u32_e32 vcc, 0, v5
	s_and_b64 exec, exec, vcc
	s_cbranch_execz .LBB240_7
; %bb.6:
	s_mul_i32 s0, s6, s8
	s_waitcnt lgkmcnt(0)
	v_add_f32_e32 v2, v0, v1
	v_add_u32_e32 v0, s0, v4
	v_mov_b32_e32 v1, 0
	v_lshl_add_u64 v[0:1], v[0:1], 2, s[2:3]
	global_store_dword v[0:1], v2, off
.LBB240_7:
	s_endpgm
	.section	.rodata,"a",@progbits
	.p2align	6, 0x0
	.amdhsa_kernel _ZL9moe_vec_qIfLi32ELi4E10block_q5_1Li2EXadL_ZL17vec_dot_q5_1_q8_1PKvPK10block_q8_1RKiEEEvS2_S2_PT_PS6_iiii
		.amdhsa_group_segment_fixed_size 0
		.amdhsa_private_segment_fixed_size 0
		.amdhsa_kernarg_size 304
		.amdhsa_user_sgpr_count 2
		.amdhsa_user_sgpr_dispatch_ptr 0
		.amdhsa_user_sgpr_queue_ptr 0
		.amdhsa_user_sgpr_kernarg_segment_ptr 1
		.amdhsa_user_sgpr_dispatch_id 0
		.amdhsa_user_sgpr_kernarg_preload_length 0
		.amdhsa_user_sgpr_kernarg_preload_offset 0
		.amdhsa_user_sgpr_private_segment_size 0
		.amdhsa_uses_dynamic_stack 0
		.amdhsa_enable_private_segment 0
		.amdhsa_system_sgpr_workgroup_id_x 1
		.amdhsa_system_sgpr_workgroup_id_y 0
		.amdhsa_system_sgpr_workgroup_id_z 1
		.amdhsa_system_sgpr_workgroup_info 0
		.amdhsa_system_vgpr_workitem_id 1
		.amdhsa_next_free_vgpr 37
		.amdhsa_next_free_sgpr 20
		.amdhsa_accum_offset 40
		.amdhsa_reserve_vcc 1
		.amdhsa_float_round_mode_32 0
		.amdhsa_float_round_mode_16_64 0
		.amdhsa_float_denorm_mode_32 3
		.amdhsa_float_denorm_mode_16_64 3
		.amdhsa_dx10_clamp 1
		.amdhsa_ieee_mode 1
		.amdhsa_fp16_overflow 0
		.amdhsa_tg_split 0
		.amdhsa_exception_fp_ieee_invalid_op 0
		.amdhsa_exception_fp_denorm_src 0
		.amdhsa_exception_fp_ieee_div_zero 0
		.amdhsa_exception_fp_ieee_overflow 0
		.amdhsa_exception_fp_ieee_underflow 0
		.amdhsa_exception_fp_ieee_inexact 0
		.amdhsa_exception_int_div_zero 0
	.end_amdhsa_kernel
	.section	.text._ZL9moe_vec_qIfLi32ELi4E10block_q5_1Li2EXadL_ZL17vec_dot_q5_1_q8_1PKvPK10block_q8_1RKiEEEvS2_S2_PT_PS6_iiii,"axG",@progbits,_ZL9moe_vec_qIfLi32ELi4E10block_q5_1Li2EXadL_ZL17vec_dot_q5_1_q8_1PKvPK10block_q8_1RKiEEEvS2_S2_PT_PS6_iiii,comdat
.Lfunc_end240:
	.size	_ZL9moe_vec_qIfLi32ELi4E10block_q5_1Li2EXadL_ZL17vec_dot_q5_1_q8_1PKvPK10block_q8_1RKiEEEvS2_S2_PT_PS6_iiii, .Lfunc_end240-_ZL9moe_vec_qIfLi32ELi4E10block_q5_1Li2EXadL_ZL17vec_dot_q5_1_q8_1PKvPK10block_q8_1RKiEEEvS2_S2_PT_PS6_iiii
                                        ; -- End function
	.set _ZL9moe_vec_qIfLi32ELi4E10block_q5_1Li2EXadL_ZL17vec_dot_q5_1_q8_1PKvPK10block_q8_1RKiEEEvS2_S2_PT_PS6_iiii.num_vgpr, 37
	.set _ZL9moe_vec_qIfLi32ELi4E10block_q5_1Li2EXadL_ZL17vec_dot_q5_1_q8_1PKvPK10block_q8_1RKiEEEvS2_S2_PT_PS6_iiii.num_agpr, 0
	.set _ZL9moe_vec_qIfLi32ELi4E10block_q5_1Li2EXadL_ZL17vec_dot_q5_1_q8_1PKvPK10block_q8_1RKiEEEvS2_S2_PT_PS6_iiii.numbered_sgpr, 20
	.set _ZL9moe_vec_qIfLi32ELi4E10block_q5_1Li2EXadL_ZL17vec_dot_q5_1_q8_1PKvPK10block_q8_1RKiEEEvS2_S2_PT_PS6_iiii.num_named_barrier, 0
	.set _ZL9moe_vec_qIfLi32ELi4E10block_q5_1Li2EXadL_ZL17vec_dot_q5_1_q8_1PKvPK10block_q8_1RKiEEEvS2_S2_PT_PS6_iiii.private_seg_size, 0
	.set _ZL9moe_vec_qIfLi32ELi4E10block_q5_1Li2EXadL_ZL17vec_dot_q5_1_q8_1PKvPK10block_q8_1RKiEEEvS2_S2_PT_PS6_iiii.uses_vcc, 1
	.set _ZL9moe_vec_qIfLi32ELi4E10block_q5_1Li2EXadL_ZL17vec_dot_q5_1_q8_1PKvPK10block_q8_1RKiEEEvS2_S2_PT_PS6_iiii.uses_flat_scratch, 0
	.set _ZL9moe_vec_qIfLi32ELi4E10block_q5_1Li2EXadL_ZL17vec_dot_q5_1_q8_1PKvPK10block_q8_1RKiEEEvS2_S2_PT_PS6_iiii.has_dyn_sized_stack, 0
	.set _ZL9moe_vec_qIfLi32ELi4E10block_q5_1Li2EXadL_ZL17vec_dot_q5_1_q8_1PKvPK10block_q8_1RKiEEEvS2_S2_PT_PS6_iiii.has_recursion, 0
	.set _ZL9moe_vec_qIfLi32ELi4E10block_q5_1Li2EXadL_ZL17vec_dot_q5_1_q8_1PKvPK10block_q8_1RKiEEEvS2_S2_PT_PS6_iiii.has_indirect_call, 0
	.section	.AMDGPU.csdata,"",@progbits
; Kernel info:
; codeLenInByte = 1052
; TotalNumSgprs: 26
; NumVgprs: 37
; NumAgprs: 0
; TotalNumVgprs: 37
; ScratchSize: 0
; MemoryBound: 0
; FloatMode: 240
; IeeeMode: 1
; LDSByteSize: 0 bytes/workgroup (compile time only)
; SGPRBlocks: 3
; VGPRBlocks: 4
; NumSGPRsForWavesPerEU: 26
; NumVGPRsForWavesPerEU: 37
; AccumOffset: 40
; Occupancy: 8
; WaveLimiterHint : 1
; COMPUTE_PGM_RSRC2:SCRATCH_EN: 0
; COMPUTE_PGM_RSRC2:USER_SGPR: 2
; COMPUTE_PGM_RSRC2:TRAP_HANDLER: 0
; COMPUTE_PGM_RSRC2:TGID_X_EN: 1
; COMPUTE_PGM_RSRC2:TGID_Y_EN: 0
; COMPUTE_PGM_RSRC2:TGID_Z_EN: 1
; COMPUTE_PGM_RSRC2:TIDIG_COMP_CNT: 1
; COMPUTE_PGM_RSRC3_GFX90A:ACCUM_OFFSET: 9
; COMPUTE_PGM_RSRC3_GFX90A:TG_SPLIT: 0
	.section	.text._ZL9moe_vec_qIfLi32ELi8E10block_q8_0Li2EXadL_ZL17vec_dot_q8_0_q8_1PKvPK10block_q8_1RKiEEEvS2_S2_PT_PS6_iiii,"axG",@progbits,_ZL9moe_vec_qIfLi32ELi8E10block_q8_0Li2EXadL_ZL17vec_dot_q8_0_q8_1PKvPK10block_q8_1RKiEEEvS2_S2_PT_PS6_iiii,comdat
	.globl	_ZL9moe_vec_qIfLi32ELi8E10block_q8_0Li2EXadL_ZL17vec_dot_q8_0_q8_1PKvPK10block_q8_1RKiEEEvS2_S2_PT_PS6_iiii ; -- Begin function _ZL9moe_vec_qIfLi32ELi8E10block_q8_0Li2EXadL_ZL17vec_dot_q8_0_q8_1PKvPK10block_q8_1RKiEEEvS2_S2_PT_PS6_iiii
	.p2align	8
	.type	_ZL9moe_vec_qIfLi32ELi8E10block_q8_0Li2EXadL_ZL17vec_dot_q8_0_q8_1PKvPK10block_q8_1RKiEEEvS2_S2_PT_PS6_iiii,@function
_ZL9moe_vec_qIfLi32ELi8E10block_q8_0Li2EXadL_ZL17vec_dot_q8_0_q8_1PKvPK10block_q8_1RKiEEEvS2_S2_PT_PS6_iiii: ; @_ZL9moe_vec_qIfLi32ELi8E10block_q8_0Li2EXadL_ZL17vec_dot_q8_0_q8_1PKvPK10block_q8_1RKiEEEvS2_S2_PT_PS6_iiii
; %bb.0:
	s_mov_b32 s8, s3
	s_load_dword s3, s[0:1], 0x3c
	s_load_dwordx4 s[4:7], s[0:1], 0x20
	v_bfe_u32 v1, v0, 10, 10
	s_waitcnt lgkmcnt(0)
	s_lshr_b32 s3, s3, 16
	s_mul_i32 s2, s2, s3
	v_add_u32_e32 v2, s2, v1
	v_cmp_gt_u32_e32 vcc, s6, v2
	s_and_saveexec_b64 s[2:3], vcc
	s_cbranch_execz .LBB241_7
; %bb.1:
	v_cvt_f32_u32_e32 v1, s4
	v_and_b32_e32 v3, 0x3ff, v0
	v_bfe_u32 v4, v0, 2, 8
	s_load_dwordx2 s[2:3], s[0:1], 0x10
	v_rcp_iflag_f32_e32 v1, v1
	s_ashr_i32 s9, s5, 31
	s_lshr_b32 s9, s9, 27
	s_add_i32 s5, s5, s9
	v_mul_f32_e32 v0, 0x4f7ffffe, v1
	v_cvt_u32_f32_e32 v0, v0
	s_ashr_i32 s14, s5, 5
	v_cmp_gt_u32_e32 vcc, s14, v4
	v_mov_b32_e32 v5, 0
	v_readfirstlane_b32 s5, v0
	s_and_saveexec_b64 s[10:11], vcc
	s_cbranch_execz .LBB241_5
; %bb.2:
	s_sub_i32 s12, 0, s4
	s_mul_i32 s15, s12, s5
	s_load_dwordx4 s[16:19], s[0:1], 0x0
	s_load_dwordx2 s[12:13], s[0:1], 0x18
	s_mov_b32 s9, 0
	s_mul_hi_u32 s0, s5, s15
	s_add_i32 s5, s5, s0
	s_lshl_b64 s[0:1], s[8:9], 2
	s_waitcnt lgkmcnt(0)
	s_add_u32 s0, s12, s0
	s_mul_hi_u32 s5, s8, s5
	s_addc_u32 s1, s13, s1
	s_load_dword s0, s[0:1], 0x0
	s_mul_i32 s1, s5, s4
	s_sub_i32 s1, s8, s1
	s_add_i32 s12, s5, 1
	s_sub_i32 s13, s1, s4
	s_cmp_ge_u32 s1, s4
	s_cselect_b32 s5, s12, s5
	s_cselect_b32 s1, s13, s1
	s_add_i32 s12, s5, 1
	s_cmp_ge_u32 s1, s4
	s_mul_i32 s1, s14, s6
	s_waitcnt lgkmcnt(0)
	s_mul_i32 s0, s1, s0
	s_cselect_b32 s4, s12, s5
	s_mul_hi_i32 s1, s0, 34
	s_mul_i32 s0, s0, 34
	s_add_u32 s0, s16, s0
	s_mul_i32 s4, s4, s7
	s_mov_b32 s5, s9
	s_addc_u32 s1, s17, s1
	s_lshl_b64 s[4:5], s[4:5], 2
	s_add_u32 s4, s18, s4
	v_lshlrev_b32_e32 v0, 3, v3
	v_mov_b32_e32 v1, 0
	s_addc_u32 s5, s19, s5
	v_mul_lo_u32 v6, v2, s14
	v_and_b32_e32 v0, 24, v0
	s_mov_b64 s[12:13], 0
	v_mov_b32_e32 v5, v1
.LBB241_3:                              ; =>This Inner Loop Header: Depth=1
	v_add_u32_e32 v7, v6, v4
	v_mad_i64_i32 v[8:9], s[16:17], v4, 36, s[4:5]
	v_mad_i64_i32 v[10:11], s[16:17], v7, 34, s[0:1]
	v_lshl_add_u64 v[12:13], v[8:9], 0, v[0:1]
	global_load_dword v7, v[8:9], off
	v_lshl_add_u64 v[8:9], v[10:11], 0, v[0:1]
	global_load_dwordx2 v[14:15], v[12:13], off offset:4
	global_load_dwordx2 v[16:17], v[8:9], off offset:2
	global_load_ushort v18, v[10:11], off
	v_mov_b32_e32 v8, 0
	v_add_u32_e32 v4, 16, v4
	v_cmp_le_u32_e32 vcc, s14, v4
	s_or_b64 s[12:13], vcc, s[12:13]
	s_waitcnt vmcnt(3)
	v_cvt_f32_f16_e32 v7, v7
	s_waitcnt vmcnt(1)
	v_dot4c_i32_i8_e32 v8, v16, v14
	s_waitcnt vmcnt(0)
	v_cvt_f32_f16_e32 v9, v18
	v_dot4c_i32_i8_e32 v8, v17, v15
	v_mul_f32_e32 v7, v9, v7
	s_nop 1
	v_cvt_f32_i32_e32 v8, v8
	v_fmac_f32_e32 v5, v7, v8
	s_andn2_b64 exec, exec, s[12:13]
	s_cbranch_execnz .LBB241_3
; %bb.4:
	s_or_b64 exec, exec, s[12:13]
.LBB241_5:
	s_or_b64 exec, exec, s[10:11]
	v_mbcnt_lo_u32_b32 v0, -1, 0
	v_mbcnt_hi_u32_b32 v1, -1, v0
	v_and_b32_e32 v0, 64, v1
	v_add_u32_e32 v4, 64, v0
	v_xor_b32_e32 v0, 32, v1
	v_cmp_lt_i32_e32 vcc, v0, v4
	v_xor_b32_e32 v6, 16, v1
	s_nop 0
	v_cndmask_b32_e32 v0, v1, v0, vcc
	v_lshlrev_b32_e32 v0, 2, v0
	ds_bpermute_b32 v0, v0, v5
	v_cmp_lt_i32_e32 vcc, v6, v4
	s_waitcnt lgkmcnt(0)
	v_add_f32_e32 v0, v5, v0
	v_cndmask_b32_e32 v5, v1, v6, vcc
	v_lshlrev_b32_e32 v5, 2, v5
	ds_bpermute_b32 v5, v5, v0
	v_xor_b32_e32 v6, 8, v1
	v_cmp_lt_i32_e32 vcc, v6, v4
	s_waitcnt lgkmcnt(0)
	v_add_f32_e32 v0, v0, v5
	v_cndmask_b32_e32 v5, v1, v6, vcc
	v_lshlrev_b32_e32 v5, 2, v5
	ds_bpermute_b32 v5, v5, v0
	v_xor_b32_e32 v6, 4, v1
	;; [unrolled: 7-line block ×4, first 2 shown]
	v_cmp_lt_i32_e32 vcc, v6, v4
	s_waitcnt lgkmcnt(0)
	v_add_f32_e32 v0, v0, v5
	v_cndmask_b32_e32 v1, v1, v6, vcc
	v_lshlrev_b32_e32 v1, 2, v1
	ds_bpermute_b32 v1, v1, v0
	v_cmp_eq_u32_e32 vcc, 0, v3
	s_and_b64 exec, exec, vcc
	s_cbranch_execz .LBB241_7
; %bb.6:
	s_mul_i32 s0, s6, s8
	s_waitcnt lgkmcnt(0)
	v_add_f32_e32 v3, v0, v1
	v_add_u32_e32 v0, s0, v2
	v_mov_b32_e32 v1, 0
	v_lshl_add_u64 v[0:1], v[0:1], 2, s[2:3]
	global_store_dword v[0:1], v3, off
.LBB241_7:
	s_endpgm
	.section	.rodata,"a",@progbits
	.p2align	6, 0x0
	.amdhsa_kernel _ZL9moe_vec_qIfLi32ELi8E10block_q8_0Li2EXadL_ZL17vec_dot_q8_0_q8_1PKvPK10block_q8_1RKiEEEvS2_S2_PT_PS6_iiii
		.amdhsa_group_segment_fixed_size 0
		.amdhsa_private_segment_fixed_size 0
		.amdhsa_kernarg_size 304
		.amdhsa_user_sgpr_count 2
		.amdhsa_user_sgpr_dispatch_ptr 0
		.amdhsa_user_sgpr_queue_ptr 0
		.amdhsa_user_sgpr_kernarg_segment_ptr 1
		.amdhsa_user_sgpr_dispatch_id 0
		.amdhsa_user_sgpr_kernarg_preload_length 0
		.amdhsa_user_sgpr_kernarg_preload_offset 0
		.amdhsa_user_sgpr_private_segment_size 0
		.amdhsa_uses_dynamic_stack 0
		.amdhsa_enable_private_segment 0
		.amdhsa_system_sgpr_workgroup_id_x 1
		.amdhsa_system_sgpr_workgroup_id_y 0
		.amdhsa_system_sgpr_workgroup_id_z 1
		.amdhsa_system_sgpr_workgroup_info 0
		.amdhsa_system_vgpr_workitem_id 1
		.amdhsa_next_free_vgpr 19
		.amdhsa_next_free_sgpr 20
		.amdhsa_accum_offset 20
		.amdhsa_reserve_vcc 1
		.amdhsa_float_round_mode_32 0
		.amdhsa_float_round_mode_16_64 0
		.amdhsa_float_denorm_mode_32 3
		.amdhsa_float_denorm_mode_16_64 3
		.amdhsa_dx10_clamp 1
		.amdhsa_ieee_mode 1
		.amdhsa_fp16_overflow 0
		.amdhsa_tg_split 0
		.amdhsa_exception_fp_ieee_invalid_op 0
		.amdhsa_exception_fp_denorm_src 0
		.amdhsa_exception_fp_ieee_div_zero 0
		.amdhsa_exception_fp_ieee_overflow 0
		.amdhsa_exception_fp_ieee_underflow 0
		.amdhsa_exception_fp_ieee_inexact 0
		.amdhsa_exception_int_div_zero 0
	.end_amdhsa_kernel
	.section	.text._ZL9moe_vec_qIfLi32ELi8E10block_q8_0Li2EXadL_ZL17vec_dot_q8_0_q8_1PKvPK10block_q8_1RKiEEEvS2_S2_PT_PS6_iiii,"axG",@progbits,_ZL9moe_vec_qIfLi32ELi8E10block_q8_0Li2EXadL_ZL17vec_dot_q8_0_q8_1PKvPK10block_q8_1RKiEEEvS2_S2_PT_PS6_iiii,comdat
.Lfunc_end241:
	.size	_ZL9moe_vec_qIfLi32ELi8E10block_q8_0Li2EXadL_ZL17vec_dot_q8_0_q8_1PKvPK10block_q8_1RKiEEEvS2_S2_PT_PS6_iiii, .Lfunc_end241-_ZL9moe_vec_qIfLi32ELi8E10block_q8_0Li2EXadL_ZL17vec_dot_q8_0_q8_1PKvPK10block_q8_1RKiEEEvS2_S2_PT_PS6_iiii
                                        ; -- End function
	.set _ZL9moe_vec_qIfLi32ELi8E10block_q8_0Li2EXadL_ZL17vec_dot_q8_0_q8_1PKvPK10block_q8_1RKiEEEvS2_S2_PT_PS6_iiii.num_vgpr, 19
	.set _ZL9moe_vec_qIfLi32ELi8E10block_q8_0Li2EXadL_ZL17vec_dot_q8_0_q8_1PKvPK10block_q8_1RKiEEEvS2_S2_PT_PS6_iiii.num_agpr, 0
	.set _ZL9moe_vec_qIfLi32ELi8E10block_q8_0Li2EXadL_ZL17vec_dot_q8_0_q8_1PKvPK10block_q8_1RKiEEEvS2_S2_PT_PS6_iiii.numbered_sgpr, 20
	.set _ZL9moe_vec_qIfLi32ELi8E10block_q8_0Li2EXadL_ZL17vec_dot_q8_0_q8_1PKvPK10block_q8_1RKiEEEvS2_S2_PT_PS6_iiii.num_named_barrier, 0
	.set _ZL9moe_vec_qIfLi32ELi8E10block_q8_0Li2EXadL_ZL17vec_dot_q8_0_q8_1PKvPK10block_q8_1RKiEEEvS2_S2_PT_PS6_iiii.private_seg_size, 0
	.set _ZL9moe_vec_qIfLi32ELi8E10block_q8_0Li2EXadL_ZL17vec_dot_q8_0_q8_1PKvPK10block_q8_1RKiEEEvS2_S2_PT_PS6_iiii.uses_vcc, 1
	.set _ZL9moe_vec_qIfLi32ELi8E10block_q8_0Li2EXadL_ZL17vec_dot_q8_0_q8_1PKvPK10block_q8_1RKiEEEvS2_S2_PT_PS6_iiii.uses_flat_scratch, 0
	.set _ZL9moe_vec_qIfLi32ELi8E10block_q8_0Li2EXadL_ZL17vec_dot_q8_0_q8_1PKvPK10block_q8_1RKiEEEvS2_S2_PT_PS6_iiii.has_dyn_sized_stack, 0
	.set _ZL9moe_vec_qIfLi32ELi8E10block_q8_0Li2EXadL_ZL17vec_dot_q8_0_q8_1PKvPK10block_q8_1RKiEEEvS2_S2_PT_PS6_iiii.has_recursion, 0
	.set _ZL9moe_vec_qIfLi32ELi8E10block_q8_0Li2EXadL_ZL17vec_dot_q8_0_q8_1PKvPK10block_q8_1RKiEEEvS2_S2_PT_PS6_iiii.has_indirect_call, 0
	.section	.AMDGPU.csdata,"",@progbits
; Kernel info:
; codeLenInByte = 724
; TotalNumSgprs: 26
; NumVgprs: 19
; NumAgprs: 0
; TotalNumVgprs: 19
; ScratchSize: 0
; MemoryBound: 0
; FloatMode: 240
; IeeeMode: 1
; LDSByteSize: 0 bytes/workgroup (compile time only)
; SGPRBlocks: 3
; VGPRBlocks: 2
; NumSGPRsForWavesPerEU: 26
; NumVGPRsForWavesPerEU: 19
; AccumOffset: 20
; Occupancy: 8
; WaveLimiterHint : 1
; COMPUTE_PGM_RSRC2:SCRATCH_EN: 0
; COMPUTE_PGM_RSRC2:USER_SGPR: 2
; COMPUTE_PGM_RSRC2:TRAP_HANDLER: 0
; COMPUTE_PGM_RSRC2:TGID_X_EN: 1
; COMPUTE_PGM_RSRC2:TGID_Y_EN: 0
; COMPUTE_PGM_RSRC2:TGID_Z_EN: 1
; COMPUTE_PGM_RSRC2:TIDIG_COMP_CNT: 1
; COMPUTE_PGM_RSRC3_GFX90A:ACCUM_OFFSET: 4
; COMPUTE_PGM_RSRC3_GFX90A:TG_SPLIT: 0
	.section	.text._ZL9moe_vec_qIfLi256ELi16E10block_q2_KLi1EXadL_ZL17vec_dot_q2_K_q8_1PKvPK10block_q8_1RKiEEEvS2_S2_PT_PS6_iiii,"axG",@progbits,_ZL9moe_vec_qIfLi256ELi16E10block_q2_KLi1EXadL_ZL17vec_dot_q2_K_q8_1PKvPK10block_q8_1RKiEEEvS2_S2_PT_PS6_iiii,comdat
	.globl	_ZL9moe_vec_qIfLi256ELi16E10block_q2_KLi1EXadL_ZL17vec_dot_q2_K_q8_1PKvPK10block_q8_1RKiEEEvS2_S2_PT_PS6_iiii ; -- Begin function _ZL9moe_vec_qIfLi256ELi16E10block_q2_KLi1EXadL_ZL17vec_dot_q2_K_q8_1PKvPK10block_q8_1RKiEEEvS2_S2_PT_PS6_iiii
	.p2align	8
	.type	_ZL9moe_vec_qIfLi256ELi16E10block_q2_KLi1EXadL_ZL17vec_dot_q2_K_q8_1PKvPK10block_q8_1RKiEEEvS2_S2_PT_PS6_iiii,@function
_ZL9moe_vec_qIfLi256ELi16E10block_q2_KLi1EXadL_ZL17vec_dot_q2_K_q8_1PKvPK10block_q8_1RKiEEEvS2_S2_PT_PS6_iiii: ; @_ZL9moe_vec_qIfLi256ELi16E10block_q2_KLi1EXadL_ZL17vec_dot_q2_K_q8_1PKvPK10block_q8_1RKiEEEvS2_S2_PT_PS6_iiii
; %bb.0:
	s_mov_b32 s8, s3
	s_load_dword s3, s[0:1], 0x3c
	s_load_dwordx4 s[4:7], s[0:1], 0x20
	v_bfe_u32 v1, v0, 10, 10
	s_waitcnt lgkmcnt(0)
	s_lshr_b32 s3, s3, 16
	s_mul_i32 s2, s2, s3
	v_add_u32_e32 v10, s2, v1
	v_cmp_gt_u32_e32 vcc, s6, v10
	s_and_saveexec_b64 s[2:3], vcc
	s_cbranch_execz .LBB242_7
; %bb.1:
	s_load_dwordx2 s[2:3], s[0:1], 0x10
	s_ashr_i32 s9, s5, 31
	s_lshr_b32 s9, s9, 24
	s_add_i32 s5, s5, s9
	s_ashr_i32 s5, s5, 8
	v_bfe_u32 v12, v0, 4, 6
	v_and_b32_e32 v11, 0x3ff, v0
	v_cmp_gt_u32_e32 vcc, s5, v12
	v_mov_b32_e32 v13, 0
	s_and_saveexec_b64 s[10:11], vcc
	s_cbranch_execz .LBB242_5
; %bb.2:
	s_load_dwordx2 s[12:13], s[0:1], 0x18
	v_cvt_f32_u32_e32 v0, s4
	s_mov_b32 s9, 0
	s_lshl_b64 s[14:15], s[8:9], 2
	v_and_b32_e32 v8, 15, v11
	s_waitcnt lgkmcnt(0)
	s_add_u32 s12, s12, s14
	v_rcp_iflag_f32_e32 v0, v0
	s_addc_u32 s13, s13, s15
	s_load_dword s14, s[12:13], 0x0
	s_load_dwordx4 s[16:19], s[0:1], 0x0
	s_mul_i32 s0, s5, s6
	v_mul_f32_e32 v0, 0x4f7ffffe, v0
	v_cvt_u32_f32_e32 v0, v0
	s_waitcnt lgkmcnt(0)
	s_mul_i32 s0, s0, s14
	s_mul_hi_i32 s1, s0, 0x54
	s_mulk_i32 s0, 0x54
	s_add_u32 s14, s16, s0
	s_addc_u32 s15, s17, s1
	s_sub_i32 s0, 0, s4
	v_readfirstlane_b32 s1, v0
	s_mul_i32 s0, s0, s1
	s_mul_hi_u32 s0, s1, s0
	s_add_i32 s1, s1, s0
	s_mul_hi_u32 s0, s8, s1
	s_mul_i32 s1, s0, s4
	s_sub_i32 s1, s8, s1
	s_add_i32 s13, s0, 1
	s_sub_i32 s16, s1, s4
	s_cmp_ge_u32 s1, s4
	s_cselect_b32 s0, s13, s0
	s_cselect_b32 s1, s16, s1
	s_add_i32 s13, s0, 1
	s_cmp_ge_u32 s1, s4
	s_cselect_b32 s0, s13, s0
	s_mul_i32 s0, s0, s7
	s_mov_b32 s1, s9
	s_lshl_b64 s[0:1], s[0:1], 2
	v_mov_b32_e32 v1, 0
	v_subrev_co_u32_e32 v2, vcc, 8, v8
	s_add_u32 s0, s18, s0
	v_lshrrev_b32_e32 v0, 1, v11
	v_cndmask_b32_e32 v6, v2, v8, vcc
	v_mov_b32_e32 v7, v1
	s_addc_u32 s1, s19, s1
	v_and_b32_e32 v4, 4, v0
	v_lshlrev_b64 v[2:3], 2, v[6:7]
	v_sub_u32_e32 v7, v8, v6
	v_cmp_lt_u32_e32 vcc, 3, v6
	v_mad_u64_u32 v[4:5], s[0:1], v4, 36, s[0:1]
	s_nop 0
	v_addc_co_u32_e32 v6, vcc, 0, v7, vcc
	s_movk_i32 s12, 0x54
	v_mul_lo_u32 v14, v10, s5
	v_lshlrev_b32_e32 v0, 2, v8
	v_ashrrev_i32_e32 v7, 31, v6
	v_lshlrev_b32_e32 v15, 3, v12
	s_mov_b64 s[0:1], 0
	v_mov_b64_e32 v[8:9], s[14:15]
	s_mov_b32 s4, 0x1010101
	v_mov_b32_e32 v13, v1
.LBB242_3:                              ; =>This Inner Loop Header: Depth=1
	v_mad_i64_i32 v[16:17], s[14:15], v15, 36, v[4:5]
	v_add_u32_e32 v18, v14, v12
	v_lshl_add_u64 v[20:21], v[16:17], 0, v[2:3]
	v_mad_i64_i32 v[18:19], s[14:15], v18, s12, v[8:9]
	global_load_dword v24, v[16:17], off
	global_load_dword v25, v[16:17], off offset:36
	global_load_dword v26, v[16:17], off offset:72
	;; [unrolled: 1-line block ×7, first 2 shown]
	v_lshl_add_u64 v[22:23], v[18:19], 0, v[0:1]
	v_lshl_add_u64 v[16:17], v[18:19], 0, v[6:7]
	global_load_dword v21, v[22:23], off offset:16
	global_load_ubyte v32, v[16:17], off
	global_load_ubyte v33, v[16:17], off offset:2
	global_load_ubyte v34, v[16:17], off offset:4
	;; [unrolled: 1-line block ×3, first 2 shown]
	global_load_dword v36, v[18:19], off offset:80
	v_mov_b32_e32 v17, 0
	v_mov_b32_e32 v19, 0
	;; [unrolled: 1-line block ×8, first 2 shown]
	v_add_u32_e32 v12, 4, v12
	v_cmp_le_u32_e32 vcc, s5, v12
	v_add_u32_e32 v15, 32, v15
	s_or_b64 s[0:1], vcc, s[0:1]
	s_waitcnt vmcnt(13)
	v_cvt_f32_f16_e32 v16, v24
	s_waitcnt vmcnt(5)
	v_lshrrev_b32_e32 v42, 2, v21
	v_cvt_f32_f16_e32 v20, v26
	v_cvt_f32_f16_e32 v22, v31
	v_and_b32_e32 v26, 0x3030303, v21
	s_waitcnt vmcnt(4)
	v_and_b32_e32 v31, 15, v32
	v_lshrrev_b32_e32 v32, 4, v32
	s_waitcnt vmcnt(3)
	v_and_b32_e32 v43, 15, v33
	v_lshrrev_b32_e32 v33, 4, v33
	v_lshrrev_b32_e32 v44, 4, v21
	;; [unrolled: 1-line block ×3, first 2 shown]
	v_dot4c_i32_i8_e32 v17, v26, v27
	v_mul_lo_u32 v26, v32, s4
	v_and_b32_e32 v32, 0x3030303, v42
	v_cvt_f32_f16_e32 v18, v25
	s_waitcnt vmcnt(2)
	v_and_b32_e32 v45, 15, v34
	v_lshrrev_b32_e32 v34, 4, v34
	s_waitcnt vmcnt(0)
	v_cvt_f32_f16_e32 v24, v36
	v_cvt_f32_f16_sdwa v25, v36 dst_sel:DWORD dst_unused:UNUSED_PAD src0_sel:WORD_1
	v_mul_lo_u32 v33, v33, s4
	v_and_b32_e32 v36, 0x3030303, v44
	v_and_b32_e32 v21, 0x3030303, v21
	v_mul_lo_u32 v17, v31, v17
	v_dot4c_i32_i8_e32 v19, v26, v27
	v_dot4c_i32_i8_e32 v23, v32, v28
	v_and_b32_e32 v46, 15, v35
	v_lshrrev_b32_e32 v35, 4, v35
	v_mul_lo_u32 v34, v34, s4
	v_dot4c_i32_i8_e32 v37, v33, v28
	v_dot4c_i32_i8_e32 v38, v36, v29
	;; [unrolled: 1-line block ×3, first 2 shown]
	v_mul_lo_u32 v21, v43, v23
	v_cvt_f32_i32_e32 v27, v19
	v_cvt_f32_i32_e32 v26, v17
	v_mul_lo_u32 v35, v35, s4
	v_dot4c_i32_i8_e32 v39, v34, v29
	v_mul_lo_u32 v23, v45, v38
	v_cvt_f32_i32_e32 v29, v37
	v_cvt_f32_i32_e32 v28, v21
	v_dot4c_i32_i8_e32 v41, v35, v30
	v_mul_lo_u32 v32, v46, v40
	v_cvt_f32_i32_e32 v31, v39
	v_cvt_f32_i32_e32 v30, v23
	;; [unrolled: 1-line block ×4, first 2 shown]
	v_pk_fma_f32 v[16:17], v[16:17], v[26:27], 0 op_sel_hi:[0,1,0]
	v_pk_fma_f32 v[16:17], v[18:19], v[28:29], v[16:17] op_sel_hi:[0,1,1]
	;; [unrolled: 1-line block ×4, first 2 shown]
	v_pk_mul_f32 v[16:17], v[16:17], v[24:25]
	s_nop 0
	v_sub_f32_e32 v16, v16, v17
	v_add_f32_e32 v13, v13, v16
	s_andn2_b64 exec, exec, s[0:1]
	s_cbranch_execnz .LBB242_3
; %bb.4:
	s_or_b64 exec, exec, s[0:1]
.LBB242_5:
	s_or_b64 exec, exec, s[10:11]
	v_mbcnt_lo_u32_b32 v0, -1, 0
	v_mbcnt_hi_u32_b32 v1, -1, v0
	v_and_b32_e32 v0, 64, v1
	v_add_u32_e32 v2, 64, v0
	v_xor_b32_e32 v0, 32, v1
	v_cmp_lt_i32_e32 vcc, v0, v2
	v_xor_b32_e32 v3, 16, v1
	v_xor_b32_e32 v4, 8, v1
	v_cndmask_b32_e32 v0, v1, v0, vcc
	v_lshlrev_b32_e32 v0, 2, v0
	ds_bpermute_b32 v0, v0, v13
	v_cmp_lt_i32_e32 vcc, v3, v2
	s_waitcnt lgkmcnt(0)
	v_add_f32_e32 v0, v13, v0
	v_cndmask_b32_e32 v3, v1, v3, vcc
	v_lshlrev_b32_e32 v3, 2, v3
	ds_bpermute_b32 v3, v3, v0
	v_cmp_lt_i32_e32 vcc, v4, v2
	s_waitcnt lgkmcnt(0)
	v_add_f32_e32 v0, v0, v3
	v_cndmask_b32_e32 v3, v1, v4, vcc
	v_lshlrev_b32_e32 v3, 2, v3
	ds_bpermute_b32 v3, v3, v0
	v_xor_b32_e32 v4, 4, v1
	v_cmp_lt_i32_e32 vcc, v4, v2
	s_waitcnt lgkmcnt(0)
	v_add_f32_e32 v0, v0, v3
	v_cndmask_b32_e32 v3, v1, v4, vcc
	v_lshlrev_b32_e32 v3, 2, v3
	ds_bpermute_b32 v3, v3, v0
	v_xor_b32_e32 v4, 2, v1
	;; [unrolled: 7-line block ×3, first 2 shown]
	v_cmp_lt_i32_e32 vcc, v4, v2
	s_waitcnt lgkmcnt(0)
	v_add_f32_e32 v0, v0, v3
	v_cndmask_b32_e32 v1, v1, v4, vcc
	v_lshlrev_b32_e32 v1, 2, v1
	ds_bpermute_b32 v1, v1, v0
	v_cmp_eq_u32_e32 vcc, 0, v11
	s_and_b64 exec, exec, vcc
	s_cbranch_execz .LBB242_7
; %bb.6:
	s_mul_i32 s0, s6, s8
	s_waitcnt lgkmcnt(0)
	v_add_f32_e32 v2, v0, v1
	v_add_u32_e32 v0, s0, v10
	v_mov_b32_e32 v1, 0
	v_lshl_add_u64 v[0:1], v[0:1], 2, s[2:3]
	global_store_dword v[0:1], v2, off
.LBB242_7:
	s_endpgm
	.section	.rodata,"a",@progbits
	.p2align	6, 0x0
	.amdhsa_kernel _ZL9moe_vec_qIfLi256ELi16E10block_q2_KLi1EXadL_ZL17vec_dot_q2_K_q8_1PKvPK10block_q8_1RKiEEEvS2_S2_PT_PS6_iiii
		.amdhsa_group_segment_fixed_size 0
		.amdhsa_private_segment_fixed_size 0
		.amdhsa_kernarg_size 304
		.amdhsa_user_sgpr_count 2
		.amdhsa_user_sgpr_dispatch_ptr 0
		.amdhsa_user_sgpr_queue_ptr 0
		.amdhsa_user_sgpr_kernarg_segment_ptr 1
		.amdhsa_user_sgpr_dispatch_id 0
		.amdhsa_user_sgpr_kernarg_preload_length 0
		.amdhsa_user_sgpr_kernarg_preload_offset 0
		.amdhsa_user_sgpr_private_segment_size 0
		.amdhsa_uses_dynamic_stack 0
		.amdhsa_enable_private_segment 0
		.amdhsa_system_sgpr_workgroup_id_x 1
		.amdhsa_system_sgpr_workgroup_id_y 0
		.amdhsa_system_sgpr_workgroup_id_z 1
		.amdhsa_system_sgpr_workgroup_info 0
		.amdhsa_system_vgpr_workitem_id 1
		.amdhsa_next_free_vgpr 47
		.amdhsa_next_free_sgpr 20
		.amdhsa_accum_offset 48
		.amdhsa_reserve_vcc 1
		.amdhsa_float_round_mode_32 0
		.amdhsa_float_round_mode_16_64 0
		.amdhsa_float_denorm_mode_32 3
		.amdhsa_float_denorm_mode_16_64 3
		.amdhsa_dx10_clamp 1
		.amdhsa_ieee_mode 1
		.amdhsa_fp16_overflow 0
		.amdhsa_tg_split 0
		.amdhsa_exception_fp_ieee_invalid_op 0
		.amdhsa_exception_fp_denorm_src 0
		.amdhsa_exception_fp_ieee_div_zero 0
		.amdhsa_exception_fp_ieee_overflow 0
		.amdhsa_exception_fp_ieee_underflow 0
		.amdhsa_exception_fp_ieee_inexact 0
		.amdhsa_exception_int_div_zero 0
	.end_amdhsa_kernel
	.section	.text._ZL9moe_vec_qIfLi256ELi16E10block_q2_KLi1EXadL_ZL17vec_dot_q2_K_q8_1PKvPK10block_q8_1RKiEEEvS2_S2_PT_PS6_iiii,"axG",@progbits,_ZL9moe_vec_qIfLi256ELi16E10block_q2_KLi1EXadL_ZL17vec_dot_q2_K_q8_1PKvPK10block_q8_1RKiEEEvS2_S2_PT_PS6_iiii,comdat
.Lfunc_end242:
	.size	_ZL9moe_vec_qIfLi256ELi16E10block_q2_KLi1EXadL_ZL17vec_dot_q2_K_q8_1PKvPK10block_q8_1RKiEEEvS2_S2_PT_PS6_iiii, .Lfunc_end242-_ZL9moe_vec_qIfLi256ELi16E10block_q2_KLi1EXadL_ZL17vec_dot_q2_K_q8_1PKvPK10block_q8_1RKiEEEvS2_S2_PT_PS6_iiii
                                        ; -- End function
	.set _ZL9moe_vec_qIfLi256ELi16E10block_q2_KLi1EXadL_ZL17vec_dot_q2_K_q8_1PKvPK10block_q8_1RKiEEEvS2_S2_PT_PS6_iiii.num_vgpr, 47
	.set _ZL9moe_vec_qIfLi256ELi16E10block_q2_KLi1EXadL_ZL17vec_dot_q2_K_q8_1PKvPK10block_q8_1RKiEEEvS2_S2_PT_PS6_iiii.num_agpr, 0
	.set _ZL9moe_vec_qIfLi256ELi16E10block_q2_KLi1EXadL_ZL17vec_dot_q2_K_q8_1PKvPK10block_q8_1RKiEEEvS2_S2_PT_PS6_iiii.numbered_sgpr, 20
	.set _ZL9moe_vec_qIfLi256ELi16E10block_q2_KLi1EXadL_ZL17vec_dot_q2_K_q8_1PKvPK10block_q8_1RKiEEEvS2_S2_PT_PS6_iiii.num_named_barrier, 0
	.set _ZL9moe_vec_qIfLi256ELi16E10block_q2_KLi1EXadL_ZL17vec_dot_q2_K_q8_1PKvPK10block_q8_1RKiEEEvS2_S2_PT_PS6_iiii.private_seg_size, 0
	.set _ZL9moe_vec_qIfLi256ELi16E10block_q2_KLi1EXadL_ZL17vec_dot_q2_K_q8_1PKvPK10block_q8_1RKiEEEvS2_S2_PT_PS6_iiii.uses_vcc, 1
	.set _ZL9moe_vec_qIfLi256ELi16E10block_q2_KLi1EXadL_ZL17vec_dot_q2_K_q8_1PKvPK10block_q8_1RKiEEEvS2_S2_PT_PS6_iiii.uses_flat_scratch, 0
	.set _ZL9moe_vec_qIfLi256ELi16E10block_q2_KLi1EXadL_ZL17vec_dot_q2_K_q8_1PKvPK10block_q8_1RKiEEEvS2_S2_PT_PS6_iiii.has_dyn_sized_stack, 0
	.set _ZL9moe_vec_qIfLi256ELi16E10block_q2_KLi1EXadL_ZL17vec_dot_q2_K_q8_1PKvPK10block_q8_1RKiEEEvS2_S2_PT_PS6_iiii.has_recursion, 0
	.set _ZL9moe_vec_qIfLi256ELi16E10block_q2_KLi1EXadL_ZL17vec_dot_q2_K_q8_1PKvPK10block_q8_1RKiEEEvS2_S2_PT_PS6_iiii.has_indirect_call, 0
	.section	.AMDGPU.csdata,"",@progbits
; Kernel info:
; codeLenInByte = 1184
; TotalNumSgprs: 26
; NumVgprs: 47
; NumAgprs: 0
; TotalNumVgprs: 47
; ScratchSize: 0
; MemoryBound: 0
; FloatMode: 240
; IeeeMode: 1
; LDSByteSize: 0 bytes/workgroup (compile time only)
; SGPRBlocks: 3
; VGPRBlocks: 5
; NumSGPRsForWavesPerEU: 26
; NumVGPRsForWavesPerEU: 47
; AccumOffset: 48
; Occupancy: 8
; WaveLimiterHint : 1
; COMPUTE_PGM_RSRC2:SCRATCH_EN: 0
; COMPUTE_PGM_RSRC2:USER_SGPR: 2
; COMPUTE_PGM_RSRC2:TRAP_HANDLER: 0
; COMPUTE_PGM_RSRC2:TGID_X_EN: 1
; COMPUTE_PGM_RSRC2:TGID_Y_EN: 0
; COMPUTE_PGM_RSRC2:TGID_Z_EN: 1
; COMPUTE_PGM_RSRC2:TIDIG_COMP_CNT: 1
; COMPUTE_PGM_RSRC3_GFX90A:ACCUM_OFFSET: 11
; COMPUTE_PGM_RSRC3_GFX90A:TG_SPLIT: 0
	.section	.text._ZL9moe_vec_qIfLi256ELi16E10block_q3_KLi1EXadL_ZL17vec_dot_q3_K_q8_1PKvPK10block_q8_1RKiEEEvS2_S2_PT_PS6_iiii,"axG",@progbits,_ZL9moe_vec_qIfLi256ELi16E10block_q3_KLi1EXadL_ZL17vec_dot_q3_K_q8_1PKvPK10block_q8_1RKiEEEvS2_S2_PT_PS6_iiii,comdat
	.globl	_ZL9moe_vec_qIfLi256ELi16E10block_q3_KLi1EXadL_ZL17vec_dot_q3_K_q8_1PKvPK10block_q8_1RKiEEEvS2_S2_PT_PS6_iiii ; -- Begin function _ZL9moe_vec_qIfLi256ELi16E10block_q3_KLi1EXadL_ZL17vec_dot_q3_K_q8_1PKvPK10block_q8_1RKiEEEvS2_S2_PT_PS6_iiii
	.p2align	8
	.type	_ZL9moe_vec_qIfLi256ELi16E10block_q3_KLi1EXadL_ZL17vec_dot_q3_K_q8_1PKvPK10block_q8_1RKiEEEvS2_S2_PT_PS6_iiii,@function
_ZL9moe_vec_qIfLi256ELi16E10block_q3_KLi1EXadL_ZL17vec_dot_q3_K_q8_1PKvPK10block_q8_1RKiEEEvS2_S2_PT_PS6_iiii: ; @_ZL9moe_vec_qIfLi256ELi16E10block_q3_KLi1EXadL_ZL17vec_dot_q3_K_q8_1PKvPK10block_q8_1RKiEEEvS2_S2_PT_PS6_iiii
; %bb.0:
	s_mov_b32 s8, s3
	s_load_dword s3, s[0:1], 0x3c
	s_load_dwordx4 s[4:7], s[0:1], 0x20
	v_bfe_u32 v1, v0, 10, 10
	s_waitcnt lgkmcnt(0)
	s_lshr_b32 s3, s3, 16
	s_mul_i32 s2, s2, s3
	v_add_u32_e32 v22, s2, v1
	v_cmp_gt_u32_e32 vcc, s6, v22
	s_and_saveexec_b64 s[2:3], vcc
	s_cbranch_execz .LBB243_7
; %bb.1:
	s_load_dwordx2 s[2:3], s[0:1], 0x10
	s_ashr_i32 s9, s5, 31
	s_lshr_b32 s9, s9, 24
	s_add_i32 s5, s5, s9
	s_ashr_i32 s12, s5, 8
	v_bfe_u32 v24, v0, 4, 6
	v_and_b32_e32 v23, 0x3ff, v0
	v_cmp_gt_u32_e32 vcc, s12, v24
	v_mov_b32_e32 v33, 0
	s_and_saveexec_b64 s[10:11], vcc
	s_cbranch_execz .LBB243_5
; %bb.2:
	s_load_dwordx2 s[14:15], s[0:1], 0x18
	v_cvt_f32_u32_e32 v0, s4
	s_mov_b32 s9, 0
	s_lshl_b64 s[16:17], s[8:9], 2
	v_and_b32_e32 v8, 15, v23
	s_waitcnt lgkmcnt(0)
	s_add_u32 s14, s14, s16
	v_rcp_iflag_f32_e32 v0, v0
	s_addc_u32 s15, s15, s17
	s_load_dword s5, s[14:15], 0x0
	s_load_dwordx4 s[16:19], s[0:1], 0x0
	s_mul_i32 s0, s12, s6
	v_mul_f32_e32 v0, 0x4f7ffffe, v0
	v_cvt_u32_f32_e32 v0, v0
	s_waitcnt lgkmcnt(0)
	s_mul_i32 s0, s0, s5
	s_mul_hi_i32 s1, s0, 0x6e
	s_mulk_i32 s0, 0x6e
	s_add_u32 s0, s16, s0
	s_addc_u32 s1, s17, s1
	s_sub_i32 s5, 0, s4
	v_readfirstlane_b32 s14, v0
	s_mul_i32 s5, s5, s14
	s_mul_hi_u32 s5, s14, s5
	s_add_i32 s14, s14, s5
	v_lshrrev_b32_e32 v0, 1, v23
	s_mul_hi_u32 s5, s8, s14
	v_and_b32_e32 v26, 4, v0
	v_subrev_co_u32_e32 v0, vcc, 8, v8
	v_mov_b32_e32 v1, 0
	s_mul_i32 s14, s5, s4
	v_cndmask_b32_e32 v6, v0, v8, vcc
	v_mov_b32_e32 v7, v1
	s_sub_i32 s14, s8, s14
	v_lshlrev_b64 v[2:3], 2, v[6:7]
	v_sub_u32_e32 v7, v8, v6
	v_cmp_lt_u32_e32 vcc, 3, v6
	s_add_i32 s15, s5, 1
	s_sub_i32 s16, s14, s4
	v_addc_co_u32_e32 v18, vcc, 0, v7, vcc
	s_cmp_ge_u32 s14, s4
	v_mov_b32_e32 v19, 7
	v_add_u16_e32 v12, 2, v18
	s_cselect_b32 s5, s15, s5
	v_lshlrev_b32_e32 v0, 2, v8
	v_lshrrev_b16_sdwa v8, v19, sext(v18) dst_sel:DWORD dst_unused:UNUSED_PAD src0_sel:DWORD src1_sel:BYTE_0
	v_mov_b32_e32 v20, 5
	v_mov_b32_e32 v35, 6
	v_lshrrev_b16_sdwa v13, v19, sext(v12) dst_sel:DWORD dst_unused:UNUSED_PAD src0_sel:DWORD src1_sel:BYTE_0
	s_cselect_b32 s14, s16, s14
	s_add_i32 s15, s5, 1
	v_lshrrev_b16_sdwa v6, v20, v8 dst_sel:DWORD dst_unused:UNUSED_PAD src0_sel:DWORD src1_sel:BYTE_0
	v_lshrrev_b16_sdwa v8, v35, v8 dst_sel:DWORD dst_unused:UNUSED_PAD src0_sel:DWORD src1_sel:BYTE_0
	;; [unrolled: 1-line block ×4, first 2 shown]
	s_cmp_ge_u32 s14, s4
	v_add_u16_e32 v6, v18, v6
	v_mov_b32_e32 v21, 3
	v_mov_b32_e32 v33, 2
	v_add_u16_e32 v8, v18, v8
	v_add_u16_e32 v13, v12, v13
	;; [unrolled: 1-line block ×4, first 2 shown]
	s_cselect_b32 s4, s15, s5
	v_lshrrev_b16_sdwa v7, v21, sext(v6) dst_sel:DWORD dst_unused:UNUSED_PAD src0_sel:DWORD src1_sel:BYTE_0
	v_and_b32_e32 v6, 0xf8, v6
	v_ashrrev_i16_sdwa v9, v33, sext(v8) dst_sel:DWORD dst_unused:UNUSED_PAD src0_sel:DWORD src1_sel:BYTE_0
	v_and_b32_e32 v8, 0xfc, v8
	v_mov_b32_e32 v36, 1
	v_ashrrev_i16_sdwa v14, v33, sext(v13) dst_sel:DWORD dst_unused:UNUSED_PAD src0_sel:DWORD src1_sel:BYTE_0
	v_lshrrev_b16_sdwa v17, v19, sext(v16) dst_sel:DWORD dst_unused:UNUSED_PAD src0_sel:DWORD src1_sel:BYTE_0
	v_lshrrev_b16_sdwa v38, v19, sext(v37) dst_sel:DWORD dst_unused:UNUSED_PAD src0_sel:DWORD src1_sel:BYTE_0
	s_mul_i32 s4, s4, s7
	s_mov_b32 s5, s9
	v_sub_u16_e32 v6, v18, v6
	v_sub_u16_e32 v8, v18, v8
	v_lshlrev_b32_sdwa v30, v36, sext(v14) dst_sel:DWORD dst_unused:UNUSED_PAD src0_sel:DWORD src1_sel:WORD_0
	v_lshrrev_b16_sdwa v14, v20, v17 dst_sel:DWORD dst_unused:UNUSED_PAD src0_sel:DWORD src1_sel:BYTE_0
	v_lshrrev_b16_sdwa v17, v35, v17 dst_sel:DWORD dst_unused:UNUSED_PAD src0_sel:DWORD src1_sel:BYTE_0
	;; [unrolled: 1-line block ×4, first 2 shown]
	s_lshl_b64 s[4:5], s[4:5], 2
	v_add_u16_e32 v10, v12, v10
	v_add_u16_e32 v14, v16, v14
	;; [unrolled: 1-line block ×5, first 2 shown]
	s_add_u32 s4, s18, s4
	v_lshrrev_b16_sdwa v11, v21, sext(v10) dst_sel:DWORD dst_unused:UNUSED_PAD src0_sel:DWORD src1_sel:BYTE_0
	v_and_b32_e32 v10, 0xf8, v10
	v_and_b32_e32 v13, 0xfc, v13
	v_lshrrev_b16_sdwa v15, v21, sext(v14) dst_sel:DWORD dst_unused:UNUSED_PAD src0_sel:DWORD src1_sel:BYTE_0
	v_and_b32_e32 v14, 0xf8, v14
	v_lshrrev_b16_sdwa v32, v33, sext(v17) dst_sel:DWORD dst_unused:UNUSED_PAD src0_sel:DWORD src1_sel:BYTE_0
	;; [unrolled: 2-line block ×4, first 2 shown]
	v_and_b32_e32 v20, 0xfc, v20
	s_addc_u32 s5, s19, s5
	v_sub_u16_e32 v10, v12, v10
	v_sub_u16_e32 v12, v12, v13
	;; [unrolled: 1-line block ×6, first 2 shown]
	v_mad_u64_u32 v[4:5], s[4:5], v26, 36, s[4:5]
	v_bfe_i32 v6, v6, 0, 8
	v_bfe_i32 v8, v8, 0, 8
	;; [unrolled: 1-line block ×8, first 2 shown]
	s_movk_i32 s13, 0x6e
	v_mul_lo_u32 v25, v22, s12
	s_movk_i32 s7, 0xff
	v_lshlrev_b32_sdwa v27, v33, v7 dst_sel:DWORD dst_unused:UNUSED_PAD src0_sel:DWORD src1_sel:BYTE_0
	v_ashrrev_i32_e32 v7, 31, v6
	v_lshlrev_b32_sdwa v28, v36, sext(v9) dst_sel:DWORD dst_unused:UNUSED_PAD src0_sel:DWORD src1_sel:WORD_0
	v_ashrrev_i32_e32 v9, 31, v8
	v_lshlrev_b32_sdwa v29, v33, v11 dst_sel:DWORD dst_unused:UNUSED_PAD src0_sel:DWORD src1_sel:BYTE_0
	v_ashrrev_i32_e32 v11, 31, v10
	v_ashrrev_i32_e32 v13, 31, v12
	v_lshlrev_b32_sdwa v31, v33, v15 dst_sel:DWORD dst_unused:UNUSED_PAD src0_sel:DWORD src1_sel:BYTE_0
	v_ashrrev_i32_e32 v15, 31, v14
	v_lshlrev_b32_sdwa v32, v36, v32 dst_sel:DWORD dst_unused:UNUSED_PAD src0_sel:DWORD src1_sel:BYTE_0
	;; [unrolled: 2-line block ×4, first 2 shown]
	v_ashrrev_i32_e32 v21, 31, v20
	v_lshlrev_b32_e32 v36, 3, v24
	s_mov_b64 s[4:5], 0
	s_mov_b32 s9, 0x4040404
	v_mov_b32_e32 v33, v1
.LBB243_3:                              ; =>This Inner Loop Header: Depth=1
	v_add_u32_e32 v37, v25, v24
	v_mov_b64_e32 v[38:39], s[0:1]
	v_mad_i64_i32 v[46:47], s[14:15], v36, 36, v[4:5]
	v_mad_i64_i32 v[48:49], s[14:15], v37, s13, v[38:39]
	v_lshl_add_u64 v[50:51], v[46:47], 0, v[2:3]
	global_load_dword v37, v[46:47], off
	global_load_dword v38, v[46:47], off offset:36
	global_load_dword v39, v[46:47], off offset:72
	v_lshl_add_u64 v[54:55], v[48:49], 0, v[2:3]
	global_load_dword v41, v[50:51], off offset:4
	global_load_dword v42, v[50:51], off offset:40
	;; [unrolled: 1-line block ×5, first 2 shown]
	v_lshl_add_u64 v[46:47], v[48:49], 0, v[6:7]
	v_lshl_add_u64 v[52:53], v[48:49], 0, v[0:1]
	;; [unrolled: 1-line block ×5, first 2 shown]
	global_load_ushort v44, v[48:49], off offset:108
	global_load_dword v62, v[52:53], off offset:32
	global_load_dword v63, v[54:55], off
	s_nop 0
	global_load_ubyte v54, v[46:47], off offset:96
	global_load_ubyte v55, v[50:51], off offset:104
	v_lshl_add_u64 v[60:61], v[48:49], 0, v[14:15]
	v_lshl_add_u64 v[52:53], v[48:49], 0, v[16:17]
	;; [unrolled: 1-line block ×4, first 2 shown]
	global_load_ubyte v50, v[56:57], off offset:96
	global_load_ubyte v51, v[58:59], off offset:104
                                        ; kill: killed $vgpr56_vgpr57
                                        ; kill: killed $vgpr58_vgpr59
	s_nop 0
	global_load_ubyte v56, v[60:61], off offset:96
	global_load_ubyte v57, v[52:53], off offset:104
	;; [unrolled: 1-line block ×4, first 2 shown]
	v_add_u32_e32 v24, 4, v24
	v_cmp_le_u32_e32 vcc, s12, v24
	v_add_u32_e32 v36, 32, v36
	s_or_b64 s[4:5], vcc, s[4:5]
	s_waitcnt vmcnt(5)
	v_bfe_u32 v50, v50, v29, 4
	v_ashrrev_i32_e32 v46, v26, v63
	v_lshrrev_b32_e32 v48, v28, v55
	v_bfe_u32 v47, v54, v27, 4
	s_waitcnt vmcnt(4)
	v_lshrrev_b32_e32 v51, v30, v51
	s_waitcnt vmcnt(3)
	v_bfe_u32 v54, v56, v31, 4
	s_waitcnt vmcnt(2)
	v_lshrrev_b32_e32 v55, v32, v57
	v_lshrrev_b32_e32 v56, 4, v62
	s_waitcnt vmcnt(1)
	v_bfe_u32 v57, v58, v34, 4
	s_waitcnt vmcnt(0)
	v_lshrrev_b32_e32 v58, v35, v59
	v_lshlrev_b32_e32 v48, 4, v48
	v_not_b32_e32 v59, v46
	v_lshlrev_b32_e32 v51, 4, v51
	v_lshlrev_b32_e32 v55, 4, v55
	v_and_or_b32 v47, v48, 48, v47
	v_bfe_u32 v48, v56, 24, 2
	v_and_b32_e32 v56, 0x3030303, v56
	v_bitop3_b32 v46, v46, s9, v46 bitop3:0xc
	v_lshlrev_b32_e32 v58, 4, v58
	v_lshrrev_b32_e32 v53, 2, v62
	v_and_or_b32 v50, v51, 48, v50
	v_and_or_b32 v51, v55, 48, v54
	v_sub_u16_e32 v54, v56, v46
	v_sub_u16_sdwa v55, v56, v46 dst_sel:BYTE_1 dst_unused:UNUSED_PAD src0_sel:BYTE_1 src1_sel:BYTE_1
	v_sub_u16_sdwa v56, v56, v46 dst_sel:DWORD dst_unused:UNUSED_PAD src0_sel:WORD_1 src1_sel:WORD_1
	v_sub_u16_sdwa v46, v48, v46 dst_sel:BYTE_1 dst_unused:UNUSED_PAD src0_sel:DWORD src1_sel:BYTE_3
	v_lshlrev_b32_e32 v48, 2, v59
	v_and_or_b32 v57, v58, 48, v57
	v_lshlrev_b32_e32 v58, 1, v59
	v_bfe_u32 v49, v62, 24, 2
	v_and_b32_e32 v52, 0x3030303, v62
	v_bfe_u32 v60, v53, 24, 2
	v_and_b32_e32 v53, 0x3030303, v53
	v_and_b32_e32 v48, 0x4040404, v48
	;; [unrolled: 1-line block ×3, first 2 shown]
	v_bitop3_b16 v54, v54, v55, s7 bitop3:0xec
	v_bitop3_b16 v46, v56, v46, s7 bitop3:0xec
	v_sub_u16_e32 v55, v52, v48
	v_sub_u16_sdwa v56, v52, v48 dst_sel:BYTE_1 dst_unused:UNUSED_PAD src0_sel:BYTE_1 src1_sel:BYTE_1
	v_sub_u16_sdwa v52, v52, v48 dst_sel:DWORD dst_unused:UNUSED_PAD src0_sel:WORD_1 src1_sel:WORD_1
	v_sub_u16_sdwa v48, v49, v48 dst_sel:BYTE_1 dst_unused:UNUSED_PAD src0_sel:DWORD src1_sel:BYTE_3
	v_sub_u16_e32 v49, v53, v58
	v_sub_u16_sdwa v61, v53, v58 dst_sel:BYTE_1 dst_unused:UNUSED_PAD src0_sel:BYTE_1 src1_sel:BYTE_1
	v_sub_u16_sdwa v53, v53, v58 dst_sel:DWORD dst_unused:UNUSED_PAD src0_sel:WORD_1 src1_sel:WORD_1
	v_sub_u16_sdwa v58, v60, v58 dst_sel:BYTE_1 dst_unused:UNUSED_PAD src0_sel:DWORD src1_sel:BYTE_3
	v_lshrrev_b32_e32 v60, 6, v62
	v_lshrrev_b32_e32 v59, 1, v59
	;; [unrolled: 1-line block ×3, first 2 shown]
	v_and_b32_e32 v60, 0x3030303, v60
	v_and_b32_e32 v59, 0x4040404, v59
	v_bitop3_b16 v48, v52, v48, s7 bitop3:0xec
	v_lshlrev_b32_e32 v46, 16, v46
	v_sub_u16_e32 v63, v60, v59
	v_sub_u16_sdwa v64, v60, v59 dst_sel:BYTE_1 dst_unused:UNUSED_PAD src0_sel:BYTE_1 src1_sel:BYTE_1
	v_sub_u16_sdwa v60, v60, v59 dst_sel:DWORD dst_unused:UNUSED_PAD src0_sel:WORD_1 src1_sel:WORD_1
	v_sub_u16_sdwa v59, v62, v59 dst_sel:BYTE_1 dst_unused:UNUSED_PAD src0_sel:DWORD src1_sel:BYTE_3
	v_bitop3_b16 v55, v55, v56, s7 bitop3:0xec
	v_bitop3_b16 v53, v53, v58, s7 bitop3:0xec
	v_or_b32_sdwa v46, v54, v46 dst_sel:DWORD dst_unused:UNUSED_PAD src0_sel:WORD_0 src1_sel:DWORD
	v_mov_b32_e32 v54, 0
	v_lshlrev_b32_e32 v48, 16, v48
	v_bitop3_b16 v49, v49, v61, s7 bitop3:0xec
	v_mov_b32_e32 v52, 0
	v_bitop3_b16 v59, v60, v59, s7 bitop3:0xec
	v_lshlrev_b32_e32 v53, 16, v53
	v_dot4c_i32_i8_e32 v54, v46, v45
	v_or_b32_sdwa v46, v55, v48 dst_sel:DWORD dst_unused:UNUSED_PAD src0_sel:WORD_0 src1_sel:DWORD
	v_mov_b32_e32 v56, 0
	v_bitop3_b16 v58, v63, v64, s7 bitop3:0xec
	v_subrev_u32_e32 v47, 32, v47
	v_lshlrev_b32_e32 v45, 16, v59
	v_or_b32_sdwa v48, v49, v53 dst_sel:DWORD dst_unused:UNUSED_PAD src0_sel:WORD_0 src1_sel:DWORD
	v_dot4c_i32_i8_e32 v52, v46, v41
	v_mov_b32_e32 v61, 0
	v_subrev_u32_e32 v50, 32, v50
	v_or_b32_sdwa v45, v58, v45 dst_sel:DWORD dst_unused:UNUSED_PAD src0_sel:WORD_0 src1_sel:DWORD
	v_dot4c_i32_i8_e32 v56, v48, v42
	v_mul_lo_u32 v42, v47, v52
	v_subrev_u32_e32 v51, 32, v51
	v_dot4c_i32_i8_e32 v61, v45, v43
	v_mul_lo_u32 v43, v50, v56
	v_cvt_f32_i32_e32 v42, v42
	v_subrev_u32_e32 v57, 32, v57
	v_mul_lo_u32 v49, v51, v54
	v_cvt_f32_i32_e32 v43, v43
	v_cvt_f32_i32_e32 v41, v49
	v_mul_lo_u32 v45, v57, v61
	v_cvt_f32_i32_e32 v45, v45
	v_fma_mix_f32 v37, v37, v42, 0 op_sel_hi:[1,0,0]
	s_nop 0
	v_fma_mix_f32 v37, v38, v43, v37 op_sel_hi:[1,0,0]
	s_nop 0
	;; [unrolled: 2-line block ×4, first 2 shown]
	v_fma_mix_f32 v33, v37, v44, v33 op_sel_hi:[0,1,0]
	s_andn2_b64 exec, exec, s[4:5]
	s_cbranch_execnz .LBB243_3
; %bb.4:
	s_or_b64 exec, exec, s[4:5]
.LBB243_5:
	s_or_b64 exec, exec, s[10:11]
	v_mbcnt_lo_u32_b32 v0, -1, 0
	v_mbcnt_hi_u32_b32 v1, -1, v0
	v_and_b32_e32 v0, 64, v1
	v_add_u32_e32 v2, 64, v0
	v_xor_b32_e32 v0, 32, v1
	v_cmp_lt_i32_e32 vcc, v0, v2
	v_xor_b32_e32 v3, 16, v1
	v_xor_b32_e32 v4, 8, v1
	v_cndmask_b32_e32 v0, v1, v0, vcc
	v_lshlrev_b32_e32 v0, 2, v0
	ds_bpermute_b32 v0, v0, v33
	v_cmp_lt_i32_e32 vcc, v3, v2
	s_waitcnt lgkmcnt(0)
	v_add_f32_e32 v0, v33, v0
	v_cndmask_b32_e32 v3, v1, v3, vcc
	v_lshlrev_b32_e32 v3, 2, v3
	ds_bpermute_b32 v3, v3, v0
	v_cmp_lt_i32_e32 vcc, v4, v2
	s_waitcnt lgkmcnt(0)
	v_add_f32_e32 v0, v0, v3
	v_cndmask_b32_e32 v3, v1, v4, vcc
	v_lshlrev_b32_e32 v3, 2, v3
	ds_bpermute_b32 v3, v3, v0
	v_xor_b32_e32 v4, 4, v1
	v_cmp_lt_i32_e32 vcc, v4, v2
	s_waitcnt lgkmcnt(0)
	v_add_f32_e32 v0, v0, v3
	v_cndmask_b32_e32 v3, v1, v4, vcc
	v_lshlrev_b32_e32 v3, 2, v3
	ds_bpermute_b32 v3, v3, v0
	v_xor_b32_e32 v4, 2, v1
	v_cmp_lt_i32_e32 vcc, v4, v2
	s_waitcnt lgkmcnt(0)
	v_add_f32_e32 v0, v0, v3
	v_cndmask_b32_e32 v3, v1, v4, vcc
	v_lshlrev_b32_e32 v3, 2, v3
	ds_bpermute_b32 v3, v3, v0
	v_xor_b32_e32 v4, 1, v1
	v_cmp_lt_i32_e32 vcc, v4, v2
	s_waitcnt lgkmcnt(0)
	v_add_f32_e32 v0, v0, v3
	v_cndmask_b32_e32 v1, v1, v4, vcc
	v_lshlrev_b32_e32 v1, 2, v1
	ds_bpermute_b32 v1, v1, v0
	v_cmp_eq_u32_e32 vcc, 0, v23
	s_and_b64 exec, exec, vcc
	s_cbranch_execz .LBB243_7
; %bb.6:
	s_mul_i32 s0, s6, s8
	s_waitcnt lgkmcnt(0)
	v_add_f32_e32 v2, v0, v1
	v_add_u32_e32 v0, s0, v22
	v_mov_b32_e32 v1, 0
	v_lshl_add_u64 v[0:1], v[0:1], 2, s[2:3]
	global_store_dword v[0:1], v2, off
.LBB243_7:
	s_endpgm
	.section	.rodata,"a",@progbits
	.p2align	6, 0x0
	.amdhsa_kernel _ZL9moe_vec_qIfLi256ELi16E10block_q3_KLi1EXadL_ZL17vec_dot_q3_K_q8_1PKvPK10block_q8_1RKiEEEvS2_S2_PT_PS6_iiii
		.amdhsa_group_segment_fixed_size 0
		.amdhsa_private_segment_fixed_size 0
		.amdhsa_kernarg_size 304
		.amdhsa_user_sgpr_count 2
		.amdhsa_user_sgpr_dispatch_ptr 0
		.amdhsa_user_sgpr_queue_ptr 0
		.amdhsa_user_sgpr_kernarg_segment_ptr 1
		.amdhsa_user_sgpr_dispatch_id 0
		.amdhsa_user_sgpr_kernarg_preload_length 0
		.amdhsa_user_sgpr_kernarg_preload_offset 0
		.amdhsa_user_sgpr_private_segment_size 0
		.amdhsa_uses_dynamic_stack 0
		.amdhsa_enable_private_segment 0
		.amdhsa_system_sgpr_workgroup_id_x 1
		.amdhsa_system_sgpr_workgroup_id_y 0
		.amdhsa_system_sgpr_workgroup_id_z 1
		.amdhsa_system_sgpr_workgroup_info 0
		.amdhsa_system_vgpr_workitem_id 1
		.amdhsa_next_free_vgpr 65
		.amdhsa_next_free_sgpr 20
		.amdhsa_accum_offset 68
		.amdhsa_reserve_vcc 1
		.amdhsa_float_round_mode_32 0
		.amdhsa_float_round_mode_16_64 0
		.amdhsa_float_denorm_mode_32 3
		.amdhsa_float_denorm_mode_16_64 3
		.amdhsa_dx10_clamp 1
		.amdhsa_ieee_mode 1
		.amdhsa_fp16_overflow 0
		.amdhsa_tg_split 0
		.amdhsa_exception_fp_ieee_invalid_op 0
		.amdhsa_exception_fp_denorm_src 0
		.amdhsa_exception_fp_ieee_div_zero 0
		.amdhsa_exception_fp_ieee_overflow 0
		.amdhsa_exception_fp_ieee_underflow 0
		.amdhsa_exception_fp_ieee_inexact 0
		.amdhsa_exception_int_div_zero 0
	.end_amdhsa_kernel
	.section	.text._ZL9moe_vec_qIfLi256ELi16E10block_q3_KLi1EXadL_ZL17vec_dot_q3_K_q8_1PKvPK10block_q8_1RKiEEEvS2_S2_PT_PS6_iiii,"axG",@progbits,_ZL9moe_vec_qIfLi256ELi16E10block_q3_KLi1EXadL_ZL17vec_dot_q3_K_q8_1PKvPK10block_q8_1RKiEEEvS2_S2_PT_PS6_iiii,comdat
.Lfunc_end243:
	.size	_ZL9moe_vec_qIfLi256ELi16E10block_q3_KLi1EXadL_ZL17vec_dot_q3_K_q8_1PKvPK10block_q8_1RKiEEEvS2_S2_PT_PS6_iiii, .Lfunc_end243-_ZL9moe_vec_qIfLi256ELi16E10block_q3_KLi1EXadL_ZL17vec_dot_q3_K_q8_1PKvPK10block_q8_1RKiEEEvS2_S2_PT_PS6_iiii
                                        ; -- End function
	.set _ZL9moe_vec_qIfLi256ELi16E10block_q3_KLi1EXadL_ZL17vec_dot_q3_K_q8_1PKvPK10block_q8_1RKiEEEvS2_S2_PT_PS6_iiii.num_vgpr, 65
	.set _ZL9moe_vec_qIfLi256ELi16E10block_q3_KLi1EXadL_ZL17vec_dot_q3_K_q8_1PKvPK10block_q8_1RKiEEEvS2_S2_PT_PS6_iiii.num_agpr, 0
	.set _ZL9moe_vec_qIfLi256ELi16E10block_q3_KLi1EXadL_ZL17vec_dot_q3_K_q8_1PKvPK10block_q8_1RKiEEEvS2_S2_PT_PS6_iiii.numbered_sgpr, 20
	.set _ZL9moe_vec_qIfLi256ELi16E10block_q3_KLi1EXadL_ZL17vec_dot_q3_K_q8_1PKvPK10block_q8_1RKiEEEvS2_S2_PT_PS6_iiii.num_named_barrier, 0
	.set _ZL9moe_vec_qIfLi256ELi16E10block_q3_KLi1EXadL_ZL17vec_dot_q3_K_q8_1PKvPK10block_q8_1RKiEEEvS2_S2_PT_PS6_iiii.private_seg_size, 0
	.set _ZL9moe_vec_qIfLi256ELi16E10block_q3_KLi1EXadL_ZL17vec_dot_q3_K_q8_1PKvPK10block_q8_1RKiEEEvS2_S2_PT_PS6_iiii.uses_vcc, 1
	.set _ZL9moe_vec_qIfLi256ELi16E10block_q3_KLi1EXadL_ZL17vec_dot_q3_K_q8_1PKvPK10block_q8_1RKiEEEvS2_S2_PT_PS6_iiii.uses_flat_scratch, 0
	.set _ZL9moe_vec_qIfLi256ELi16E10block_q3_KLi1EXadL_ZL17vec_dot_q3_K_q8_1PKvPK10block_q8_1RKiEEEvS2_S2_PT_PS6_iiii.has_dyn_sized_stack, 0
	.set _ZL9moe_vec_qIfLi256ELi16E10block_q3_KLi1EXadL_ZL17vec_dot_q3_K_q8_1PKvPK10block_q8_1RKiEEEvS2_S2_PT_PS6_iiii.has_recursion, 0
	.set _ZL9moe_vec_qIfLi256ELi16E10block_q3_KLi1EXadL_ZL17vec_dot_q3_K_q8_1PKvPK10block_q8_1RKiEEEvS2_S2_PT_PS6_iiii.has_indirect_call, 0
	.section	.AMDGPU.csdata,"",@progbits
; Kernel info:
; codeLenInByte = 2056
; TotalNumSgprs: 26
; NumVgprs: 65
; NumAgprs: 0
; TotalNumVgprs: 65
; ScratchSize: 0
; MemoryBound: 0
; FloatMode: 240
; IeeeMode: 1
; LDSByteSize: 0 bytes/workgroup (compile time only)
; SGPRBlocks: 3
; VGPRBlocks: 8
; NumSGPRsForWavesPerEU: 26
; NumVGPRsForWavesPerEU: 65
; AccumOffset: 68
; Occupancy: 7
; WaveLimiterHint : 1
; COMPUTE_PGM_RSRC2:SCRATCH_EN: 0
; COMPUTE_PGM_RSRC2:USER_SGPR: 2
; COMPUTE_PGM_RSRC2:TRAP_HANDLER: 0
; COMPUTE_PGM_RSRC2:TGID_X_EN: 1
; COMPUTE_PGM_RSRC2:TGID_Y_EN: 0
; COMPUTE_PGM_RSRC2:TGID_Z_EN: 1
; COMPUTE_PGM_RSRC2:TIDIG_COMP_CNT: 1
; COMPUTE_PGM_RSRC3_GFX90A:ACCUM_OFFSET: 16
; COMPUTE_PGM_RSRC3_GFX90A:TG_SPLIT: 0
	.section	.text._ZL9moe_vec_qIfLi256ELi32E10block_q4_KLi2EXadL_ZL17vec_dot_q4_K_q8_1PKvPK10block_q8_1RKiEEEvS2_S2_PT_PS6_iiii,"axG",@progbits,_ZL9moe_vec_qIfLi256ELi32E10block_q4_KLi2EXadL_ZL17vec_dot_q4_K_q8_1PKvPK10block_q8_1RKiEEEvS2_S2_PT_PS6_iiii,comdat
	.globl	_ZL9moe_vec_qIfLi256ELi32E10block_q4_KLi2EXadL_ZL17vec_dot_q4_K_q8_1PKvPK10block_q8_1RKiEEEvS2_S2_PT_PS6_iiii ; -- Begin function _ZL9moe_vec_qIfLi256ELi32E10block_q4_KLi2EXadL_ZL17vec_dot_q4_K_q8_1PKvPK10block_q8_1RKiEEEvS2_S2_PT_PS6_iiii
	.p2align	8
	.type	_ZL9moe_vec_qIfLi256ELi32E10block_q4_KLi2EXadL_ZL17vec_dot_q4_K_q8_1PKvPK10block_q8_1RKiEEEvS2_S2_PT_PS6_iiii,@function
_ZL9moe_vec_qIfLi256ELi32E10block_q4_KLi2EXadL_ZL17vec_dot_q4_K_q8_1PKvPK10block_q8_1RKiEEEvS2_S2_PT_PS6_iiii: ; @_ZL9moe_vec_qIfLi256ELi32E10block_q4_KLi2EXadL_ZL17vec_dot_q4_K_q8_1PKvPK10block_q8_1RKiEEEvS2_S2_PT_PS6_iiii
; %bb.0:
	s_mov_b32 s8, s3
	s_load_dword s3, s[0:1], 0x3c
	s_load_dwordx4 s[4:7], s[0:1], 0x20
	v_bfe_u32 v1, v0, 10, 10
	s_waitcnt lgkmcnt(0)
	s_lshr_b32 s3, s3, 16
	s_mul_i32 s2, s2, s3
	v_add_u32_e32 v16, s2, v1
	v_cmp_gt_u32_e32 vcc, s6, v16
	s_and_saveexec_b64 s[2:3], vcc
	s_cbranch_execz .LBB244_11
; %bb.1:
	s_load_dwordx2 s[2:3], s[0:1], 0x10
	s_ashr_i32 s9, s5, 31
	s_lshr_b32 s9, s9, 24
	s_add_i32 s5, s5, s9
	s_ashr_i32 s12, s5, 8
	v_bfe_u32 v18, v0, 4, 6
	v_and_b32_e32 v17, 0x3ff, v0
	v_cmp_gt_u32_e32 vcc, s12, v18
	v_mov_b32_e32 v20, 0
	s_and_saveexec_b64 s[10:11], vcc
	s_cbranch_execz .LBB244_9
; %bb.2:
	s_load_dwordx2 s[14:15], s[0:1], 0x18
	v_cvt_f32_u32_e32 v0, s4
	s_mov_b32 s9, 0
	s_lshl_b64 s[16:17], s[8:9], 2
	v_mov_b32_e32 v1, 0
	s_waitcnt lgkmcnt(0)
	s_add_u32 s14, s14, s16
	v_rcp_iflag_f32_e32 v0, v0
	s_addc_u32 s15, s15, s17
	s_load_dword s5, s[14:15], 0x0
	s_load_dwordx4 s[16:19], s[0:1], 0x0
	s_mul_i32 s0, s12, s6
	v_mul_f32_e32 v0, 0x4f7ffffe, v0
	v_cvt_u32_f32_e32 v0, v0
	s_waitcnt lgkmcnt(0)
	s_mul_i32 s0, s0, s5
	s_mul_hi_i32 s1, s0, 0x90
	s_mulk_i32 s0, 0x90
	s_add_u32 s0, s16, s0
	s_addc_u32 s1, s17, s1
	s_sub_i32 s5, 0, s4
	v_readfirstlane_b32 s14, v0
	s_mul_i32 s5, s5, s14
	s_mul_hi_u32 s5, s14, s5
	s_add_i32 s14, s14, s5
	s_mul_hi_u32 s5, s8, s14
	s_mul_i32 s14, s5, s4
	s_sub_i32 s14, s8, s14
	s_add_i32 s15, s5, 1
	s_sub_i32 s16, s14, s4
	s_cmp_ge_u32 s14, s4
	s_cselect_b32 s5, s15, s5
	s_cselect_b32 s14, s16, s14
	s_add_i32 s15, s5, 1
	s_cmp_ge_u32 s14, s4
	s_cselect_b32 s4, s15, s5
	s_mul_i32 s4, s4, s7
	s_mov_b32 s5, s9
	s_lshl_b64 s[4:5], s[4:5], 2
	v_lshlrev_b32_e32 v0, 1, v17
	s_add_u32 s4, s18, s4
	v_and_b32_e32 v4, 30, v0
	v_bfe_u32 v8, v0, 3, 2
	s_addc_u32 s5, s19, s5
	v_cmp_lt_u32_e32 vcc, 15, v4
	v_lshlrev_b32_e32 v4, 1, v8
	v_and_b32_e32 v10, 3, v17
	v_mad_u64_u32 v[4:5], s[4:5], v4, 36, s[4:5]
	s_movk_i32 s13, 0x90
	v_mul_lo_u32 v19, v16, s12
	v_lshlrev_b32_e32 v0, 5, v8
	v_lshlrev_b32_e32 v2, 2, v10
	v_mov_b32_e32 v3, v1
	v_lshlrev_b32_e32 v21, 3, v18
	s_mov_b64 s[4:5], 0
	v_mov_b64_e32 v[6:7], s[0:1]
	v_lshlrev_b32_e32 v8, 1, v8
	v_mov_b32_e32 v9, v1
	s_mov_b32 s7, 0x5040100
	s_mov_b32 s9, 0x30303030
	v_lshlrev_b32_e32 v10, 2, v10
	v_mov_b32_e32 v11, v1
	s_movk_i32 s14, 0xff
	v_mov_b32_e32 v22, 0xff00ff
	v_mov_b32_e32 v20, v1
	s_branch .LBB244_4
.LBB244_3:                              ;   in Loop: Header=BB244_4 Depth=1
	s_or_b64 exec, exec, s[0:1]
	v_mad_i64_i32 v[14:15], s[0:1], v21, 36, v[4:5]
	v_lshl_add_u64 v[26:27], v[14:15], 0, v[10:11]
	global_load_dword v30, v[12:13], off
	global_load_dword v28, v[14:15], off
	global_load_dword v29, v[26:27], off offset:20
	global_load_dword v31, v[26:27], off offset:40
	;; [unrolled: 1-line block ×5, first 2 shown]
	s_waitcnt vmcnt(8)
	v_and_b32_e32 v15, 0xf0f0f0f, v24
	v_mov_b32_e32 v27, 0
	v_mov_b32_e32 v35, 0
	v_lshrrev_b32_e32 v14, 4, v24
	s_waitcnt vmcnt(7)
	v_and_b32_e32 v26, 0xf0f0f0f, v23
	v_and_b32_e32 v13, 0xff00ff, v25
	v_lshrrev_b32_e32 v23, 4, v23
	v_mov_b32_e32 v36, 0
	v_mov_b32_e32 v37, 0
	v_and_b32_e32 v38, 0xf0f0f0f, v14
	v_pk_lshrrev_b16 v12, 8, v25 op_sel_hi:[0,1]
	v_bitop3_b32 v25, v25, s14, v22 bitop3:0x80
	v_and_b32_e32 v23, 0xf0f0f0f, v23
	v_lshrrev_b32_e32 v40, 16, v13
	v_lshrrev_b32_e32 v39, 16, v12
	v_and_b32_e32 v12, 0xff, v12
	v_add_u32_e32 v18, 4, v18
	v_cmp_le_u32_e64 s[0:1], s12, v18
	s_or_b64 s[4:5], s[0:1], s[4:5]
	v_add_u32_e32 v21, 32, v21
	s_waitcnt vmcnt(6)
	v_cvt_f32_f16_sdwa v13, v30 dst_sel:DWORD dst_unused:UNUSED_PAD src0_sel:WORD_1
	s_waitcnt vmcnt(5)
	v_cvt_f32_f16_e32 v14, v28
	s_waitcnt vmcnt(3)
	v_dot4c_i32_i8_e32 v36, v38, v31
	v_dot4c_i32_i8_e32 v37, 0x1010101, v31
	s_waitcnt vmcnt(2)
	v_dot4c_i32_i8_e32 v36, v23, v32
	s_waitcnt vmcnt(0)
	v_dot4c_i32_i8_e32 v27, v15, v34
	v_dot4c_i32_i8_e32 v35, 0x1010101, v34
	;; [unrolled: 1-line block ×5, first 2 shown]
	v_mul_lo_u32 v12, v36, v12
	v_mul_lo_u32 v15, v27, v25
	;; [unrolled: 1-line block ×4, first 2 shown]
	v_cvt_f32_i32_e32 v27, v23
	v_cvt_f32_i32_e32 v26, v15
	v_cvt_f32_f16_e32 v24, v33
	v_cvt_f32_i32_e32 v29, v25
	v_cvt_f32_i32_e32 v28, v12
	v_cvt_f32_f16_e32 v12, v30
	v_pk_fma_f32 v[14:15], v[14:15], v[26:27], 0 op_sel_hi:[0,1,0]
	v_pk_fma_f32 v[14:15], v[24:25], v[28:29], v[14:15] op_sel_hi:[0,1,1]
	v_pk_mul_f32 v[12:13], v[14:15], v[12:13]
	s_nop 0
	v_sub_f32_e32 v12, v12, v13
	v_add_f32_e32 v20, v20, v12
	s_andn2_b64 exec, exec, s[4:5]
	s_cbranch_execz .LBB244_8
.LBB244_4:                              ; =>This Inner Loop Header: Depth=1
	v_add_u32_e32 v12, v19, v18
	v_mad_i64_i32 v[12:13], s[0:1], v12, s13, v[6:7]
	v_lshl_add_u64 v[14:15], v[12:13], 0, v[0:1]
	v_lshl_add_u64 v[14:15], v[14:15], 0, v[2:3]
	global_load_dword v24, v[14:15], off offset:16
	global_load_dword v23, v[14:15], off offset:32
	v_lshl_add_u64 v[14:15], v[12:13], 0, v[8:9]
                                        ; implicit-def: $vgpr25
	s_and_saveexec_b64 s[0:1], vcc
	s_xor_b64 s[0:1], exec, s[0:1]
	s_cbranch_execz .LBB244_6
; %bb.5:                                ;   in Loop: Header=BB244_4 Depth=1
	global_load_ushort v25, v[14:15], off
	global_load_ushort v26, v[14:15], off offset:8
	global_load_ushort v27, v[14:15], off offset:4
	s_waitcnt vmcnt(1)
	v_pk_lshrrev_b16 v14, 4, v26 op_sel:[1,0] op_sel_hi:[0,0]
	s_waitcnt vmcnt(0)
	v_perm_b32 v15, v27, v25, s7
	v_and_b32_e32 v14, 0xf0f0f0f, v14
	v_pk_lshrrev_b16 v15, 2, v15 op_sel_hi:[0,1]
	v_and_or_b32 v25, v15, s9, v14
                                        ; implicit-def: $vgpr14_vgpr15
.LBB244_6:                              ;   in Loop: Header=BB244_4 Depth=1
	s_andn2_saveexec_b64 s[0:1], s[0:1]
	s_cbranch_execz .LBB244_3
; %bb.7:                                ;   in Loop: Header=BB244_4 Depth=1
	global_load_ushort v25, v[14:15], off offset:4
	global_load_ushort v26, v[14:15], off offset:8
	s_waitcnt vmcnt(0)
	v_perm_b32 v14, v26, v25, s7
	v_and_b32_e32 v25, 0x3f3f3f3f, v14
	s_branch .LBB244_3
.LBB244_8:
	s_or_b64 exec, exec, s[4:5]
.LBB244_9:
	s_or_b64 exec, exec, s[10:11]
	v_mbcnt_lo_u32_b32 v0, -1, 0
	v_mbcnt_hi_u32_b32 v1, -1, v0
	v_and_b32_e32 v0, 64, v1
	v_add_u32_e32 v2, 64, v0
	v_xor_b32_e32 v0, 32, v1
	v_cmp_lt_i32_e32 vcc, v0, v2
	v_xor_b32_e32 v3, 16, v1
	v_xor_b32_e32 v4, 8, v1
	v_cndmask_b32_e32 v0, v1, v0, vcc
	v_lshlrev_b32_e32 v0, 2, v0
	ds_bpermute_b32 v0, v0, v20
	v_cmp_lt_i32_e32 vcc, v3, v2
	s_waitcnt lgkmcnt(0)
	v_add_f32_e32 v0, v20, v0
	v_cndmask_b32_e32 v3, v1, v3, vcc
	v_lshlrev_b32_e32 v3, 2, v3
	ds_bpermute_b32 v3, v3, v0
	v_cmp_lt_i32_e32 vcc, v4, v2
	s_waitcnt lgkmcnt(0)
	v_add_f32_e32 v0, v0, v3
	v_cndmask_b32_e32 v3, v1, v4, vcc
	v_lshlrev_b32_e32 v3, 2, v3
	ds_bpermute_b32 v3, v3, v0
	v_xor_b32_e32 v4, 4, v1
	v_cmp_lt_i32_e32 vcc, v4, v2
	s_waitcnt lgkmcnt(0)
	v_add_f32_e32 v0, v0, v3
	v_cndmask_b32_e32 v3, v1, v4, vcc
	v_lshlrev_b32_e32 v3, 2, v3
	ds_bpermute_b32 v3, v3, v0
	v_xor_b32_e32 v4, 2, v1
	;; [unrolled: 7-line block ×3, first 2 shown]
	v_cmp_lt_i32_e32 vcc, v4, v2
	s_waitcnt lgkmcnt(0)
	v_add_f32_e32 v0, v0, v3
	v_cndmask_b32_e32 v1, v1, v4, vcc
	v_lshlrev_b32_e32 v1, 2, v1
	ds_bpermute_b32 v1, v1, v0
	v_cmp_eq_u32_e32 vcc, 0, v17
	s_and_b64 exec, exec, vcc
	s_cbranch_execz .LBB244_11
; %bb.10:
	s_mul_i32 s0, s6, s8
	s_waitcnt lgkmcnt(0)
	v_add_f32_e32 v2, v0, v1
	v_add_u32_e32 v0, s0, v16
	v_mov_b32_e32 v1, 0
	v_lshl_add_u64 v[0:1], v[0:1], 2, s[2:3]
	global_store_dword v[0:1], v2, off
.LBB244_11:
	s_endpgm
	.section	.rodata,"a",@progbits
	.p2align	6, 0x0
	.amdhsa_kernel _ZL9moe_vec_qIfLi256ELi32E10block_q4_KLi2EXadL_ZL17vec_dot_q4_K_q8_1PKvPK10block_q8_1RKiEEEvS2_S2_PT_PS6_iiii
		.amdhsa_group_segment_fixed_size 0
		.amdhsa_private_segment_fixed_size 0
		.amdhsa_kernarg_size 304
		.amdhsa_user_sgpr_count 2
		.amdhsa_user_sgpr_dispatch_ptr 0
		.amdhsa_user_sgpr_queue_ptr 0
		.amdhsa_user_sgpr_kernarg_segment_ptr 1
		.amdhsa_user_sgpr_dispatch_id 0
		.amdhsa_user_sgpr_kernarg_preload_length 0
		.amdhsa_user_sgpr_kernarg_preload_offset 0
		.amdhsa_user_sgpr_private_segment_size 0
		.amdhsa_uses_dynamic_stack 0
		.amdhsa_enable_private_segment 0
		.amdhsa_system_sgpr_workgroup_id_x 1
		.amdhsa_system_sgpr_workgroup_id_y 0
		.amdhsa_system_sgpr_workgroup_id_z 1
		.amdhsa_system_sgpr_workgroup_info 0
		.amdhsa_system_vgpr_workitem_id 1
		.amdhsa_next_free_vgpr 41
		.amdhsa_next_free_sgpr 20
		.amdhsa_accum_offset 44
		.amdhsa_reserve_vcc 1
		.amdhsa_float_round_mode_32 0
		.amdhsa_float_round_mode_16_64 0
		.amdhsa_float_denorm_mode_32 3
		.amdhsa_float_denorm_mode_16_64 3
		.amdhsa_dx10_clamp 1
		.amdhsa_ieee_mode 1
		.amdhsa_fp16_overflow 0
		.amdhsa_tg_split 0
		.amdhsa_exception_fp_ieee_invalid_op 0
		.amdhsa_exception_fp_denorm_src 0
		.amdhsa_exception_fp_ieee_div_zero 0
		.amdhsa_exception_fp_ieee_overflow 0
		.amdhsa_exception_fp_ieee_underflow 0
		.amdhsa_exception_fp_ieee_inexact 0
		.amdhsa_exception_int_div_zero 0
	.end_amdhsa_kernel
	.section	.text._ZL9moe_vec_qIfLi256ELi32E10block_q4_KLi2EXadL_ZL17vec_dot_q4_K_q8_1PKvPK10block_q8_1RKiEEEvS2_S2_PT_PS6_iiii,"axG",@progbits,_ZL9moe_vec_qIfLi256ELi32E10block_q4_KLi2EXadL_ZL17vec_dot_q4_K_q8_1PKvPK10block_q8_1RKiEEEvS2_S2_PT_PS6_iiii,comdat
.Lfunc_end244:
	.size	_ZL9moe_vec_qIfLi256ELi32E10block_q4_KLi2EXadL_ZL17vec_dot_q4_K_q8_1PKvPK10block_q8_1RKiEEEvS2_S2_PT_PS6_iiii, .Lfunc_end244-_ZL9moe_vec_qIfLi256ELi32E10block_q4_KLi2EXadL_ZL17vec_dot_q4_K_q8_1PKvPK10block_q8_1RKiEEEvS2_S2_PT_PS6_iiii
                                        ; -- End function
	.set _ZL9moe_vec_qIfLi256ELi32E10block_q4_KLi2EXadL_ZL17vec_dot_q4_K_q8_1PKvPK10block_q8_1RKiEEEvS2_S2_PT_PS6_iiii.num_vgpr, 41
	.set _ZL9moe_vec_qIfLi256ELi32E10block_q4_KLi2EXadL_ZL17vec_dot_q4_K_q8_1PKvPK10block_q8_1RKiEEEvS2_S2_PT_PS6_iiii.num_agpr, 0
	.set _ZL9moe_vec_qIfLi256ELi32E10block_q4_KLi2EXadL_ZL17vec_dot_q4_K_q8_1PKvPK10block_q8_1RKiEEEvS2_S2_PT_PS6_iiii.numbered_sgpr, 20
	.set _ZL9moe_vec_qIfLi256ELi32E10block_q4_KLi2EXadL_ZL17vec_dot_q4_K_q8_1PKvPK10block_q8_1RKiEEEvS2_S2_PT_PS6_iiii.num_named_barrier, 0
	.set _ZL9moe_vec_qIfLi256ELi32E10block_q4_KLi2EXadL_ZL17vec_dot_q4_K_q8_1PKvPK10block_q8_1RKiEEEvS2_S2_PT_PS6_iiii.private_seg_size, 0
	.set _ZL9moe_vec_qIfLi256ELi32E10block_q4_KLi2EXadL_ZL17vec_dot_q4_K_q8_1PKvPK10block_q8_1RKiEEEvS2_S2_PT_PS6_iiii.uses_vcc, 1
	.set _ZL9moe_vec_qIfLi256ELi32E10block_q4_KLi2EXadL_ZL17vec_dot_q4_K_q8_1PKvPK10block_q8_1RKiEEEvS2_S2_PT_PS6_iiii.uses_flat_scratch, 0
	.set _ZL9moe_vec_qIfLi256ELi32E10block_q4_KLi2EXadL_ZL17vec_dot_q4_K_q8_1PKvPK10block_q8_1RKiEEEvS2_S2_PT_PS6_iiii.has_dyn_sized_stack, 0
	.set _ZL9moe_vec_qIfLi256ELi32E10block_q4_KLi2EXadL_ZL17vec_dot_q4_K_q8_1PKvPK10block_q8_1RKiEEEvS2_S2_PT_PS6_iiii.has_recursion, 0
	.set _ZL9moe_vec_qIfLi256ELi32E10block_q4_KLi2EXadL_ZL17vec_dot_q4_K_q8_1PKvPK10block_q8_1RKiEEEvS2_S2_PT_PS6_iiii.has_indirect_call, 0
	.section	.AMDGPU.csdata,"",@progbits
; Kernel info:
; codeLenInByte = 1252
; TotalNumSgprs: 26
; NumVgprs: 41
; NumAgprs: 0
; TotalNumVgprs: 41
; ScratchSize: 0
; MemoryBound: 0
; FloatMode: 240
; IeeeMode: 1
; LDSByteSize: 0 bytes/workgroup (compile time only)
; SGPRBlocks: 3
; VGPRBlocks: 5
; NumSGPRsForWavesPerEU: 26
; NumVGPRsForWavesPerEU: 41
; AccumOffset: 44
; Occupancy: 8
; WaveLimiterHint : 1
; COMPUTE_PGM_RSRC2:SCRATCH_EN: 0
; COMPUTE_PGM_RSRC2:USER_SGPR: 2
; COMPUTE_PGM_RSRC2:TRAP_HANDLER: 0
; COMPUTE_PGM_RSRC2:TGID_X_EN: 1
; COMPUTE_PGM_RSRC2:TGID_Y_EN: 0
; COMPUTE_PGM_RSRC2:TGID_Z_EN: 1
; COMPUTE_PGM_RSRC2:TIDIG_COMP_CNT: 1
; COMPUTE_PGM_RSRC3_GFX90A:ACCUM_OFFSET: 10
; COMPUTE_PGM_RSRC3_GFX90A:TG_SPLIT: 0
	.section	.text._ZL9moe_vec_qIfLi256ELi32E10block_q5_KLi2EXadL_ZL17vec_dot_q5_K_q8_1PKvPK10block_q8_1RKiEEEvS2_S2_PT_PS6_iiii,"axG",@progbits,_ZL9moe_vec_qIfLi256ELi32E10block_q5_KLi2EXadL_ZL17vec_dot_q5_K_q8_1PKvPK10block_q8_1RKiEEEvS2_S2_PT_PS6_iiii,comdat
	.globl	_ZL9moe_vec_qIfLi256ELi32E10block_q5_KLi2EXadL_ZL17vec_dot_q5_K_q8_1PKvPK10block_q8_1RKiEEEvS2_S2_PT_PS6_iiii ; -- Begin function _ZL9moe_vec_qIfLi256ELi32E10block_q5_KLi2EXadL_ZL17vec_dot_q5_K_q8_1PKvPK10block_q8_1RKiEEEvS2_S2_PT_PS6_iiii
	.p2align	8
	.type	_ZL9moe_vec_qIfLi256ELi32E10block_q5_KLi2EXadL_ZL17vec_dot_q5_K_q8_1PKvPK10block_q8_1RKiEEEvS2_S2_PT_PS6_iiii,@function
_ZL9moe_vec_qIfLi256ELi32E10block_q5_KLi2EXadL_ZL17vec_dot_q5_K_q8_1PKvPK10block_q8_1RKiEEEvS2_S2_PT_PS6_iiii: ; @_ZL9moe_vec_qIfLi256ELi32E10block_q5_KLi2EXadL_ZL17vec_dot_q5_K_q8_1PKvPK10block_q8_1RKiEEEvS2_S2_PT_PS6_iiii
; %bb.0:
	s_mov_b32 s8, s3
	s_load_dword s3, s[0:1], 0x3c
	s_load_dwordx4 s[4:7], s[0:1], 0x20
	v_bfe_u32 v1, v0, 10, 10
	s_waitcnt lgkmcnt(0)
	s_lshr_b32 s3, s3, 16
	s_mul_i32 s2, s2, s3
	v_add_u32_e32 v16, s2, v1
	v_cmp_gt_u32_e32 vcc, s6, v16
	s_and_saveexec_b64 s[2:3], vcc
	s_cbranch_execz .LBB245_11
; %bb.1:
	s_load_dwordx2 s[2:3], s[0:1], 0x10
	s_ashr_i32 s9, s5, 31
	s_lshr_b32 s9, s9, 24
	s_add_i32 s5, s5, s9
	s_ashr_i32 s12, s5, 8
	v_bfe_u32 v18, v0, 4, 6
	v_and_b32_e32 v17, 0x3ff, v0
	v_cmp_gt_u32_e32 vcc, s12, v18
	v_mov_b32_e32 v20, 0
	s_and_saveexec_b64 s[10:11], vcc
	s_cbranch_execz .LBB245_9
; %bb.2:
	s_load_dwordx2 s[14:15], s[0:1], 0x18
	v_cvt_f32_u32_e32 v0, s4
	s_mov_b32 s9, 0
	s_lshl_b64 s[16:17], s[8:9], 2
	v_mov_b32_e32 v1, 0
	s_waitcnt lgkmcnt(0)
	s_add_u32 s14, s14, s16
	v_rcp_iflag_f32_e32 v0, v0
	s_addc_u32 s15, s15, s17
	s_load_dword s5, s[14:15], 0x0
	s_load_dwordx4 s[16:19], s[0:1], 0x0
	s_mul_i32 s0, s12, s6
	v_mul_f32_e32 v0, 0x4f7ffffe, v0
	v_cvt_u32_f32_e32 v0, v0
	s_waitcnt lgkmcnt(0)
	s_mul_i32 s0, s0, s5
	s_mul_hi_i32 s1, s0, 0xb0
	s_mulk_i32 s0, 0xb0
	s_add_u32 s0, s16, s0
	s_addc_u32 s1, s17, s1
	s_sub_i32 s5, 0, s4
	v_readfirstlane_b32 s14, v0
	s_mul_i32 s5, s5, s14
	s_mul_hi_u32 s5, s14, s5
	s_add_i32 s14, s14, s5
	s_mul_hi_u32 s5, s8, s14
	s_mul_i32 s14, s5, s4
	s_sub_i32 s14, s8, s14
	s_add_i32 s15, s5, 1
	s_sub_i32 s16, s14, s4
	s_cmp_ge_u32 s14, s4
	s_cselect_b32 s5, s15, s5
	s_cselect_b32 s14, s16, s14
	s_add_i32 s15, s5, 1
	s_cmp_ge_u32 s14, s4
	s_cselect_b32 s4, s15, s5
	s_mul_i32 s4, s4, s7
	s_mov_b32 s5, s9
	s_lshl_b64 s[4:5], s[4:5], 2
	v_lshlrev_b32_e32 v0, 1, v17
	s_add_u32 s4, s18, s4
	v_bfe_u32 v8, v0, 3, 2
	s_addc_u32 s5, s19, s5
	v_and_b32_e32 v4, 30, v0
	v_lshlrev_b32_e32 v21, 1, v8
	v_and_b32_e32 v10, 3, v17
	v_cmp_lt_u32_e32 vcc, 15, v4
	v_mad_u64_u32 v[4:5], s[4:5], v21, 36, s[4:5]
	s_movk_i32 s13, 0xb0
	v_mul_lo_u32 v19, v16, s12
	v_lshlrev_b32_e32 v0, 5, v8
	v_lshlrev_b32_e32 v2, 2, v10
	v_mov_b32_e32 v3, v1
	v_lshlrev_b32_e32 v22, 3, v18
	s_mov_b64 s[4:5], 0
	v_mov_b64_e32 v[6:7], s[0:1]
	v_lshlrev_b32_e32 v8, 1, v8
	v_mov_b32_e32 v9, v1
	s_mov_b32 s7, 0x5040100
	s_mov_b32 s9, 0x30303030
	v_lshlrev_b32_e32 v10, 2, v10
	v_mov_b32_e32 v11, v1
	s_mov_b32 s14, 0x10101010
	s_movk_i32 s15, 0xff
	v_mov_b32_e32 v23, 0xff00ff
	v_mov_b32_e32 v20, v1
	s_branch .LBB245_4
.LBB245_3:                              ;   in Loop: Header=BB245_4 Depth=1
	s_or_b64 exec, exec, s[0:1]
	v_mad_i64_i32 v[14:15], s[0:1], v22, 36, v[4:5]
	v_lshl_add_u64 v[30:31], v[14:15], 0, v[10:11]
	global_load_dword v32, v[12:13], off
	global_load_dword v29, v[14:15], off
	global_load_dword v33, v[30:31], off offset:20
	global_load_dword v34, v[30:31], off offset:40
	;; [unrolled: 1-line block ×5, first 2 shown]
	s_waitcnt vmcnt(7)
	v_ashrrev_i32_e32 v13, v21, v28
	v_ashrrev_i32_e32 v14, v21, v27
	v_and_b32_e32 v27, 0xf0f0f0f, v24
	v_lshrrev_b32_e32 v24, 4, v24
	v_lshlrev_b32_e32 v41, 4, v13
	v_and_b32_e32 v15, 0xf0f0f0f, v25
	v_mov_b32_e32 v28, 0
	v_mov_b32_e32 v30, 0
	v_lshrrev_b32_e32 v25, 4, v25
	v_lshlrev_b32_e32 v40, 4, v14
	v_and_b32_e32 v24, 0xf0f0f0f, v24
	v_lshlrev_b32_e32 v13, 3, v13
	v_and_or_b32 v27, v41, s14, v27
	v_and_b32_e32 v31, 0xff00ff, v26
	v_mov_b32_e32 v38, 0
	v_mov_b32_e32 v39, 0
	v_and_b32_e32 v25, 0xf0f0f0f, v25
	v_lshlrev_b32_e32 v14, 3, v14
	v_and_or_b32 v15, v40, s14, v15
	v_and_or_b32 v40, v13, s14, v24
	v_pk_lshrrev_b16 v12, 8, v26 op_sel_hi:[0,1]
	v_bitop3_b32 v26, v26, s15, v23 bitop3:0x80
	v_lshrrev_b32_e32 v31, 16, v31
	v_and_or_b32 v25, v14, s14, v25
	v_lshrrev_b32_e32 v42, 16, v12
	v_and_b32_e32 v12, 0xff, v12
	v_add_u32_e32 v18, 4, v18
	v_cmp_le_u32_e64 s[0:1], s12, v18
	s_or_b64 s[4:5], s[0:1], s[4:5]
	v_add_u32_e32 v22, 32, v22
	s_waitcnt vmcnt(6)
	v_cvt_f32_f16_sdwa v13, v32 dst_sel:DWORD dst_unused:UNUSED_PAD src0_sel:WORD_1
	s_waitcnt vmcnt(5)
	v_cvt_f32_f16_e32 v14, v29
	s_waitcnt vmcnt(4)
	v_dot4c_i32_i8_e32 v28, v27, v33
	v_dot4c_i32_i8_e32 v30, 0x1010101, v33
	s_waitcnt vmcnt(2)
	v_dot4c_i32_i8_e32 v38, v40, v35
	v_dot4c_i32_i8_e32 v39, 0x1010101, v35
	;; [unrolled: 3-line block ×3, first 2 shown]
	v_dot4c_i32_i8_e32 v38, v25, v34
	v_dot4c_i32_i8_e32 v39, 0x1010101, v34
	v_mul_lo_u32 v15, v28, v26
	v_mul_lo_u32 v25, v30, v31
	;; [unrolled: 1-line block ×4, first 2 shown]
	v_cvt_f32_i32_e32 v27, v25
	v_cvt_f32_i32_e32 v26, v15
	v_cvt_f32_f16_e32 v24, v36
	v_cvt_f32_i32_e32 v29, v28
	v_cvt_f32_i32_e32 v28, v12
	v_cvt_f32_f16_e32 v12, v32
	v_pk_fma_f32 v[14:15], v[14:15], v[26:27], 0 op_sel_hi:[0,1,0]
	v_pk_fma_f32 v[14:15], v[24:25], v[28:29], v[14:15] op_sel_hi:[0,1,1]
	v_pk_mul_f32 v[12:13], v[14:15], v[12:13]
	s_nop 0
	v_sub_f32_e32 v12, v12, v13
	v_add_f32_e32 v20, v20, v12
	s_andn2_b64 exec, exec, s[4:5]
	s_cbranch_execz .LBB245_8
.LBB245_4:                              ; =>This Inner Loop Header: Depth=1
	v_add_u32_e32 v12, v19, v18
	v_mad_i64_i32 v[12:13], s[0:1], v12, s13, v[6:7]
	v_lshl_add_u64 v[14:15], v[12:13], 0, v[0:1]
	v_lshl_add_u64 v[14:15], v[14:15], 0, v[2:3]
	;; [unrolled: 1-line block ×3, first 2 shown]
	global_load_dword v25, v[14:15], off offset:48
	global_load_dword v24, v[14:15], off offset:64
	;; [unrolled: 1-line block ×4, first 2 shown]
	v_lshl_add_u64 v[14:15], v[12:13], 0, v[8:9]
                                        ; implicit-def: $vgpr26
	s_and_saveexec_b64 s[0:1], vcc
	s_xor_b64 s[0:1], exec, s[0:1]
	s_cbranch_execz .LBB245_6
; %bb.5:                                ;   in Loop: Header=BB245_4 Depth=1
	global_load_ushort v26, v[14:15], off
	global_load_ushort v29, v[14:15], off offset:8
	global_load_ushort v30, v[14:15], off offset:4
	s_waitcnt vmcnt(1)
	v_pk_lshrrev_b16 v14, 4, v29 op_sel:[1,0] op_sel_hi:[0,0]
	s_waitcnt vmcnt(0)
	v_perm_b32 v15, v30, v26, s7
	v_and_b32_e32 v14, 0xf0f0f0f, v14
	v_pk_lshrrev_b16 v15, 2, v15 op_sel_hi:[0,1]
	v_and_or_b32 v26, v15, s9, v14
                                        ; implicit-def: $vgpr14_vgpr15
.LBB245_6:                              ;   in Loop: Header=BB245_4 Depth=1
	s_andn2_saveexec_b64 s[0:1], s[0:1]
	s_cbranch_execz .LBB245_3
; %bb.7:                                ;   in Loop: Header=BB245_4 Depth=1
	global_load_ushort v26, v[14:15], off offset:4
	global_load_ushort v29, v[14:15], off offset:8
	s_waitcnt vmcnt(0)
	v_perm_b32 v14, v29, v26, s7
	v_and_b32_e32 v26, 0x3f3f3f3f, v14
	s_branch .LBB245_3
.LBB245_8:
	s_or_b64 exec, exec, s[4:5]
.LBB245_9:
	s_or_b64 exec, exec, s[10:11]
	v_mbcnt_lo_u32_b32 v0, -1, 0
	v_mbcnt_hi_u32_b32 v1, -1, v0
	v_and_b32_e32 v0, 64, v1
	v_add_u32_e32 v2, 64, v0
	v_xor_b32_e32 v0, 32, v1
	v_cmp_lt_i32_e32 vcc, v0, v2
	v_xor_b32_e32 v3, 16, v1
	v_xor_b32_e32 v4, 8, v1
	v_cndmask_b32_e32 v0, v1, v0, vcc
	v_lshlrev_b32_e32 v0, 2, v0
	ds_bpermute_b32 v0, v0, v20
	v_cmp_lt_i32_e32 vcc, v3, v2
	s_waitcnt lgkmcnt(0)
	v_add_f32_e32 v0, v20, v0
	v_cndmask_b32_e32 v3, v1, v3, vcc
	v_lshlrev_b32_e32 v3, 2, v3
	ds_bpermute_b32 v3, v3, v0
	v_cmp_lt_i32_e32 vcc, v4, v2
	s_waitcnt lgkmcnt(0)
	v_add_f32_e32 v0, v0, v3
	v_cndmask_b32_e32 v3, v1, v4, vcc
	v_lshlrev_b32_e32 v3, 2, v3
	ds_bpermute_b32 v3, v3, v0
	v_xor_b32_e32 v4, 4, v1
	v_cmp_lt_i32_e32 vcc, v4, v2
	s_waitcnt lgkmcnt(0)
	v_add_f32_e32 v0, v0, v3
	v_cndmask_b32_e32 v3, v1, v4, vcc
	v_lshlrev_b32_e32 v3, 2, v3
	ds_bpermute_b32 v3, v3, v0
	v_xor_b32_e32 v4, 2, v1
	v_cmp_lt_i32_e32 vcc, v4, v2
	s_waitcnt lgkmcnt(0)
	v_add_f32_e32 v0, v0, v3
	v_cndmask_b32_e32 v3, v1, v4, vcc
	v_lshlrev_b32_e32 v3, 2, v3
	ds_bpermute_b32 v3, v3, v0
	v_xor_b32_e32 v4, 1, v1
	v_cmp_lt_i32_e32 vcc, v4, v2
	s_waitcnt lgkmcnt(0)
	v_add_f32_e32 v0, v0, v3
	v_cndmask_b32_e32 v1, v1, v4, vcc
	v_lshlrev_b32_e32 v1, 2, v1
	ds_bpermute_b32 v1, v1, v0
	v_cmp_eq_u32_e32 vcc, 0, v17
	s_and_b64 exec, exec, vcc
	s_cbranch_execz .LBB245_11
; %bb.10:
	s_mul_i32 s0, s6, s8
	s_waitcnt lgkmcnt(0)
	v_add_f32_e32 v2, v0, v1
	v_add_u32_e32 v0, s0, v16
	v_mov_b32_e32 v1, 0
	v_lshl_add_u64 v[0:1], v[0:1], 2, s[2:3]
	global_store_dword v[0:1], v2, off
.LBB245_11:
	s_endpgm
	.section	.rodata,"a",@progbits
	.p2align	6, 0x0
	.amdhsa_kernel _ZL9moe_vec_qIfLi256ELi32E10block_q5_KLi2EXadL_ZL17vec_dot_q5_K_q8_1PKvPK10block_q8_1RKiEEEvS2_S2_PT_PS6_iiii
		.amdhsa_group_segment_fixed_size 0
		.amdhsa_private_segment_fixed_size 0
		.amdhsa_kernarg_size 304
		.amdhsa_user_sgpr_count 2
		.amdhsa_user_sgpr_dispatch_ptr 0
		.amdhsa_user_sgpr_queue_ptr 0
		.amdhsa_user_sgpr_kernarg_segment_ptr 1
		.amdhsa_user_sgpr_dispatch_id 0
		.amdhsa_user_sgpr_kernarg_preload_length 0
		.amdhsa_user_sgpr_kernarg_preload_offset 0
		.amdhsa_user_sgpr_private_segment_size 0
		.amdhsa_uses_dynamic_stack 0
		.amdhsa_enable_private_segment 0
		.amdhsa_system_sgpr_workgroup_id_x 1
		.amdhsa_system_sgpr_workgroup_id_y 0
		.amdhsa_system_sgpr_workgroup_id_z 1
		.amdhsa_system_sgpr_workgroup_info 0
		.amdhsa_system_vgpr_workitem_id 1
		.amdhsa_next_free_vgpr 43
		.amdhsa_next_free_sgpr 20
		.amdhsa_accum_offset 44
		.amdhsa_reserve_vcc 1
		.amdhsa_float_round_mode_32 0
		.amdhsa_float_round_mode_16_64 0
		.amdhsa_float_denorm_mode_32 3
		.amdhsa_float_denorm_mode_16_64 3
		.amdhsa_dx10_clamp 1
		.amdhsa_ieee_mode 1
		.amdhsa_fp16_overflow 0
		.amdhsa_tg_split 0
		.amdhsa_exception_fp_ieee_invalid_op 0
		.amdhsa_exception_fp_denorm_src 0
		.amdhsa_exception_fp_ieee_div_zero 0
		.amdhsa_exception_fp_ieee_overflow 0
		.amdhsa_exception_fp_ieee_underflow 0
		.amdhsa_exception_fp_ieee_inexact 0
		.amdhsa_exception_int_div_zero 0
	.end_amdhsa_kernel
	.section	.text._ZL9moe_vec_qIfLi256ELi32E10block_q5_KLi2EXadL_ZL17vec_dot_q5_K_q8_1PKvPK10block_q8_1RKiEEEvS2_S2_PT_PS6_iiii,"axG",@progbits,_ZL9moe_vec_qIfLi256ELi32E10block_q5_KLi2EXadL_ZL17vec_dot_q5_K_q8_1PKvPK10block_q8_1RKiEEEvS2_S2_PT_PS6_iiii,comdat
.Lfunc_end245:
	.size	_ZL9moe_vec_qIfLi256ELi32E10block_q5_KLi2EXadL_ZL17vec_dot_q5_K_q8_1PKvPK10block_q8_1RKiEEEvS2_S2_PT_PS6_iiii, .Lfunc_end245-_ZL9moe_vec_qIfLi256ELi32E10block_q5_KLi2EXadL_ZL17vec_dot_q5_K_q8_1PKvPK10block_q8_1RKiEEEvS2_S2_PT_PS6_iiii
                                        ; -- End function
	.set _ZL9moe_vec_qIfLi256ELi32E10block_q5_KLi2EXadL_ZL17vec_dot_q5_K_q8_1PKvPK10block_q8_1RKiEEEvS2_S2_PT_PS6_iiii.num_vgpr, 43
	.set _ZL9moe_vec_qIfLi256ELi32E10block_q5_KLi2EXadL_ZL17vec_dot_q5_K_q8_1PKvPK10block_q8_1RKiEEEvS2_S2_PT_PS6_iiii.num_agpr, 0
	.set _ZL9moe_vec_qIfLi256ELi32E10block_q5_KLi2EXadL_ZL17vec_dot_q5_K_q8_1PKvPK10block_q8_1RKiEEEvS2_S2_PT_PS6_iiii.numbered_sgpr, 20
	.set _ZL9moe_vec_qIfLi256ELi32E10block_q5_KLi2EXadL_ZL17vec_dot_q5_K_q8_1PKvPK10block_q8_1RKiEEEvS2_S2_PT_PS6_iiii.num_named_barrier, 0
	.set _ZL9moe_vec_qIfLi256ELi32E10block_q5_KLi2EXadL_ZL17vec_dot_q5_K_q8_1PKvPK10block_q8_1RKiEEEvS2_S2_PT_PS6_iiii.private_seg_size, 0
	.set _ZL9moe_vec_qIfLi256ELi32E10block_q5_KLi2EXadL_ZL17vec_dot_q5_K_q8_1PKvPK10block_q8_1RKiEEEvS2_S2_PT_PS6_iiii.uses_vcc, 1
	.set _ZL9moe_vec_qIfLi256ELi32E10block_q5_KLi2EXadL_ZL17vec_dot_q5_K_q8_1PKvPK10block_q8_1RKiEEEvS2_S2_PT_PS6_iiii.uses_flat_scratch, 0
	.set _ZL9moe_vec_qIfLi256ELi32E10block_q5_KLi2EXadL_ZL17vec_dot_q5_K_q8_1PKvPK10block_q8_1RKiEEEvS2_S2_PT_PS6_iiii.has_dyn_sized_stack, 0
	.set _ZL9moe_vec_qIfLi256ELi32E10block_q5_KLi2EXadL_ZL17vec_dot_q5_K_q8_1PKvPK10block_q8_1RKiEEEvS2_S2_PT_PS6_iiii.has_recursion, 0
	.set _ZL9moe_vec_qIfLi256ELi32E10block_q5_KLi2EXadL_ZL17vec_dot_q5_K_q8_1PKvPK10block_q8_1RKiEEEvS2_S2_PT_PS6_iiii.has_indirect_call, 0
	.section	.AMDGPU.csdata,"",@progbits
; Kernel info:
; codeLenInByte = 1336
; TotalNumSgprs: 26
; NumVgprs: 43
; NumAgprs: 0
; TotalNumVgprs: 43
; ScratchSize: 0
; MemoryBound: 0
; FloatMode: 240
; IeeeMode: 1
; LDSByteSize: 0 bytes/workgroup (compile time only)
; SGPRBlocks: 3
; VGPRBlocks: 5
; NumSGPRsForWavesPerEU: 26
; NumVGPRsForWavesPerEU: 43
; AccumOffset: 44
; Occupancy: 8
; WaveLimiterHint : 1
; COMPUTE_PGM_RSRC2:SCRATCH_EN: 0
; COMPUTE_PGM_RSRC2:USER_SGPR: 2
; COMPUTE_PGM_RSRC2:TRAP_HANDLER: 0
; COMPUTE_PGM_RSRC2:TGID_X_EN: 1
; COMPUTE_PGM_RSRC2:TGID_Y_EN: 0
; COMPUTE_PGM_RSRC2:TGID_Z_EN: 1
; COMPUTE_PGM_RSRC2:TIDIG_COMP_CNT: 1
; COMPUTE_PGM_RSRC3_GFX90A:ACCUM_OFFSET: 10
; COMPUTE_PGM_RSRC3_GFX90A:TG_SPLIT: 0
	.section	.text._ZL9moe_vec_qIfLi256ELi32E10block_q6_KLi1EXadL_ZL17vec_dot_q6_K_q8_1PKvPK10block_q8_1RKiEEEvS2_S2_PT_PS6_iiii,"axG",@progbits,_ZL9moe_vec_qIfLi256ELi32E10block_q6_KLi1EXadL_ZL17vec_dot_q6_K_q8_1PKvPK10block_q8_1RKiEEEvS2_S2_PT_PS6_iiii,comdat
	.globl	_ZL9moe_vec_qIfLi256ELi32E10block_q6_KLi1EXadL_ZL17vec_dot_q6_K_q8_1PKvPK10block_q8_1RKiEEEvS2_S2_PT_PS6_iiii ; -- Begin function _ZL9moe_vec_qIfLi256ELi32E10block_q6_KLi1EXadL_ZL17vec_dot_q6_K_q8_1PKvPK10block_q8_1RKiEEEvS2_S2_PT_PS6_iiii
	.p2align	8
	.type	_ZL9moe_vec_qIfLi256ELi32E10block_q6_KLi1EXadL_ZL17vec_dot_q6_K_q8_1PKvPK10block_q8_1RKiEEEvS2_S2_PT_PS6_iiii,@function
_ZL9moe_vec_qIfLi256ELi32E10block_q6_KLi1EXadL_ZL17vec_dot_q6_K_q8_1PKvPK10block_q8_1RKiEEEvS2_S2_PT_PS6_iiii: ; @_ZL9moe_vec_qIfLi256ELi32E10block_q6_KLi1EXadL_ZL17vec_dot_q6_K_q8_1PKvPK10block_q8_1RKiEEEvS2_S2_PT_PS6_iiii
; %bb.0:
	s_mov_b32 s8, s3
	s_load_dword s3, s[0:1], 0x3c
	s_load_dwordx4 s[4:7], s[0:1], 0x20
	v_bfe_u32 v1, v0, 10, 10
	s_waitcnt lgkmcnt(0)
	s_lshr_b32 s3, s3, 16
	s_mul_i32 s2, s2, s3
	v_add_u32_e32 v12, s2, v1
	v_cmp_gt_u32_e32 vcc, s6, v12
	s_and_saveexec_b64 s[2:3], vcc
	s_cbranch_execz .LBB246_7
; %bb.1:
	s_load_dwordx2 s[2:3], s[0:1], 0x10
	s_ashr_i32 s9, s5, 31
	s_lshr_b32 s9, s9, 24
	s_add_i32 s5, s5, s9
	s_ashr_i32 s5, s5, 8
	v_bfe_u32 v14, v0, 5, 5
	v_and_b32_e32 v13, 0x3ff, v0
	v_cmp_gt_u32_e32 vcc, s5, v14
	v_mov_b32_e32 v16, 0
	s_and_saveexec_b64 s[10:11], vcc
	s_cbranch_execz .LBB246_5
; %bb.2:
	s_load_dwordx2 s[12:13], s[0:1], 0x18
	v_cvt_f32_u32_e32 v0, s4
	s_mov_b32 s9, 0
	s_lshl_b64 s[14:15], s[8:9], 2
	v_and_b32_e32 v2, 31, v13
	s_waitcnt lgkmcnt(0)
	s_add_u32 s12, s12, s14
	v_rcp_iflag_f32_e32 v0, v0
	s_addc_u32 s13, s13, s15
	s_load_dword s14, s[12:13], 0x0
	s_load_dwordx4 s[16:19], s[0:1], 0x0
	s_mul_i32 s0, s5, s6
	v_mul_f32_e32 v0, 0x4f7ffffe, v0
	v_cvt_u32_f32_e32 v0, v0
	s_waitcnt lgkmcnt(0)
	s_mul_i32 s0, s0, s14
	s_mul_hi_i32 s1, s0, 0xd2
	s_mulk_i32 s0, 0xd2
	s_add_u32 s14, s16, s0
	s_addc_u32 s15, s17, s1
	s_sub_i32 s0, 0, s4
	v_readfirstlane_b32 s1, v0
	s_mul_i32 s0, s0, s1
	s_mul_hi_u32 s0, s1, s0
	s_add_i32 s1, s1, s0
	s_mul_hi_u32 s0, s8, s1
	s_mul_i32 s1, s0, s4
	s_sub_i32 s1, s8, s1
	s_add_i32 s13, s0, 1
	s_sub_i32 s16, s1, s4
	s_cmp_ge_u32 s1, s4
	s_cselect_b32 s0, s13, s0
	s_cselect_b32 s1, s16, s1
	s_add_i32 s13, s0, 1
	s_cmp_ge_u32 s1, s4
	s_cselect_b32 s0, s13, s0
	s_mul_i32 s0, s0, s7
	s_mov_b32 s1, s9
	v_add_u32_e32 v0, 0xf0, v2
	v_cmp_gt_u32_e32 vcc, 16, v2
	s_lshl_b64 s[0:1], s[0:1], 2
	s_add_u32 s0, s18, s0
	v_cndmask_b32_e32 v8, v0, v2, vcc
	v_and_b32_e32 v9, 0xf8, v8
	v_cmp_lt_u32_e32 vcc, 15, v2
	s_addc_u32 s1, s19, s1
	v_and_b32_e32 v4, 7, v13
	v_cndmask_b32_e64 v10, 0, 8, vcc
	v_cndmask_b32_e64 v6, 0, 4, vcc
	v_cmp_ne_u32_e32 vcc, 0, v9
	v_mad_u64_u32 v[6:7], s[0:1], v6, 36, s[0:1]
	s_nop 0
	v_cndmask_b32_e64 v9, 0, 1, vcc
	v_lshlrev_b32_e32 v0, 2, v2
	v_mov_b32_e32 v1, 0
	v_or_b32_e32 v2, v10, v4
	v_mad_u64_u32 v[6:7], s[0:1], v9, 36, v[6:7]
	v_bfe_u32 v8, v8, 2, 6
	s_movk_i32 s12, 0xd2
	v_mul_lo_u32 v15, v12, s5
	v_lshlrev_b32_e32 v2, 2, v2
	v_mov_b32_e32 v3, v1
	v_lshlrev_b32_e32 v4, 2, v4
	v_mov_b32_e32 v5, v1
	v_cndmask_b32_e64 v17, 0, 2, vcc
	v_add_u32_e32 v8, v8, v10
	v_mov_b32_e32 v9, v1
	v_lshlrev_b32_e32 v18, 3, v14
	s_mov_b64 s[0:1], 0
	v_mov_b64_e32 v[10:11], s[14:15]
	s_mov_b32 s4, 0x30303030
	s_movk_i32 s7, 0xe000
	s_movk_i32 s9, 0x3f00
	v_mov_b32_e32 v16, v1
.LBB246_3:                              ; =>This Inner Loop Header: Depth=1
	v_add_u32_e32 v19, v15, v14
	v_mad_i64_i32 v[20:21], s[14:15], v19, s12, v[10:11]
	v_lshl_add_u64 v[24:25], v[20:21], 0, v[2:3]
	v_lshl_add_u64 v[22:23], v[20:21], 0, v[0:1]
	global_load_dword v19, v[24:25], off offset:128
	global_load_dword v26, v[22:23], off
	v_mad_i64_i32 v[22:23], s[14:15], v18, 36, v[6:7]
	v_lshl_add_u64 v[24:25], v[22:23], 0, v[4:5]
	global_load_dword v27, v[24:25], off offset:4
	global_load_dword v28, v[24:25], off offset:76
	v_lshl_add_u64 v[24:25], v[20:21], 0, v[8:9]
	global_load_sbyte v29, v[24:25], off offset:192
	global_load_sbyte v30, v[24:25], off offset:196
	global_load_dword v31, v[22:23], off
	global_load_dword v32, v[22:23], off offset:72
	global_load_ushort v33, v[20:21], off offset:208
	v_mov_b32_e32 v20, 0
	v_mov_b32_e32 v21, 0
	v_add_u32_e32 v14, 2, v14
	v_cmp_le_u32_e32 vcc, s5, v14
	v_add_u32_e32 v18, 16, v18
	s_or_b64 s[0:1], vcc, s[0:1]
	s_waitcnt vmcnt(8)
	v_ashrrev_i32_e32 v19, v17, v19
	s_waitcnt vmcnt(7)
	v_and_b32_e32 v22, 0xf0f0f0f, v26
	v_lshrrev_b32_e32 v23, 4, v26
	v_lshlrev_b32_e32 v24, 4, v19
	v_and_b32_e32 v23, 0xf0f0f0f, v23
	v_and_or_b32 v22, v24, s4, v22
	v_and_or_b32 v19, v19, s4, v23
	v_lshrrev_b32_e32 v23, 16, v22
	v_lshlrev_b16_e32 v24, 8, v22
	v_lshrrev_b32_e32 v25, 16, v19
	v_lshlrev_b16_e32 v26, 8, v19
	v_add_u16_e32 v24, 0xe000, v24
	v_lshlrev_b16_e32 v34, 8, v23
	v_add_u16_e32 v26, 0xe000, v26
	v_lshlrev_b16_e32 v35, 8, v25
	v_lshrrev_b16_e32 v24, 8, v24
	v_add_u16_e32 v34, 0xe000, v34
	v_lshrrev_b16_e32 v26, 8, v26
	v_add_u16_e32 v35, 0xe000, v35
	v_bitop3_b16 v22, v22, v24, s9 bitop3:0xec
	v_lshrrev_b16_e32 v24, 8, v34
	v_bitop3_b16 v19, v19, v26, s9 bitop3:0xec
	v_lshrrev_b16_e32 v26, 8, v35
	v_bitop3_b16 v23, v23, v24, s9 bitop3:0xec
	v_add_u16_e32 v22, 0xe000, v22
	v_bitop3_b16 v24, v25, v26, s9 bitop3:0xec
	v_add_u16_sdwa v23, v23, s7 dst_sel:WORD_1 dst_unused:UNUSED_PAD src0_sel:DWORD src1_sel:DWORD
	v_add_u16_e32 v19, 0xe000, v19
	v_add_u16_sdwa v24, v24, s7 dst_sel:WORD_1 dst_unused:UNUSED_PAD src0_sel:DWORD src1_sel:DWORD
	v_or_b32_e32 v22, v22, v23
	v_or_b32_e32 v19, v19, v24
	s_waitcnt vmcnt(6)
	v_dot4c_i32_i8_e32 v20, v22, v27
	s_waitcnt vmcnt(5)
	v_dot4c_i32_i8_e32 v21, v19, v28
	s_waitcnt vmcnt(4)
	v_mul_lo_u32 v19, v20, v29
	s_waitcnt vmcnt(3)
	v_mul_lo_u32 v20, v21, v30
	v_cvt_f32_i32_e32 v19, v19
	v_cvt_f32_i32_e32 v20, v20
	s_waitcnt vmcnt(2)
	v_fma_mix_f32 v19, v31, v19, 0 op_sel_hi:[1,0,0]
	s_waitcnt vmcnt(1)
	v_fma_mix_f32 v19, v32, v20, v19 op_sel_hi:[1,0,0]
	;; [unrolled: 2-line block ×3, first 2 shown]
	s_andn2_b64 exec, exec, s[0:1]
	s_cbranch_execnz .LBB246_3
; %bb.4:
	s_or_b64 exec, exec, s[0:1]
.LBB246_5:
	s_or_b64 exec, exec, s[10:11]
	v_mbcnt_lo_u32_b32 v0, -1, 0
	v_mbcnt_hi_u32_b32 v1, -1, v0
	v_and_b32_e32 v0, 64, v1
	v_add_u32_e32 v2, 64, v0
	v_xor_b32_e32 v0, 32, v1
	v_cmp_lt_i32_e32 vcc, v0, v2
	v_xor_b32_e32 v3, 16, v1
	v_xor_b32_e32 v4, 8, v1
	v_cndmask_b32_e32 v0, v1, v0, vcc
	v_lshlrev_b32_e32 v0, 2, v0
	ds_bpermute_b32 v0, v0, v16
	v_cmp_lt_i32_e32 vcc, v3, v2
	s_waitcnt lgkmcnt(0)
	v_add_f32_e32 v0, v16, v0
	v_cndmask_b32_e32 v3, v1, v3, vcc
	v_lshlrev_b32_e32 v3, 2, v3
	ds_bpermute_b32 v3, v3, v0
	v_cmp_lt_i32_e32 vcc, v4, v2
	s_waitcnt lgkmcnt(0)
	v_add_f32_e32 v0, v0, v3
	v_cndmask_b32_e32 v3, v1, v4, vcc
	v_lshlrev_b32_e32 v3, 2, v3
	ds_bpermute_b32 v3, v3, v0
	v_xor_b32_e32 v4, 4, v1
	v_cmp_lt_i32_e32 vcc, v4, v2
	s_waitcnt lgkmcnt(0)
	v_add_f32_e32 v0, v0, v3
	v_cndmask_b32_e32 v3, v1, v4, vcc
	v_lshlrev_b32_e32 v3, 2, v3
	ds_bpermute_b32 v3, v3, v0
	v_xor_b32_e32 v4, 2, v1
	v_cmp_lt_i32_e32 vcc, v4, v2
	s_waitcnt lgkmcnt(0)
	v_add_f32_e32 v0, v0, v3
	v_cndmask_b32_e32 v3, v1, v4, vcc
	v_lshlrev_b32_e32 v3, 2, v3
	ds_bpermute_b32 v3, v3, v0
	v_xor_b32_e32 v4, 1, v1
	v_cmp_lt_i32_e32 vcc, v4, v2
	s_waitcnt lgkmcnt(0)
	v_add_f32_e32 v0, v0, v3
	v_cndmask_b32_e32 v1, v1, v4, vcc
	v_lshlrev_b32_e32 v1, 2, v1
	ds_bpermute_b32 v1, v1, v0
	v_cmp_eq_u32_e32 vcc, 0, v13
	s_and_b64 exec, exec, vcc
	s_cbranch_execz .LBB246_7
; %bb.6:
	s_mul_i32 s0, s6, s8
	s_waitcnt lgkmcnt(0)
	v_add_f32_e32 v2, v0, v1
	v_add_u32_e32 v0, s0, v12
	v_mov_b32_e32 v1, 0
	v_lshl_add_u64 v[0:1], v[0:1], 2, s[2:3]
	global_store_dword v[0:1], v2, off
.LBB246_7:
	s_endpgm
	.section	.rodata,"a",@progbits
	.p2align	6, 0x0
	.amdhsa_kernel _ZL9moe_vec_qIfLi256ELi32E10block_q6_KLi1EXadL_ZL17vec_dot_q6_K_q8_1PKvPK10block_q8_1RKiEEEvS2_S2_PT_PS6_iiii
		.amdhsa_group_segment_fixed_size 0
		.amdhsa_private_segment_fixed_size 0
		.amdhsa_kernarg_size 304
		.amdhsa_user_sgpr_count 2
		.amdhsa_user_sgpr_dispatch_ptr 0
		.amdhsa_user_sgpr_queue_ptr 0
		.amdhsa_user_sgpr_kernarg_segment_ptr 1
		.amdhsa_user_sgpr_dispatch_id 0
		.amdhsa_user_sgpr_kernarg_preload_length 0
		.amdhsa_user_sgpr_kernarg_preload_offset 0
		.amdhsa_user_sgpr_private_segment_size 0
		.amdhsa_uses_dynamic_stack 0
		.amdhsa_enable_private_segment 0
		.amdhsa_system_sgpr_workgroup_id_x 1
		.amdhsa_system_sgpr_workgroup_id_y 0
		.amdhsa_system_sgpr_workgroup_id_z 1
		.amdhsa_system_sgpr_workgroup_info 0
		.amdhsa_system_vgpr_workitem_id 1
		.amdhsa_next_free_vgpr 36
		.amdhsa_next_free_sgpr 20
		.amdhsa_accum_offset 36
		.amdhsa_reserve_vcc 1
		.amdhsa_float_round_mode_32 0
		.amdhsa_float_round_mode_16_64 0
		.amdhsa_float_denorm_mode_32 3
		.amdhsa_float_denorm_mode_16_64 3
		.amdhsa_dx10_clamp 1
		.amdhsa_ieee_mode 1
		.amdhsa_fp16_overflow 0
		.amdhsa_tg_split 0
		.amdhsa_exception_fp_ieee_invalid_op 0
		.amdhsa_exception_fp_denorm_src 0
		.amdhsa_exception_fp_ieee_div_zero 0
		.amdhsa_exception_fp_ieee_overflow 0
		.amdhsa_exception_fp_ieee_underflow 0
		.amdhsa_exception_fp_ieee_inexact 0
		.amdhsa_exception_int_div_zero 0
	.end_amdhsa_kernel
	.section	.text._ZL9moe_vec_qIfLi256ELi32E10block_q6_KLi1EXadL_ZL17vec_dot_q6_K_q8_1PKvPK10block_q8_1RKiEEEvS2_S2_PT_PS6_iiii,"axG",@progbits,_ZL9moe_vec_qIfLi256ELi32E10block_q6_KLi1EXadL_ZL17vec_dot_q6_K_q8_1PKvPK10block_q8_1RKiEEEvS2_S2_PT_PS6_iiii,comdat
.Lfunc_end246:
	.size	_ZL9moe_vec_qIfLi256ELi32E10block_q6_KLi1EXadL_ZL17vec_dot_q6_K_q8_1PKvPK10block_q8_1RKiEEEvS2_S2_PT_PS6_iiii, .Lfunc_end246-_ZL9moe_vec_qIfLi256ELi32E10block_q6_KLi1EXadL_ZL17vec_dot_q6_K_q8_1PKvPK10block_q8_1RKiEEEvS2_S2_PT_PS6_iiii
                                        ; -- End function
	.set _ZL9moe_vec_qIfLi256ELi32E10block_q6_KLi1EXadL_ZL17vec_dot_q6_K_q8_1PKvPK10block_q8_1RKiEEEvS2_S2_PT_PS6_iiii.num_vgpr, 36
	.set _ZL9moe_vec_qIfLi256ELi32E10block_q6_KLi1EXadL_ZL17vec_dot_q6_K_q8_1PKvPK10block_q8_1RKiEEEvS2_S2_PT_PS6_iiii.num_agpr, 0
	.set _ZL9moe_vec_qIfLi256ELi32E10block_q6_KLi1EXadL_ZL17vec_dot_q6_K_q8_1PKvPK10block_q8_1RKiEEEvS2_S2_PT_PS6_iiii.numbered_sgpr, 20
	.set _ZL9moe_vec_qIfLi256ELi32E10block_q6_KLi1EXadL_ZL17vec_dot_q6_K_q8_1PKvPK10block_q8_1RKiEEEvS2_S2_PT_PS6_iiii.num_named_barrier, 0
	.set _ZL9moe_vec_qIfLi256ELi32E10block_q6_KLi1EXadL_ZL17vec_dot_q6_K_q8_1PKvPK10block_q8_1RKiEEEvS2_S2_PT_PS6_iiii.private_seg_size, 0
	.set _ZL9moe_vec_qIfLi256ELi32E10block_q6_KLi1EXadL_ZL17vec_dot_q6_K_q8_1PKvPK10block_q8_1RKiEEEvS2_S2_PT_PS6_iiii.uses_vcc, 1
	.set _ZL9moe_vec_qIfLi256ELi32E10block_q6_KLi1EXadL_ZL17vec_dot_q6_K_q8_1PKvPK10block_q8_1RKiEEEvS2_S2_PT_PS6_iiii.uses_flat_scratch, 0
	.set _ZL9moe_vec_qIfLi256ELi32E10block_q6_KLi1EXadL_ZL17vec_dot_q6_K_q8_1PKvPK10block_q8_1RKiEEEvS2_S2_PT_PS6_iiii.has_dyn_sized_stack, 0
	.set _ZL9moe_vec_qIfLi256ELi32E10block_q6_KLi1EXadL_ZL17vec_dot_q6_K_q8_1PKvPK10block_q8_1RKiEEEvS2_S2_PT_PS6_iiii.has_recursion, 0
	.set _ZL9moe_vec_qIfLi256ELi32E10block_q6_KLi1EXadL_ZL17vec_dot_q6_K_q8_1PKvPK10block_q8_1RKiEEEvS2_S2_PT_PS6_iiii.has_indirect_call, 0
	.section	.AMDGPU.csdata,"",@progbits
; Kernel info:
; codeLenInByte = 1176
; TotalNumSgprs: 26
; NumVgprs: 36
; NumAgprs: 0
; TotalNumVgprs: 36
; ScratchSize: 0
; MemoryBound: 0
; FloatMode: 240
; IeeeMode: 1
; LDSByteSize: 0 bytes/workgroup (compile time only)
; SGPRBlocks: 3
; VGPRBlocks: 4
; NumSGPRsForWavesPerEU: 26
; NumVGPRsForWavesPerEU: 36
; AccumOffset: 36
; Occupancy: 8
; WaveLimiterHint : 1
; COMPUTE_PGM_RSRC2:SCRATCH_EN: 0
; COMPUTE_PGM_RSRC2:USER_SGPR: 2
; COMPUTE_PGM_RSRC2:TRAP_HANDLER: 0
; COMPUTE_PGM_RSRC2:TGID_X_EN: 1
; COMPUTE_PGM_RSRC2:TGID_Y_EN: 0
; COMPUTE_PGM_RSRC2:TGID_Z_EN: 1
; COMPUTE_PGM_RSRC2:TIDIG_COMP_CNT: 1
; COMPUTE_PGM_RSRC3_GFX90A:ACCUM_OFFSET: 8
; COMPUTE_PGM_RSRC3_GFX90A:TG_SPLIT: 0
	.section	.text._ZL9moe_vec_qIfLi256ELi8E13block_iq2_xxsLi1EXadL_ZL20vec_dot_iq2_xxs_q8_1PKvPK10block_q8_1RKiEEEvS2_S2_PT_PS6_iiii,"axG",@progbits,_ZL9moe_vec_qIfLi256ELi8E13block_iq2_xxsLi1EXadL_ZL20vec_dot_iq2_xxs_q8_1PKvPK10block_q8_1RKiEEEvS2_S2_PT_PS6_iiii,comdat
	.globl	_ZL9moe_vec_qIfLi256ELi8E13block_iq2_xxsLi1EXadL_ZL20vec_dot_iq2_xxs_q8_1PKvPK10block_q8_1RKiEEEvS2_S2_PT_PS6_iiii ; -- Begin function _ZL9moe_vec_qIfLi256ELi8E13block_iq2_xxsLi1EXadL_ZL20vec_dot_iq2_xxs_q8_1PKvPK10block_q8_1RKiEEEvS2_S2_PT_PS6_iiii
	.p2align	8
	.type	_ZL9moe_vec_qIfLi256ELi8E13block_iq2_xxsLi1EXadL_ZL20vec_dot_iq2_xxs_q8_1PKvPK10block_q8_1RKiEEEvS2_S2_PT_PS6_iiii,@function
_ZL9moe_vec_qIfLi256ELi8E13block_iq2_xxsLi1EXadL_ZL20vec_dot_iq2_xxs_q8_1PKvPK10block_q8_1RKiEEEvS2_S2_PT_PS6_iiii: ; @_ZL9moe_vec_qIfLi256ELi8E13block_iq2_xxsLi1EXadL_ZL20vec_dot_iq2_xxs_q8_1PKvPK10block_q8_1RKiEEEvS2_S2_PT_PS6_iiii
; %bb.0:
	s_mov_b32 s68, s3
	s_load_dword s3, s[0:1], 0x3c
	s_load_dwordx4 s[64:67], s[0:1], 0x20
	v_bfe_u32 v1, v0, 10, 10
	s_waitcnt lgkmcnt(0)
	s_lshr_b32 s3, s3, 16
	s_mul_i32 s2, s2, s3
	v_add_u32_e32 v8, s2, v1
	v_cmp_gt_u32_e32 vcc, s66, v8
	s_and_saveexec_b64 s[2:3], vcc
	s_cbranch_execz .LBB247_7
; %bb.1:
	s_load_dwordx2 s[70:71], s[0:1], 0x10
	s_ashr_i32 s2, s65, 31
	s_lshr_b32 s2, s2, 24
	s_add_i32 s2, s65, s2
	s_ashr_i32 s33, s2, 8
	v_bfe_u32 v10, v0, 3, 7
	v_and_b32_e32 v9, 0x3ff, v0
	v_cmp_gt_u32_e32 vcc, s33, v10
	v_mov_b32_e32 v11, 0
	s_and_saveexec_b64 s[72:73], vcc
	s_cbranch_execz .LBB247_5
; %bb.2:
	s_load_dwordx2 s[4:5], s[0:1], 0x18
	v_cvt_f32_u32_e32 v0, s64
	s_mov_b32 s69, 0
	s_lshl_b64 s[6:7], s[68:69], 2
	s_load_dwordx4 s[0:3], s[0:1], 0x0
	s_waitcnt lgkmcnt(0)
	s_add_u32 s4, s4, s6
	s_addc_u32 s5, s5, s7
	v_rcp_iflag_f32_e32 v0, v0
	s_load_dword s4, s[4:5], 0x0
	s_mul_i32 s5, s33, s66
	v_and_b32_e32 v2, 7, v9
	v_mul_f32_e32 v0, 0x4f7ffffe, v0
	v_cvt_u32_f32_e32 v0, v0
	s_waitcnt lgkmcnt(0)
	s_mul_i32 s4, s5, s4
	s_mul_hi_i32 s5, s4, 0x42
	s_mulk_i32 s4, 0x42
	s_add_u32 s0, s0, s4
	s_addc_u32 s1, s1, s5
	s_sub_i32 s4, 0, s64
	v_readfirstlane_b32 s5, v0
	s_mul_i32 s4, s4, s5
	s_mul_hi_u32 s4, s5, s4
	s_add_i32 s5, s5, s4
	s_mul_hi_u32 s4, s68, s5
	s_mul_i32 s5, s4, s64
	s_sub_i32 s5, s68, s5
	s_add_i32 s6, s4, 1
	s_sub_i32 s7, s5, s64
	s_cmp_ge_u32 s5, s64
	s_cselect_b32 s4, s6, s4
	s_cselect_b32 s5, s7, s5
	s_add_i32 s6, s4, 1
	s_cmp_ge_u32 s5, s64
	s_cselect_b32 s4, s6, s4
	s_mul_i32 s4, s4, s67
	s_mov_b32 s5, s69
	s_lshl_b64 s[4:5], s[4:5], 2
	s_add_u32 s2, s2, s4
	s_addc_u32 s3, s3, s5
	v_lshlrev_b32_e32 v0, 2, v2
	v_mov_b32_e32 v1, 0
	s_movk_i32 s74, 0x42
	v_mad_u64_u32 v[2:3], s[2:3], v2, 36, s[2:3]
	v_lshlrev_b32_e32 v12, 3, v10
	s_mov_b64 s[64:65], 0
	v_mov_b64_e32 v[4:5], s[0:1]
	v_lshlrev_b32_e32 v0, 1, v0
	v_mov_b32_e32 v13, 3
	v_mov_b32_e32 v11, v1
.LBB247_3:                              ; =>This Inner Loop Header: Depth=1
	v_mul_lo_u32 v14, v8, s33
	v_mad_i64_i32 v[6:7], s[0:1], v12, 36, v[2:3]
	v_add_u32_e32 v14, v14, v10
	global_load_dwordx4 v[16:19], v[6:7], off offset:20
	global_load_dwordx4 v[20:23], v[6:7], off offset:4
	global_load_ushort v28, v[6:7], off
	v_mad_i64_i32 v[6:7], s[4:5], v14, s74, v[4:5]
	v_lshl_add_u64 v[14:15], v[6:7], 0, v[0:1]
	global_load_ushort v29, v[6:7], off
	global_load_dword v24, v[14:15], off offset:2
	global_load_dword v30, v[14:15], off offset:6
	s_getpc_b64 s[0:1]
	s_add_u32 s0, s0, _ZL11iq2xxs_grid@rel32@lo+4
	s_addc_u32 s1, s1, _ZL11iq2xxs_grid@rel32@hi+12
	s_getpc_b64 s[2:3]
	s_add_u32 s2, s2, _ZL12ksigns_iq2xs@rel32@lo+4
	s_addc_u32 s3, s3, _ZL12ksigns_iq2xs@rel32@hi+12
	v_add_u32_e32 v10, 8, v10
	v_add_u32_e32 v12, 64, v12
	s_waitcnt vmcnt(3)
	v_cvt_f32_f16_e32 v28, v28
	s_waitcnt vmcnt(2)
	v_cvt_f32_f16_e32 v29, v29
	s_waitcnt vmcnt(1)
	v_lshlrev_b32_sdwa v31, v13, v24 dst_sel:DWORD dst_unused:UNUSED_PAD src0_sel:DWORD src1_sel:BYTE_0
	s_waitcnt vmcnt(0)
	v_and_b32_e32 v32, 0x7f, v30
	v_lshlrev_b32_sdwa v33, v13, v24 dst_sel:DWORD dst_unused:UNUSED_PAD src0_sel:DWORD src1_sel:BYTE_1
	v_bfe_u32 v34, v30, 7, 7
	v_lshlrev_b32_sdwa v35, v13, v24 dst_sel:DWORD dst_unused:UNUSED_PAD src0_sel:DWORD src1_sel:BYTE_2
	v_lshlrev_b32_sdwa v36, v13, v24 dst_sel:DWORD dst_unused:UNUSED_PAD src0_sel:DWORD src1_sel:BYTE_3
	v_bfe_u32 v37, v30, 14, 7
	v_bfe_u32 v38, v30, 21, 7
	global_load_dwordx2 v[6:7], v31, s[0:1]
	global_load_sbyte v39, v32, s[2:3]
	global_load_dwordx2 v[14:15], v33, s[0:1]
	global_load_dwordx2 v[24:25], v35, s[0:1]
	;; [unrolled: 1-line block ×3, first 2 shown]
	global_load_sbyte v40, v34, s[2:3]
	global_load_sbyte v41, v37, s[2:3]
	;; [unrolled: 1-line block ×3, first 2 shown]
	v_cmp_gt_u32_e32 vcc, 64, v32
	v_cmp_gt_u32_e64 s[0:1], 64, v34
	v_cmp_gt_u32_e64 s[4:5], 64, v38
	;; [unrolled: 1-line block ×3, first 2 shown]
	v_lshrrev_b32_e32 v30, 28, v30
	v_cvt_f32_ubyte0_e32 v30, v30
	v_add_f32_e32 v30, 0.5, v30
	s_waitcnt vmcnt(7)
	v_mul_i32_i24_sdwa v31, v6, sext(v20) dst_sel:DWORD dst_unused:UNUSED_PAD src0_sel:BYTE_0 src1_sel:BYTE_0
	v_mul_i32_i24_sdwa v33, v6, sext(v20) dst_sel:DWORD dst_unused:UNUSED_PAD src0_sel:BYTE_1 src1_sel:BYTE_1
	s_waitcnt vmcnt(6)
	v_and_b32_e32 v35, 2, v39
	v_mul_i32_i24_sdwa v36, v6, sext(v20) dst_sel:DWORD dst_unused:UNUSED_PAD src0_sel:BYTE_2 src1_sel:BYTE_2
	v_and_b32_e32 v43, 4, v39
	v_mul_i32_i24_sdwa v6, v6, sext(v20) dst_sel:DWORD dst_unused:UNUSED_PAD src0_sel:BYTE_3 src1_sel:BYTE_3
	v_and_b32_e32 v20, 8, v39
	v_and_b32_e32 v45, 16, v39
	;; [unrolled: 1-line block ×3, first 2 shown]
	v_cmp_gt_i16_e64 s[60:61], 0, v39
	v_and_b32_e32 v39, 1, v39
	s_waitcnt vmcnt(1)
	v_and_b32_e32 v66, 1, v41
	v_and_b32_e32 v67, 2, v41
	;; [unrolled: 1-line block ×6, first 2 shown]
	v_cmp_gt_i16_e64 s[8:9], 0, v41
	v_sub_u32_e32 v41, 0, v33
	v_cmp_eq_u16_e64 s[10:11], 0, v35
	v_sub_u32_e32 v79, 0, v31
	v_cmp_eq_u16_e64 s[62:63], 0, v39
	v_mul_i32_i24_sdwa v44, v7, sext(v21) dst_sel:DWORD dst_unused:UNUSED_PAD src0_sel:BYTE_0 src1_sel:BYTE_0
	v_mul_i32_i24_sdwa v46, v7, sext(v21) dst_sel:DWORD dst_unused:UNUSED_PAD src0_sel:BYTE_1 src1_sel:BYTE_1
	s_waitcnt vmcnt(0)
	v_and_b32_e32 v75, 8, v42
	v_sub_u32_e32 v35, 0, v36
	v_cmp_eq_u16_e64 s[12:13], 0, v43
	v_sub_u32_e32 v43, 0, v6
	v_cmp_eq_u16_e64 s[14:15], 0, v20
	v_cndmask_b32_e64 v31, v79, v31, s[62:63]
	v_cndmask_b32_e64 v33, v41, v33, s[10:11]
	v_mul_i32_i24_sdwa v48, v7, sext(v21) dst_sel:DWORD dst_unused:UNUSED_PAD src0_sel:BYTE_2 src1_sel:BYTE_2
	v_mul_i32_i24_sdwa v7, v7, sext(v21) dst_sel:DWORD dst_unused:UNUSED_PAD src0_sel:BYTE_3 src1_sel:BYTE_3
	v_and_b32_e32 v72, 1, v42
	v_and_b32_e32 v73, 2, v42
	;; [unrolled: 1-line block ×3, first 2 shown]
	v_sub_u32_e32 v20, 0, v44
	v_cmp_eq_u16_e64 s[16:17], 0, v45
	v_sub_u32_e32 v45, 0, v46
	v_cmp_eq_u16_e64 s[18:19], 0, v47
	v_cmp_eq_u16_e64 s[52:53], 0, v75
	v_and_b32_e32 v75, 16, v42
	v_cmp_gt_i16_e64 s[56:57], 0, v42
	v_and_b32_e32 v42, 32, v42
	v_cndmask_b32_e64 v35, v35, v36, s[12:13]
	v_cndmask_b32_e64 v6, v43, v6, s[14:15]
	v_add_u32_e32 v31, v33, v31
	v_mul_i32_i24_sdwa v21, v14, sext(v22) dst_sel:DWORD dst_unused:UNUSED_PAD src0_sel:BYTE_0 src1_sel:BYTE_0
	v_mul_i32_i24_sdwa v49, v14, sext(v22) dst_sel:DWORD dst_unused:UNUSED_PAD src0_sel:BYTE_1 src1_sel:BYTE_1
	v_mul_i32_i24_sdwa v50, v14, sext(v22) dst_sel:DWORD dst_unused:UNUSED_PAD src0_sel:BYTE_2 src1_sel:BYTE_2
	v_mul_i32_i24_sdwa v14, v14, sext(v22) dst_sel:DWORD dst_unused:UNUSED_PAD src0_sel:BYTE_3 src1_sel:BYTE_3
	v_mul_i32_i24_sdwa v22, v15, sext(v23) dst_sel:DWORD dst_unused:UNUSED_PAD src0_sel:BYTE_0 src1_sel:BYTE_0
	v_mul_i32_i24_sdwa v51, v15, sext(v23) dst_sel:DWORD dst_unused:UNUSED_PAD src0_sel:BYTE_1 src1_sel:BYTE_1
	v_mul_i32_i24_sdwa v52, v15, sext(v23) dst_sel:DWORD dst_unused:UNUSED_PAD src0_sel:BYTE_2 src1_sel:BYTE_2
	v_mul_i32_i24_sdwa v15, v15, sext(v23) dst_sel:DWORD dst_unused:UNUSED_PAD src0_sel:BYTE_3 src1_sel:BYTE_3
	;; [unrolled: 4-line block ×6, first 2 shown]
	v_and_b32_e32 v27, 1, v40
	v_and_b32_e32 v61, 2, v40
	v_sub_u32_e32 v76, 0, v48
	v_cmp_eq_u16_e64 s[58:59], 0, v42
	v_sub_u32_e32 v42, 0, v7
	v_cndmask_b32_e64 v20, v20, v44, s[16:17]
	v_cndmask_b32_e64 v36, v45, v46, s[18:19]
	v_add3_u32 v6, v31, v35, v6
	v_and_b32_e32 v62, 4, v40
	v_and_b32_e32 v63, 8, v40
	v_sub_u32_e32 v47, 0, v21
	v_cmp_eq_u16_e64 s[20:21], 0, v27
	v_sub_u32_e32 v27, 0, v49
	v_cmp_eq_u16_e64 s[22:23], 0, v61
	v_cndmask_b32_e32 v39, v76, v48, vcc
	v_cndmask_b32_e64 v7, v7, v42, s[60:61]
	v_add3_u32 v6, v6, v20, v36
	v_and_b32_e32 v64, 16, v40
	v_and_b32_e32 v65, 32, v40
	v_sub_u32_e32 v61, 0, v50
	v_cmp_eq_u16_e64 s[24:25], 0, v62
	v_sub_u32_e32 v62, 0, v14
	v_cmp_eq_u16_e64 s[26:27], 0, v63
	v_cndmask_b32_e64 v21, v47, v21, s[20:21]
	v_cndmask_b32_e64 v27, v27, v49, s[22:23]
	v_add3_u32 v6, v6, v39, v7
	v_sub_u32_e32 v63, 0, v22
	v_cmp_eq_u16_e64 s[28:29], 0, v64
	v_sub_u32_e32 v64, 0, v51
	v_cmp_eq_u16_e64 s[30:31], 0, v65
	v_cndmask_b32_e64 v41, v61, v50, s[24:25]
	v_cndmask_b32_e64 v14, v62, v14, s[26:27]
	v_add3_u32 v6, v6, v21, v27
	v_sub_u32_e32 v32, 0, v52
	v_sub_u32_e32 v38, 0, v15
	v_cmp_gt_i16_e64 s[6:7], 0, v40
	v_cndmask_b32_e64 v22, v63, v22, s[28:29]
	v_cndmask_b32_e64 v42, v64, v51, s[30:31]
	v_add3_u32 v6, v6, v41, v14
	v_sub_u32_e32 v65, 0, v23
	v_cmp_eq_u16_e64 s[34:35], 0, v66
	v_sub_u32_e32 v66, 0, v53
	v_cmp_eq_u16_e64 s[36:37], 0, v67
	v_cndmask_b32_e64 v32, v32, v52, s[0:1]
	v_cndmask_b32_e64 v15, v15, v38, s[6:7]
	v_add3_u32 v6, v6, v22, v42
	v_sub_u32_e32 v67, 0, v54
	v_cmp_eq_u16_e64 s[38:39], 0, v68
	v_sub_u32_e32 v68, 0, v16
	v_cmp_eq_u16_e64 s[40:41], 0, v69
	v_cndmask_b32_e64 v23, v65, v23, s[34:35]
	v_cndmask_b32_e64 v38, v66, v53, s[36:37]
	v_add3_u32 v6, v6, v32, v15
	v_sub_u32_e32 v69, 0, v24
	v_cmp_eq_u16_e64 s[42:43], 0, v70
	v_sub_u32_e32 v70, 0, v55
	v_cmp_eq_u16_e64 s[44:45], 0, v71
	v_cndmask_b32_e64 v43, v67, v54, s[38:39]
	v_cndmask_b32_e64 v16, v68, v16, s[40:41]
	v_add3_u32 v6, v6, v23, v38
	v_sub_u32_e32 v34, 0, v56
	v_sub_u32_e32 v40, 0, v17
	v_cndmask_b32_e64 v24, v69, v24, s[42:43]
	v_cndmask_b32_e64 v44, v70, v55, s[44:45]
	v_add3_u32 v6, v6, v43, v16
	v_sub_u32_e32 v71, 0, v25
	v_cmp_eq_u16_e64 s[46:47], 0, v72
	v_sub_u32_e32 v72, 0, v57
	v_cmp_eq_u16_e64 s[48:49], 0, v73
	v_cndmask_b32_e64 v34, v34, v56, s[2:3]
	v_cndmask_b32_e64 v17, v17, v40, s[8:9]
	v_add3_u32 v6, v6, v24, v44
	v_sub_u32_e32 v73, 0, v58
	v_cmp_eq_u16_e64 s[50:51], 0, v74
	v_sub_u32_e32 v74, 0, v18
	v_cndmask_b32_e64 v25, v71, v25, s[46:47]
	v_cndmask_b32_e64 v40, v72, v57, s[48:49]
	v_add3_u32 v6, v6, v34, v17
	v_sub_u32_e32 v77, 0, v26
	v_cmp_eq_u16_e64 s[54:55], 0, v75
	v_sub_u32_e32 v78, 0, v59
	v_cndmask_b32_e64 v45, v73, v58, s[50:51]
	v_cndmask_b32_e64 v18, v74, v18, s[52:53]
	v_add3_u32 v6, v6, v25, v40
	v_sub_u32_e32 v37, 0, v60
	v_sub_u32_e32 v75, 0, v19
	v_cndmask_b32_e64 v26, v77, v26, s[54:55]
	v_cndmask_b32_e64 v46, v78, v59, s[58:59]
	v_add3_u32 v6, v6, v45, v18
	v_cndmask_b32_e64 v37, v37, v60, s[4:5]
	v_cndmask_b32_e64 v19, v19, v75, s[56:57]
	v_add3_u32 v6, v6, v26, v46
	v_add3_u32 v6, v6, v37, v19
	v_cvt_f32_i32_e32 v6, v6
	v_mul_f32_e32 v7, v30, v29
	v_mul_f32_e32 v7, v7, v28
	v_cmp_le_u32_e64 s[10:11], s33, v10
	v_mul_f32_e32 v7, 0x3e800000, v7
	s_or_b64 s[64:65], s[10:11], s[64:65]
	v_fmac_f32_e32 v11, v7, v6
	s_andn2_b64 exec, exec, s[64:65]
	s_cbranch_execnz .LBB247_3
; %bb.4:
	s_or_b64 exec, exec, s[64:65]
.LBB247_5:
	s_or_b64 exec, exec, s[72:73]
	v_mbcnt_lo_u32_b32 v0, -1, 0
	v_mbcnt_hi_u32_b32 v1, -1, v0
	v_and_b32_e32 v0, 64, v1
	v_add_u32_e32 v2, 64, v0
	v_xor_b32_e32 v0, 32, v1
	v_cmp_lt_i32_e32 vcc, v0, v2
	v_xor_b32_e32 v3, 16, v1
	v_xor_b32_e32 v4, 8, v1
	v_cndmask_b32_e32 v0, v1, v0, vcc
	v_lshlrev_b32_e32 v0, 2, v0
	ds_bpermute_b32 v0, v0, v11
	v_cmp_lt_i32_e32 vcc, v3, v2
	s_waitcnt lgkmcnt(0)
	v_add_f32_e32 v0, v11, v0
	v_cndmask_b32_e32 v3, v1, v3, vcc
	v_lshlrev_b32_e32 v3, 2, v3
	ds_bpermute_b32 v3, v3, v0
	v_cmp_lt_i32_e32 vcc, v4, v2
	s_waitcnt lgkmcnt(0)
	v_add_f32_e32 v0, v0, v3
	v_cndmask_b32_e32 v3, v1, v4, vcc
	v_lshlrev_b32_e32 v3, 2, v3
	ds_bpermute_b32 v3, v3, v0
	v_xor_b32_e32 v4, 4, v1
	v_cmp_lt_i32_e32 vcc, v4, v2
	s_waitcnt lgkmcnt(0)
	v_add_f32_e32 v0, v0, v3
	v_cndmask_b32_e32 v3, v1, v4, vcc
	v_lshlrev_b32_e32 v3, 2, v3
	ds_bpermute_b32 v3, v3, v0
	v_xor_b32_e32 v4, 2, v1
	;; [unrolled: 7-line block ×3, first 2 shown]
	v_cmp_lt_i32_e32 vcc, v4, v2
	s_waitcnt lgkmcnt(0)
	v_add_f32_e32 v0, v0, v3
	v_cndmask_b32_e32 v1, v1, v4, vcc
	v_lshlrev_b32_e32 v1, 2, v1
	ds_bpermute_b32 v1, v1, v0
	v_cmp_eq_u32_e32 vcc, 0, v9
	s_and_b64 exec, exec, vcc
	s_cbranch_execz .LBB247_7
; %bb.6:
	s_mul_i32 s0, s66, s68
	s_waitcnt lgkmcnt(0)
	v_add_f32_e32 v2, v0, v1
	v_add_u32_e32 v0, s0, v8
	v_mov_b32_e32 v1, 0
	v_lshl_add_u64 v[0:1], v[0:1], 2, s[70:71]
	global_store_dword v[0:1], v2, off
.LBB247_7:
	s_endpgm
	.section	.rodata,"a",@progbits
	.p2align	6, 0x0
	.amdhsa_kernel _ZL9moe_vec_qIfLi256ELi8E13block_iq2_xxsLi1EXadL_ZL20vec_dot_iq2_xxs_q8_1PKvPK10block_q8_1RKiEEEvS2_S2_PT_PS6_iiii
		.amdhsa_group_segment_fixed_size 0
		.amdhsa_private_segment_fixed_size 0
		.amdhsa_kernarg_size 304
		.amdhsa_user_sgpr_count 2
		.amdhsa_user_sgpr_dispatch_ptr 0
		.amdhsa_user_sgpr_queue_ptr 0
		.amdhsa_user_sgpr_kernarg_segment_ptr 1
		.amdhsa_user_sgpr_dispatch_id 0
		.amdhsa_user_sgpr_kernarg_preload_length 0
		.amdhsa_user_sgpr_kernarg_preload_offset 0
		.amdhsa_user_sgpr_private_segment_size 0
		.amdhsa_uses_dynamic_stack 0
		.amdhsa_enable_private_segment 0
		.amdhsa_system_sgpr_workgroup_id_x 1
		.amdhsa_system_sgpr_workgroup_id_y 0
		.amdhsa_system_sgpr_workgroup_id_z 1
		.amdhsa_system_sgpr_workgroup_info 0
		.amdhsa_system_vgpr_workitem_id 1
		.amdhsa_next_free_vgpr 80
		.amdhsa_next_free_sgpr 75
		.amdhsa_accum_offset 80
		.amdhsa_reserve_vcc 1
		.amdhsa_float_round_mode_32 0
		.amdhsa_float_round_mode_16_64 0
		.amdhsa_float_denorm_mode_32 3
		.amdhsa_float_denorm_mode_16_64 3
		.amdhsa_dx10_clamp 1
		.amdhsa_ieee_mode 1
		.amdhsa_fp16_overflow 0
		.amdhsa_tg_split 0
		.amdhsa_exception_fp_ieee_invalid_op 0
		.amdhsa_exception_fp_denorm_src 0
		.amdhsa_exception_fp_ieee_div_zero 0
		.amdhsa_exception_fp_ieee_overflow 0
		.amdhsa_exception_fp_ieee_underflow 0
		.amdhsa_exception_fp_ieee_inexact 0
		.amdhsa_exception_int_div_zero 0
	.end_amdhsa_kernel
	.section	.text._ZL9moe_vec_qIfLi256ELi8E13block_iq2_xxsLi1EXadL_ZL20vec_dot_iq2_xxs_q8_1PKvPK10block_q8_1RKiEEEvS2_S2_PT_PS6_iiii,"axG",@progbits,_ZL9moe_vec_qIfLi256ELi8E13block_iq2_xxsLi1EXadL_ZL20vec_dot_iq2_xxs_q8_1PKvPK10block_q8_1RKiEEEvS2_S2_PT_PS6_iiii,comdat
.Lfunc_end247:
	.size	_ZL9moe_vec_qIfLi256ELi8E13block_iq2_xxsLi1EXadL_ZL20vec_dot_iq2_xxs_q8_1PKvPK10block_q8_1RKiEEEvS2_S2_PT_PS6_iiii, .Lfunc_end247-_ZL9moe_vec_qIfLi256ELi8E13block_iq2_xxsLi1EXadL_ZL20vec_dot_iq2_xxs_q8_1PKvPK10block_q8_1RKiEEEvS2_S2_PT_PS6_iiii
                                        ; -- End function
	.set _ZL9moe_vec_qIfLi256ELi8E13block_iq2_xxsLi1EXadL_ZL20vec_dot_iq2_xxs_q8_1PKvPK10block_q8_1RKiEEEvS2_S2_PT_PS6_iiii.num_vgpr, 80
	.set _ZL9moe_vec_qIfLi256ELi8E13block_iq2_xxsLi1EXadL_ZL20vec_dot_iq2_xxs_q8_1PKvPK10block_q8_1RKiEEEvS2_S2_PT_PS6_iiii.num_agpr, 0
	.set _ZL9moe_vec_qIfLi256ELi8E13block_iq2_xxsLi1EXadL_ZL20vec_dot_iq2_xxs_q8_1PKvPK10block_q8_1RKiEEEvS2_S2_PT_PS6_iiii.numbered_sgpr, 75
	.set _ZL9moe_vec_qIfLi256ELi8E13block_iq2_xxsLi1EXadL_ZL20vec_dot_iq2_xxs_q8_1PKvPK10block_q8_1RKiEEEvS2_S2_PT_PS6_iiii.num_named_barrier, 0
	.set _ZL9moe_vec_qIfLi256ELi8E13block_iq2_xxsLi1EXadL_ZL20vec_dot_iq2_xxs_q8_1PKvPK10block_q8_1RKiEEEvS2_S2_PT_PS6_iiii.private_seg_size, 0
	.set _ZL9moe_vec_qIfLi256ELi8E13block_iq2_xxsLi1EXadL_ZL20vec_dot_iq2_xxs_q8_1PKvPK10block_q8_1RKiEEEvS2_S2_PT_PS6_iiii.uses_vcc, 1
	.set _ZL9moe_vec_qIfLi256ELi8E13block_iq2_xxsLi1EXadL_ZL20vec_dot_iq2_xxs_q8_1PKvPK10block_q8_1RKiEEEvS2_S2_PT_PS6_iiii.uses_flat_scratch, 0
	.set _ZL9moe_vec_qIfLi256ELi8E13block_iq2_xxsLi1EXadL_ZL20vec_dot_iq2_xxs_q8_1PKvPK10block_q8_1RKiEEEvS2_S2_PT_PS6_iiii.has_dyn_sized_stack, 0
	.set _ZL9moe_vec_qIfLi256ELi8E13block_iq2_xxsLi1EXadL_ZL20vec_dot_iq2_xxs_q8_1PKvPK10block_q8_1RKiEEEvS2_S2_PT_PS6_iiii.has_recursion, 0
	.set _ZL9moe_vec_qIfLi256ELi8E13block_iq2_xxsLi1EXadL_ZL20vec_dot_iq2_xxs_q8_1PKvPK10block_q8_1RKiEEEvS2_S2_PT_PS6_iiii.has_indirect_call, 0
	.section	.AMDGPU.csdata,"",@progbits
; Kernel info:
; codeLenInByte = 2072
; TotalNumSgprs: 81
; NumVgprs: 80
; NumAgprs: 0
; TotalNumVgprs: 80
; ScratchSize: 0
; MemoryBound: 0
; FloatMode: 240
; IeeeMode: 1
; LDSByteSize: 0 bytes/workgroup (compile time only)
; SGPRBlocks: 10
; VGPRBlocks: 9
; NumSGPRsForWavesPerEU: 81
; NumVGPRsForWavesPerEU: 80
; AccumOffset: 80
; Occupancy: 6
; WaveLimiterHint : 1
; COMPUTE_PGM_RSRC2:SCRATCH_EN: 0
; COMPUTE_PGM_RSRC2:USER_SGPR: 2
; COMPUTE_PGM_RSRC2:TRAP_HANDLER: 0
; COMPUTE_PGM_RSRC2:TGID_X_EN: 1
; COMPUTE_PGM_RSRC2:TGID_Y_EN: 0
; COMPUTE_PGM_RSRC2:TGID_Z_EN: 1
; COMPUTE_PGM_RSRC2:TIDIG_COMP_CNT: 1
; COMPUTE_PGM_RSRC3_GFX90A:ACCUM_OFFSET: 19
; COMPUTE_PGM_RSRC3_GFX90A:TG_SPLIT: 0
	.section	.text._ZL9moe_vec_qIfLi256ELi8E12block_iq2_xsLi1EXadL_ZL19vec_dot_iq2_xs_q8_1PKvPK10block_q8_1RKiEEEvS2_S2_PT_PS6_iiii,"axG",@progbits,_ZL9moe_vec_qIfLi256ELi8E12block_iq2_xsLi1EXadL_ZL19vec_dot_iq2_xs_q8_1PKvPK10block_q8_1RKiEEEvS2_S2_PT_PS6_iiii,comdat
	.globl	_ZL9moe_vec_qIfLi256ELi8E12block_iq2_xsLi1EXadL_ZL19vec_dot_iq2_xs_q8_1PKvPK10block_q8_1RKiEEEvS2_S2_PT_PS6_iiii ; -- Begin function _ZL9moe_vec_qIfLi256ELi8E12block_iq2_xsLi1EXadL_ZL19vec_dot_iq2_xs_q8_1PKvPK10block_q8_1RKiEEEvS2_S2_PT_PS6_iiii
	.p2align	8
	.type	_ZL9moe_vec_qIfLi256ELi8E12block_iq2_xsLi1EXadL_ZL19vec_dot_iq2_xs_q8_1PKvPK10block_q8_1RKiEEEvS2_S2_PT_PS6_iiii,@function
_ZL9moe_vec_qIfLi256ELi8E12block_iq2_xsLi1EXadL_ZL19vec_dot_iq2_xs_q8_1PKvPK10block_q8_1RKiEEEvS2_S2_PT_PS6_iiii: ; @_ZL9moe_vec_qIfLi256ELi8E12block_iq2_xsLi1EXadL_ZL19vec_dot_iq2_xs_q8_1PKvPK10block_q8_1RKiEEEvS2_S2_PT_PS6_iiii
; %bb.0:
	s_mov_b32 s68, s3
	s_load_dword s3, s[0:1], 0x3c
	s_load_dwordx4 s[64:67], s[0:1], 0x20
	v_bfe_u32 v1, v0, 10, 10
	s_waitcnt lgkmcnt(0)
	s_lshr_b32 s3, s3, 16
	s_mul_i32 s2, s2, s3
	v_add_u32_e32 v18, s2, v1
	v_cmp_gt_u32_e32 vcc, s66, v18
	s_and_saveexec_b64 s[2:3], vcc
	s_cbranch_execz .LBB248_7
; %bb.1:
	s_load_dwordx2 s[70:71], s[0:1], 0x10
	s_ashr_i32 s2, s65, 31
	s_lshr_b32 s2, s2, 24
	s_add_i32 s2, s65, s2
	s_ashr_i32 s33, s2, 8
	v_bfe_u32 v20, v0, 3, 7
	v_and_b32_e32 v19, 0x3ff, v0
	v_cmp_gt_u32_e32 vcc, s33, v20
	v_mov_b32_e32 v21, 0
	s_and_saveexec_b64 s[72:73], vcc
	s_cbranch_execz .LBB248_5
; %bb.2:
	s_load_dwordx2 s[2:3], s[0:1], 0x18
	v_cvt_f32_u32_e32 v0, s64
	s_mov_b32 s69, 0
	s_lshl_b64 s[4:5], s[68:69], 2
	v_and_b32_e32 v8, 7, v19
	s_waitcnt lgkmcnt(0)
	s_add_u32 s2, s2, s4
	v_rcp_iflag_f32_e32 v0, v0
	s_addc_u32 s3, s3, s5
	s_load_dword s8, s[2:3], 0x0
	s_load_dwordx4 s[4:7], s[0:1], 0x0
	s_mul_i32 s0, s33, s66
	v_mul_f32_e32 v0, 0x4f7ffffe, v0
	v_cvt_u32_f32_e32 v0, v0
	s_waitcnt lgkmcnt(0)
	s_mul_i32 s0, s0, s8
	s_mul_hi_i32 s1, s0, 0x4a
	s_mulk_i32 s0, 0x4a
	s_add_u32 s0, s4, s0
	s_addc_u32 s1, s5, s1
	s_sub_i32 s2, 0, s64
	v_readfirstlane_b32 s3, v0
	s_mul_i32 s2, s2, s3
	s_mul_hi_u32 s2, s3, s2
	s_add_i32 s3, s3, s2
	s_mul_hi_u32 s2, s68, s3
	s_mul_i32 s3, s2, s64
	s_sub_i32 s3, s68, s3
	s_add_i32 s4, s2, 1
	s_sub_i32 s5, s3, s64
	s_cmp_ge_u32 s3, s64
	s_cselect_b32 s2, s4, s2
	s_cselect_b32 s3, s5, s3
	s_add_i32 s4, s2, 1
	s_cmp_ge_u32 s3, s64
	s_cselect_b32 s2, s4, s2
	s_mul_i32 s2, s2, s67
	s_mov_b32 s3, s69
	s_lshl_b64 s[2:3], s[2:3], 2
	s_add_u32 s2, s6, s2
	s_addc_u32 s3, s7, s3
	v_lshlrev_b32_e32 v0, 2, v8
	v_mov_b32_e32 v9, 0
	s_movk_i32 s74, 0x4a
	v_mul_lo_u32 v22, v18, s33
	v_mad_u64_u32 v[10:11], s[2:3], v8, 36, s[2:3]
	v_lshlrev_b32_e32 v23, 3, v20
	s_mov_b64 s[64:65], 0
	v_mov_b64_e32 v[12:13], s[0:1]
	v_lshlrev_b32_e32 v14, 1, v0
	v_mov_b32_e32 v15, v9
	v_mov_b32_e32 v21, v9
.LBB248_3:                              ; =>This Inner Loop Header: Depth=1
	v_add_u32_e32 v0, v22, v20
	v_mad_i64_i32 v[16:17], s[0:1], v23, 36, v[10:11]
	v_mad_i64_i32 v[28:29], s[4:5], v0, s74, v[12:13]
	global_load_dwordx4 v[0:3], v[16:17], off offset:20
	global_load_dwordx4 v[4:7], v[16:17], off offset:4
	global_load_ushort v24, v[16:17], off
	v_lshl_add_u64 v[30:31], v[28:29], 0, v[14:15]
	v_lshl_add_u64 v[32:33], v[28:29], 0, v[8:9]
	global_load_ushort v26, v[28:29], off
	global_load_dwordx2 v[16:17], v[30:31], off offset:2
	global_load_ubyte v25, v[32:33], off offset:66
	s_getpc_b64 s[0:1]
	s_add_u32 s0, s0, _ZL10iq2xs_grid@rel32@lo+4
	s_addc_u32 s1, s1, _ZL10iq2xs_grid@rel32@hi+12
	s_getpc_b64 s[2:3]
	s_add_u32 s2, s2, _ZL12ksigns_iq2xs@rel32@lo+4
	s_addc_u32 s3, s3, _ZL12ksigns_iq2xs@rel32@hi+12
	v_add_u32_e32 v20, 8, v20
	v_add_u32_e32 v23, 64, v23
	s_waitcnt vmcnt(3)
	v_cvt_f32_f16_e32 v24, v24
	s_waitcnt vmcnt(2)
	v_cvt_f32_f16_e32 v26, v26
	s_waitcnt vmcnt(1)
	v_bfe_u32 v28, v16, 9, 7
	v_and_b32_e32 v27, 0x1ff, v16
	v_lshrrev_b32_e32 v29, 13, v16
	v_lshrrev_b32_e32 v30, 25, v16
	v_and_b32_e32 v31, 0x1ff, v17
	v_bfe_u32 v32, v17, 9, 7
	v_lshrrev_b32_e32 v33, 13, v17
	v_lshrrev_b32_e32 v36, 25, v17
	global_load_sbyte v37, v28, s[2:3]
	global_load_sbyte v38, v30, s[2:3]
	global_load_sbyte v39, v32, s[2:3]
	v_lshlrev_b32_e32 v27, 3, v27
	v_and_b32_e32 v40, 0xff8, v29
	v_lshlrev_b32_e32 v41, 3, v31
	v_and_b32_e32 v42, 0xff8, v33
	global_load_sbyte v43, v36, s[2:3]
	global_load_dwordx2 v[28:29], v27, s[0:1]
	global_load_dwordx2 v[30:31], v40, s[0:1]
	;; [unrolled: 1-line block ×4, first 2 shown]
	v_cmp_gt_i16_e64 s[0:1], 0, v17
	v_cmp_lt_i16_sdwa vcc, v17, v9 src0_sel:WORD_1 src1_sel:DWORD
	v_cmp_gt_i16_e64 s[4:5], 0, v16
	v_cmp_lt_i16_sdwa s[2:3], v16, v9 src0_sel:WORD_1 src1_sel:DWORD
	s_waitcnt vmcnt(7)
	v_and_b32_e32 v27, 2, v37
	s_waitcnt vmcnt(6)
	v_and_b32_e32 v46, 4, v38
	v_and_b32_e32 v47, 8, v38
	;; [unrolled: 1-line block ×3, first 2 shown]
	s_waitcnt vmcnt(5)
	v_and_b32_e32 v50, 1, v39
	v_and_b32_e32 v51, 2, v39
	s_waitcnt vmcnt(3)
	v_mul_i32_i24_sdwa v57, v28, sext(v4) dst_sel:DWORD dst_unused:UNUSED_PAD src0_sel:BYTE_0 src1_sel:BYTE_0
	v_mul_i32_i24_sdwa v58, v28, sext(v4) dst_sel:DWORD dst_unused:UNUSED_PAD src0_sel:BYTE_1 src1_sel:BYTE_1
	v_mul_i32_i24_sdwa v59, v28, sext(v4) dst_sel:DWORD dst_unused:UNUSED_PAD src0_sel:BYTE_2 src1_sel:BYTE_2
	v_mul_i32_i24_sdwa v4, v28, sext(v4) dst_sel:DWORD dst_unused:UNUSED_PAD src0_sel:BYTE_3 src1_sel:BYTE_3
	v_mul_i32_i24_sdwa v28, v29, sext(v5) dst_sel:DWORD dst_unused:UNUSED_PAD src0_sel:BYTE_0 src1_sel:BYTE_0
	v_mul_i32_i24_sdwa v60, v29, sext(v5) dst_sel:DWORD dst_unused:UNUSED_PAD src0_sel:BYTE_1 src1_sel:BYTE_1
	v_mul_i32_i24_sdwa v61, v29, sext(v5) dst_sel:DWORD dst_unused:UNUSED_PAD src0_sel:BYTE_2 src1_sel:BYTE_2
	v_mul_i32_i24_sdwa v5, v29, sext(v5) dst_sel:DWORD dst_unused:UNUSED_PAD src0_sel:BYTE_3 src1_sel:BYTE_3
	s_waitcnt vmcnt(2)
	v_mul_i32_i24_sdwa v29, v30, sext(v6) dst_sel:DWORD dst_unused:UNUSED_PAD src0_sel:BYTE_0 src1_sel:BYTE_0
	v_mul_i32_i24_sdwa v62, v30, sext(v6) dst_sel:DWORD dst_unused:UNUSED_PAD src0_sel:BYTE_1 src1_sel:BYTE_1
	v_mul_i32_i24_sdwa v63, v30, sext(v6) dst_sel:DWORD dst_unused:UNUSED_PAD src0_sel:BYTE_2 src1_sel:BYTE_2
	v_mul_i32_i24_sdwa v6, v30, sext(v6) dst_sel:DWORD dst_unused:UNUSED_PAD src0_sel:BYTE_3 src1_sel:BYTE_3
	v_mul_i32_i24_sdwa v30, v31, sext(v7) dst_sel:DWORD dst_unused:UNUSED_PAD src0_sel:BYTE_0 src1_sel:BYTE_0
	v_mul_i32_i24_sdwa v64, v31, sext(v7) dst_sel:DWORD dst_unused:UNUSED_PAD src0_sel:BYTE_1 src1_sel:BYTE_1
	v_mul_i32_i24_sdwa v65, v31, sext(v7) dst_sel:DWORD dst_unused:UNUSED_PAD src0_sel:BYTE_2 src1_sel:BYTE_2
	v_mul_i32_i24_sdwa v7, v31, sext(v7) dst_sel:DWORD dst_unused:UNUSED_PAD src0_sel:BYTE_3 src1_sel:BYTE_3
	s_waitcnt vmcnt(1)
	v_mul_i32_i24_sdwa v31, v32, sext(v0) dst_sel:DWORD dst_unused:UNUSED_PAD src0_sel:BYTE_0 src1_sel:BYTE_0
	v_mul_i32_i24_sdwa v66, v32, sext(v0) dst_sel:DWORD dst_unused:UNUSED_PAD src0_sel:BYTE_1 src1_sel:BYTE_1
	v_and_b32_e32 v17, 4, v43
	v_and_b32_e32 v36, 4, v37
	;; [unrolled: 1-line block ×8, first 2 shown]
	v_mul_i32_i24_sdwa v67, v32, sext(v0) dst_sel:DWORD dst_unused:UNUSED_PAD src0_sel:BYTE_2 src1_sel:BYTE_2
	v_mul_i32_i24_sdwa v0, v32, sext(v0) dst_sel:DWORD dst_unused:UNUSED_PAD src0_sel:BYTE_3 src1_sel:BYTE_3
	v_cmp_eq_u16_e64 s[24:25], 0, v46
	v_sub_u32_e32 v46, 0, v6
	v_cmp_eq_u16_e64 s[26:27], 0, v47
	v_cmp_eq_u16_e64 s[30:31], 0, v49
	v_sub_u32_e32 v49, 0, v31
	v_cmp_eq_u16_e64 s[34:35], 0, v50
	v_sub_u32_e32 v50, 0, v66
	v_cmp_eq_u16_e64 s[36:37], 0, v51
	v_cmp_eq_u16_e64 s[50:51], 0, v17
	v_and_b32_e32 v17, 8, v43
	v_cmp_gt_i16_e64 s[60:61], 0, v37
	v_and_b32_e32 v37, 1, v37
	v_and_b32_e32 v44, 1, v38
	;; [unrolled: 1-line block ×5, first 2 shown]
	v_mul_i32_i24_sdwa v32, v33, sext(v1) dst_sel:DWORD dst_unused:UNUSED_PAD src0_sel:BYTE_0 src1_sel:BYTE_0
	v_mul_i32_i24_sdwa v68, v33, sext(v1) dst_sel:DWORD dst_unused:UNUSED_PAD src0_sel:BYTE_1 src1_sel:BYTE_1
	v_mul_i32_i24_sdwa v69, v33, sext(v1) dst_sel:DWORD dst_unused:UNUSED_PAD src0_sel:BYTE_2 src1_sel:BYTE_2
	v_mul_i32_i24_sdwa v1, v33, sext(v1) dst_sel:DWORD dst_unused:UNUSED_PAD src0_sel:BYTE_3 src1_sel:BYTE_3
	s_waitcnt vmcnt(0)
	v_mul_i32_i24_sdwa v33, v34, sext(v2) dst_sel:DWORD dst_unused:UNUSED_PAD src0_sel:BYTE_0 src1_sel:BYTE_0
	v_mul_i32_i24_sdwa v70, v34, sext(v2) dst_sel:DWORD dst_unused:UNUSED_PAD src0_sel:BYTE_1 src1_sel:BYTE_1
	v_mul_i32_i24_sdwa v71, v34, sext(v2) dst_sel:DWORD dst_unused:UNUSED_PAD src0_sel:BYTE_2 src1_sel:BYTE_2
	v_mul_i32_i24_sdwa v2, v34, sext(v2) dst_sel:DWORD dst_unused:UNUSED_PAD src0_sel:BYTE_3 src1_sel:BYTE_3
	v_mul_i32_i24_sdwa v34, v35, sext(v3) dst_sel:DWORD dst_unused:UNUSED_PAD src0_sel:BYTE_0 src1_sel:BYTE_0
	v_mul_i32_i24_sdwa v72, v35, sext(v3) dst_sel:DWORD dst_unused:UNUSED_PAD src0_sel:BYTE_1 src1_sel:BYTE_1
	v_mul_i32_i24_sdwa v73, v35, sext(v3) dst_sel:DWORD dst_unused:UNUSED_PAD src0_sel:BYTE_2 src1_sel:BYTE_2
	v_mul_i32_i24_sdwa v3, v35, sext(v3) dst_sel:DWORD dst_unused:UNUSED_PAD src0_sel:BYTE_3 src1_sel:BYTE_3
	v_cmp_gt_i16_e64 s[8:9], 0, v39
	v_sub_u32_e32 v39, 0, v58
	v_cmp_eq_u16_e64 s[10:11], 0, v27
	v_sub_u32_e32 v47, 0, v30
	v_cmp_eq_u16_e64 s[28:29], 0, v48
	;; [unrolled: 2-line block ×4, first 2 shown]
	v_cmp_eq_u16_e64 s[52:53], 0, v17
	v_and_b32_e32 v17, 16, v43
	v_sub_u32_e32 v81, 0, v57
	v_cmp_eq_u16_e64 s[62:63], 0, v37
	v_cndmask_b32_e64 v6, v46, v6, s[26:27]
	v_cndmask_b32_e64 v31, v49, v31, s[34:35]
	;; [unrolled: 1-line block ×3, first 2 shown]
	v_sub_u32_e32 v27, 0, v59
	v_cmp_eq_u16_e64 s[12:13], 0, v36
	v_sub_u32_e32 v36, 0, v4
	v_cmp_eq_u16_e64 s[14:15], 0, v40
	v_cmp_eq_u16_e64 s[18:19], 0, v42
	v_sub_u32_e32 v42, 0, v29
	v_cmp_eq_u16_e64 s[20:21], 0, v44
	v_sub_u32_e32 v44, 0, v62
	;; [unrolled: 2-line block ×3, first 2 shown]
	v_sub_u32_e32 v53, 0, v32
	v_cmp_eq_u16_e64 s[42:43], 0, v54
	v_sub_u32_e32 v54, 0, v68
	v_cmp_eq_u16_e64 s[44:45], 0, v55
	v_cmp_eq_u16_e64 s[54:55], 0, v17
	v_sub_u32_e32 v17, 0, v3
	v_cmp_gt_i16_e64 s[56:57], 0, v43
	v_cndmask_b32_e64 v37, v81, v57, s[62:63]
	v_cndmask_b32_e64 v39, v39, v58, s[10:11]
	;; [unrolled: 1-line block ×5, first 2 shown]
	v_add_u32_e32 v31, v46, v31
	v_and_b32_e32 v56, 1, v43
	v_and_b32_e32 v35, 2, v43
	v_sub_u32_e32 v16, 0, v69
	v_cmp_gt_i16_e64 s[6:7], 0, v38
	v_sub_u32_e32 v38, 0, v1
	v_sub_u32_e32 v40, 0, v28
	v_cmp_eq_u16_e64 s[16:17], 0, v41
	v_sub_u32_e32 v41, 0, v60
	v_and_b32_e32 v43, 32, v43
	v_cndmask_b32_e64 v27, v27, v59, s[12:13]
	v_cndmask_b32_e64 v4, v36, v4, s[14:15]
	;; [unrolled: 1-line block ×8, first 2 shown]
	v_add_u32_e32 v17, v39, v37
	v_add3_u32 v0, v31, v47, v0
	v_sub_u32_e32 v74, 0, v61
	v_sub_u32_e32 v55, 0, v33
	v_cmp_eq_u16_e64 s[46:47], 0, v56
	v_sub_u32_e32 v56, 0, v70
	v_cmp_eq_u16_e64 s[48:49], 0, v35
	v_cmp_eq_u16_e64 s[58:59], 0, v43
	v_sub_u32_e32 v43, 0, v5
	v_cndmask_b32_e64 v28, v40, v28, s[16:17]
	v_cndmask_b32_e64 v40, v41, v60, s[18:19]
	;; [unrolled: 1-line block ×4, first 2 shown]
	v_add3_u32 v4, v17, v27, v4
	v_add3_u32 v0, v0, v32, v48
	v_sub_u32_e32 v35, 0, v71
	v_sub_u32_e32 v78, 0, v2
	v_cndmask_b32_e64 v41, v61, v74, s[4:5]
	v_cndmask_b32_e64 v5, v5, v43, s[60:61]
	;; [unrolled: 1-line block ×4, first 2 shown]
	v_add3_u32 v4, v4, v28, v40
	v_add3_u32 v0, v0, v16, v1
	v_sub_u32_e32 v45, 0, v63
	v_sub_u32_e32 v79, 0, v34
	;; [unrolled: 1-line block ×3, first 2 shown]
	v_cndmask_b32_e64 v35, v35, v71, s[50:51]
	v_cndmask_b32_e64 v2, v78, v2, s[52:53]
	v_add3_u32 v4, v4, v41, v5
	v_add3_u32 v0, v0, v33, v38
	v_sub_u32_e32 v76, 0, v73
	v_cndmask_b32_e64 v43, v45, v63, s[24:25]
	v_cndmask_b32_e64 v34, v79, v34, s[54:55]
	;; [unrolled: 1-line block ×3, first 2 shown]
	v_add3_u32 v1, v4, v29, v42
	v_add3_u32 v0, v0, v35, v2
	v_sub_u32_e32 v75, 0, v65
	v_sub_u32_e32 v77, 0, v7
	v_cndmask_b32_e32 v50, v73, v76, vcc
	v_add3_u32 v1, v1, v43, v6
	v_add3_u32 v0, v0, v34, v49
	v_cndmask_b32_e64 v45, v65, v75, s[2:3]
	v_cndmask_b32_e64 v7, v7, v77, s[6:7]
	v_add3_u32 v1, v1, v30, v44
	v_add3_u32 v0, v0, v50, v3
	;; [unrolled: 1-line block ×3, first 2 shown]
	v_cvt_f32_i32_e32 v0, v0
	v_lshrrev_b16_e32 v36, 4, v25
	v_cvt_f32_i32_e32 v1, v1
	v_and_b32_e32 v25, 15, v25
	v_cvt_f32_ubyte0_e32 v36, v36
	v_cvt_f32_ubyte0_e32 v25, v25
	v_add_f32_e32 v36, 0.5, v36
	v_add_f32_e32 v25, 0.5, v25
	v_mul_f32_e32 v2, v26, v24
	v_mul_f32_e32 v0, v36, v0
	v_cmp_le_u32_e64 s[10:11], s33, v20
	v_mul_f32_e32 v2, 0x3e800000, v2
	v_fmac_f32_e32 v0, v25, v1
	s_or_b64 s[64:65], s[10:11], s[64:65]
	v_fmac_f32_e32 v21, v2, v0
	s_andn2_b64 exec, exec, s[64:65]
	s_cbranch_execnz .LBB248_3
; %bb.4:
	s_or_b64 exec, exec, s[64:65]
.LBB248_5:
	s_or_b64 exec, exec, s[72:73]
	v_mbcnt_lo_u32_b32 v0, -1, 0
	v_mbcnt_hi_u32_b32 v1, -1, v0
	v_and_b32_e32 v0, 64, v1
	v_add_u32_e32 v2, 64, v0
	v_xor_b32_e32 v0, 32, v1
	v_cmp_lt_i32_e32 vcc, v0, v2
	v_xor_b32_e32 v3, 16, v1
	v_xor_b32_e32 v4, 8, v1
	v_cndmask_b32_e32 v0, v1, v0, vcc
	v_lshlrev_b32_e32 v0, 2, v0
	ds_bpermute_b32 v0, v0, v21
	v_cmp_lt_i32_e32 vcc, v3, v2
	s_waitcnt lgkmcnt(0)
	v_add_f32_e32 v0, v21, v0
	v_cndmask_b32_e32 v3, v1, v3, vcc
	v_lshlrev_b32_e32 v3, 2, v3
	ds_bpermute_b32 v3, v3, v0
	v_cmp_lt_i32_e32 vcc, v4, v2
	s_waitcnt lgkmcnt(0)
	v_add_f32_e32 v0, v0, v3
	v_cndmask_b32_e32 v3, v1, v4, vcc
	v_lshlrev_b32_e32 v3, 2, v3
	ds_bpermute_b32 v3, v3, v0
	v_xor_b32_e32 v4, 4, v1
	v_cmp_lt_i32_e32 vcc, v4, v2
	s_waitcnt lgkmcnt(0)
	v_add_f32_e32 v0, v0, v3
	v_cndmask_b32_e32 v3, v1, v4, vcc
	v_lshlrev_b32_e32 v3, 2, v3
	ds_bpermute_b32 v3, v3, v0
	v_xor_b32_e32 v4, 2, v1
	;; [unrolled: 7-line block ×3, first 2 shown]
	v_cmp_lt_i32_e32 vcc, v4, v2
	s_waitcnt lgkmcnt(0)
	v_add_f32_e32 v0, v0, v3
	v_cndmask_b32_e32 v1, v1, v4, vcc
	v_lshlrev_b32_e32 v1, 2, v1
	ds_bpermute_b32 v1, v1, v0
	v_cmp_eq_u32_e32 vcc, 0, v19
	s_and_b64 exec, exec, vcc
	s_cbranch_execz .LBB248_7
; %bb.6:
	s_mul_i32 s0, s66, s68
	s_waitcnt lgkmcnt(0)
	v_add_f32_e32 v2, v0, v1
	v_add_u32_e32 v0, s0, v18
	v_mov_b32_e32 v1, 0
	v_lshl_add_u64 v[0:1], v[0:1], 2, s[70:71]
	global_store_dword v[0:1], v2, off
.LBB248_7:
	s_endpgm
	.section	.rodata,"a",@progbits
	.p2align	6, 0x0
	.amdhsa_kernel _ZL9moe_vec_qIfLi256ELi8E12block_iq2_xsLi1EXadL_ZL19vec_dot_iq2_xs_q8_1PKvPK10block_q8_1RKiEEEvS2_S2_PT_PS6_iiii
		.amdhsa_group_segment_fixed_size 0
		.amdhsa_private_segment_fixed_size 0
		.amdhsa_kernarg_size 304
		.amdhsa_user_sgpr_count 2
		.amdhsa_user_sgpr_dispatch_ptr 0
		.amdhsa_user_sgpr_queue_ptr 0
		.amdhsa_user_sgpr_kernarg_segment_ptr 1
		.amdhsa_user_sgpr_dispatch_id 0
		.amdhsa_user_sgpr_kernarg_preload_length 0
		.amdhsa_user_sgpr_kernarg_preload_offset 0
		.amdhsa_user_sgpr_private_segment_size 0
		.amdhsa_uses_dynamic_stack 0
		.amdhsa_enable_private_segment 0
		.amdhsa_system_sgpr_workgroup_id_x 1
		.amdhsa_system_sgpr_workgroup_id_y 0
		.amdhsa_system_sgpr_workgroup_id_z 1
		.amdhsa_system_sgpr_workgroup_info 0
		.amdhsa_system_vgpr_workitem_id 1
		.amdhsa_next_free_vgpr 82
		.amdhsa_next_free_sgpr 75
		.amdhsa_accum_offset 84
		.amdhsa_reserve_vcc 1
		.amdhsa_float_round_mode_32 0
		.amdhsa_float_round_mode_16_64 0
		.amdhsa_float_denorm_mode_32 3
		.amdhsa_float_denorm_mode_16_64 3
		.amdhsa_dx10_clamp 1
		.amdhsa_ieee_mode 1
		.amdhsa_fp16_overflow 0
		.amdhsa_tg_split 0
		.amdhsa_exception_fp_ieee_invalid_op 0
		.amdhsa_exception_fp_denorm_src 0
		.amdhsa_exception_fp_ieee_div_zero 0
		.amdhsa_exception_fp_ieee_overflow 0
		.amdhsa_exception_fp_ieee_underflow 0
		.amdhsa_exception_fp_ieee_inexact 0
		.amdhsa_exception_int_div_zero 0
	.end_amdhsa_kernel
	.section	.text._ZL9moe_vec_qIfLi256ELi8E12block_iq2_xsLi1EXadL_ZL19vec_dot_iq2_xs_q8_1PKvPK10block_q8_1RKiEEEvS2_S2_PT_PS6_iiii,"axG",@progbits,_ZL9moe_vec_qIfLi256ELi8E12block_iq2_xsLi1EXadL_ZL19vec_dot_iq2_xs_q8_1PKvPK10block_q8_1RKiEEEvS2_S2_PT_PS6_iiii,comdat
.Lfunc_end248:
	.size	_ZL9moe_vec_qIfLi256ELi8E12block_iq2_xsLi1EXadL_ZL19vec_dot_iq2_xs_q8_1PKvPK10block_q8_1RKiEEEvS2_S2_PT_PS6_iiii, .Lfunc_end248-_ZL9moe_vec_qIfLi256ELi8E12block_iq2_xsLi1EXadL_ZL19vec_dot_iq2_xs_q8_1PKvPK10block_q8_1RKiEEEvS2_S2_PT_PS6_iiii
                                        ; -- End function
	.set _ZL9moe_vec_qIfLi256ELi8E12block_iq2_xsLi1EXadL_ZL19vec_dot_iq2_xs_q8_1PKvPK10block_q8_1RKiEEEvS2_S2_PT_PS6_iiii.num_vgpr, 82
	.set _ZL9moe_vec_qIfLi256ELi8E12block_iq2_xsLi1EXadL_ZL19vec_dot_iq2_xs_q8_1PKvPK10block_q8_1RKiEEEvS2_S2_PT_PS6_iiii.num_agpr, 0
	.set _ZL9moe_vec_qIfLi256ELi8E12block_iq2_xsLi1EXadL_ZL19vec_dot_iq2_xs_q8_1PKvPK10block_q8_1RKiEEEvS2_S2_PT_PS6_iiii.numbered_sgpr, 75
	.set _ZL9moe_vec_qIfLi256ELi8E12block_iq2_xsLi1EXadL_ZL19vec_dot_iq2_xs_q8_1PKvPK10block_q8_1RKiEEEvS2_S2_PT_PS6_iiii.num_named_barrier, 0
	.set _ZL9moe_vec_qIfLi256ELi8E12block_iq2_xsLi1EXadL_ZL19vec_dot_iq2_xs_q8_1PKvPK10block_q8_1RKiEEEvS2_S2_PT_PS6_iiii.private_seg_size, 0
	.set _ZL9moe_vec_qIfLi256ELi8E12block_iq2_xsLi1EXadL_ZL19vec_dot_iq2_xs_q8_1PKvPK10block_q8_1RKiEEEvS2_S2_PT_PS6_iiii.uses_vcc, 1
	.set _ZL9moe_vec_qIfLi256ELi8E12block_iq2_xsLi1EXadL_ZL19vec_dot_iq2_xs_q8_1PKvPK10block_q8_1RKiEEEvS2_S2_PT_PS6_iiii.uses_flat_scratch, 0
	.set _ZL9moe_vec_qIfLi256ELi8E12block_iq2_xsLi1EXadL_ZL19vec_dot_iq2_xs_q8_1PKvPK10block_q8_1RKiEEEvS2_S2_PT_PS6_iiii.has_dyn_sized_stack, 0
	.set _ZL9moe_vec_qIfLi256ELi8E12block_iq2_xsLi1EXadL_ZL19vec_dot_iq2_xs_q8_1PKvPK10block_q8_1RKiEEEvS2_S2_PT_PS6_iiii.has_recursion, 0
	.set _ZL9moe_vec_qIfLi256ELi8E12block_iq2_xsLi1EXadL_ZL19vec_dot_iq2_xs_q8_1PKvPK10block_q8_1RKiEEEvS2_S2_PT_PS6_iiii.has_indirect_call, 0
	.section	.AMDGPU.csdata,"",@progbits
; Kernel info:
; codeLenInByte = 2116
; TotalNumSgprs: 81
; NumVgprs: 82
; NumAgprs: 0
; TotalNumVgprs: 82
; ScratchSize: 0
; MemoryBound: 0
; FloatMode: 240
; IeeeMode: 1
; LDSByteSize: 0 bytes/workgroup (compile time only)
; SGPRBlocks: 10
; VGPRBlocks: 10
; NumSGPRsForWavesPerEU: 81
; NumVGPRsForWavesPerEU: 82
; AccumOffset: 84
; Occupancy: 5
; WaveLimiterHint : 1
; COMPUTE_PGM_RSRC2:SCRATCH_EN: 0
; COMPUTE_PGM_RSRC2:USER_SGPR: 2
; COMPUTE_PGM_RSRC2:TRAP_HANDLER: 0
; COMPUTE_PGM_RSRC2:TGID_X_EN: 1
; COMPUTE_PGM_RSRC2:TGID_Y_EN: 0
; COMPUTE_PGM_RSRC2:TGID_Z_EN: 1
; COMPUTE_PGM_RSRC2:TIDIG_COMP_CNT: 1
; COMPUTE_PGM_RSRC3_GFX90A:ACCUM_OFFSET: 20
; COMPUTE_PGM_RSRC3_GFX90A:TG_SPLIT: 0
	.section	.text._ZL9moe_vec_qIfLi256ELi8E13block_iq3_xxsLi1EXadL_ZL20vec_dot_iq3_xxs_q8_1PKvPK10block_q8_1RKiEEEvS2_S2_PT_PS6_iiii,"axG",@progbits,_ZL9moe_vec_qIfLi256ELi8E13block_iq3_xxsLi1EXadL_ZL20vec_dot_iq3_xxs_q8_1PKvPK10block_q8_1RKiEEEvS2_S2_PT_PS6_iiii,comdat
	.globl	_ZL9moe_vec_qIfLi256ELi8E13block_iq3_xxsLi1EXadL_ZL20vec_dot_iq3_xxs_q8_1PKvPK10block_q8_1RKiEEEvS2_S2_PT_PS6_iiii ; -- Begin function _ZL9moe_vec_qIfLi256ELi8E13block_iq3_xxsLi1EXadL_ZL20vec_dot_iq3_xxs_q8_1PKvPK10block_q8_1RKiEEEvS2_S2_PT_PS6_iiii
	.p2align	8
	.type	_ZL9moe_vec_qIfLi256ELi8E13block_iq3_xxsLi1EXadL_ZL20vec_dot_iq3_xxs_q8_1PKvPK10block_q8_1RKiEEEvS2_S2_PT_PS6_iiii,@function
_ZL9moe_vec_qIfLi256ELi8E13block_iq3_xxsLi1EXadL_ZL20vec_dot_iq3_xxs_q8_1PKvPK10block_q8_1RKiEEEvS2_S2_PT_PS6_iiii: ; @_ZL9moe_vec_qIfLi256ELi8E13block_iq3_xxsLi1EXadL_ZL20vec_dot_iq3_xxs_q8_1PKvPK10block_q8_1RKiEEEvS2_S2_PT_PS6_iiii
; %bb.0:
	s_mov_b32 s8, s3
	s_load_dword s3, s[0:1], 0x3c
	s_load_dwordx4 s[4:7], s[0:1], 0x20
	v_bfe_u32 v1, v0, 10, 10
	s_waitcnt lgkmcnt(0)
	s_lshr_b32 s3, s3, 16
	s_mul_i32 s2, s2, s3
	v_add_u32_e32 v18, s2, v1
	v_cmp_gt_u32_e32 vcc, s6, v18
	s_and_saveexec_b64 s[2:3], vcc
	s_cbranch_execz .LBB249_7
; %bb.1:
	s_load_dwordx2 s[2:3], s[0:1], 0x10
	s_ashr_i32 s9, s5, 31
	s_lshr_b32 s9, s9, 24
	s_add_i32 s5, s5, s9
	s_ashr_i32 s14, s5, 8
	v_bfe_u32 v20, v0, 3, 7
	v_and_b32_e32 v19, 0x3ff, v0
	v_cmp_gt_u32_e32 vcc, s14, v20
	v_mov_b32_e32 v21, 0
	s_and_saveexec_b64 s[10:11], vcc
	s_cbranch_execz .LBB249_5
; %bb.2:
	s_load_dwordx2 s[12:13], s[0:1], 0x18
	v_cvt_f32_u32_e32 v0, s4
	s_mov_b32 s9, 0
	s_lshl_b64 s[16:17], s[8:9], 2
	v_and_b32_e32 v1, 7, v19
	s_waitcnt lgkmcnt(0)
	s_add_u32 s12, s12, s16
	v_rcp_iflag_f32_e32 v0, v0
	s_addc_u32 s13, s13, s17
	s_load_dword s5, s[12:13], 0x0
	s_load_dwordx4 s[16:19], s[0:1], 0x0
	s_mul_i32 s0, s14, s6
	v_mul_f32_e32 v0, 0x4f7ffffe, v0
	v_cvt_u32_f32_e32 v0, v0
	s_waitcnt lgkmcnt(0)
	s_mul_i32 s0, s0, s5
	s_mul_hi_i32 s1, s0, 0x62
	s_mulk_i32 s0, 0x62
	s_add_u32 s12, s16, s0
	s_addc_u32 s13, s17, s1
	s_sub_i32 s0, 0, s4
	v_readfirstlane_b32 s1, v0
	s_mul_i32 s0, s0, s1
	s_mul_hi_u32 s0, s1, s0
	s_add_i32 s1, s1, s0
	s_mul_hi_u32 s0, s8, s1
	s_mul_i32 s1, s0, s4
	s_sub_i32 s1, s8, s1
	s_add_i32 s5, s0, 1
	s_sub_i32 s16, s1, s4
	s_cmp_ge_u32 s1, s4
	s_cselect_b32 s0, s5, s0
	s_cselect_b32 s1, s16, s1
	s_add_i32 s5, s0, 1
	s_cmp_ge_u32 s1, s4
	s_cselect_b32 s0, s5, s0
	s_mul_i32 s0, s0, s7
	s_mov_b32 s1, s9
	s_lshl_b64 s[0:1], s[0:1], 2
	s_add_u32 s0, s18, s0
	s_addc_u32 s1, s19, s1
	v_mov_b32_e32 v9, 0
	v_lshlrev_b32_e32 v0, 1, v1
	v_mad_u64_u32 v[10:11], s[0:1], v1, 36, s[0:1]
	s_movk_i32 s15, 0x62
	v_mul_lo_u32 v22, v18, s14
	v_lshlrev_b32_e32 v8, 3, v1
	v_lshlrev_b32_e32 v23, 3, v20
	s_mov_b64 s[0:1], 0
	v_mov_b64_e32 v[12:13], s[12:13]
	v_lshlrev_b32_e32 v14, 1, v0
	v_mov_b32_e32 v15, v9
	s_mov_b32 s7, 0xc060c00
	v_mov_b32_e32 v24, 2
	v_mov_b32_e32 v21, v9
	s_getpc_b64 s[12:13]
	s_add_u32 s12, s12, _ZL11iq3xxs_grid@rel32@lo+4
	s_addc_u32 s13, s13, _ZL11iq3xxs_grid@rel32@hi+12
.LBB249_3:                              ; =>This Inner Loop Header: Depth=1
	v_add_u32_e32 v0, v22, v20
	v_mad_i64_i32 v[16:17], s[4:5], v23, 36, v[10:11]
	v_mad_i64_i32 v[26:27], s[16:17], v0, s15, v[12:13]
	global_load_dword v32, v[16:17], off offset:32
	global_load_dwordx4 v[4:7], v[16:17], off
	global_load_dwordx4 v[0:3], v[16:17], off offset:16
	v_lshl_add_u64 v[16:17], v[26:27], 0, v[8:9]
	v_lshl_add_u64 v[28:29], v[26:27], 0, v[14:15]
	global_load_dwordx2 v[30:31], v[16:17], off offset:2
	global_load_dword v33, v[28:29], off offset:66
	global_load_ushort v34, v[26:27], off
	s_getpc_b64 s[4:5]
	s_add_u32 s4, s4, _ZL8ksigns64@rel32@lo+4
	s_addc_u32 s5, s5, _ZL8ksigns64@rel32@hi+12
	v_mov_b32_e32 v25, 0
	v_add_u32_e32 v20, 8, v20
	v_cmp_le_u32_e32 vcc, s14, v20
	v_add_u32_e32 v23, 64, v23
	s_or_b64 s[0:1], vcc, s[0:1]
	s_waitcnt vmcnt(4)
	v_cvt_f32_f16_e32 v4, v4
	s_waitcnt vmcnt(2)
	v_lshlrev_b32_sdwa v16, v24, v30 dst_sel:DWORD dst_unused:UNUSED_PAD src0_sel:DWORD src1_sel:BYTE_0
	v_lshlrev_b32_sdwa v17, v24, v30 dst_sel:DWORD dst_unused:UNUSED_PAD src0_sel:DWORD src1_sel:BYTE_1
	s_waitcnt vmcnt(1)
	v_and_b32_e32 v26, 0x7f, v33
	global_load_dword v40, v16, s[12:13]
	global_load_dword v41, v17, s[12:13]
	v_lshlrev_b32_sdwa v27, v24, v30 dst_sel:DWORD dst_unused:UNUSED_PAD src0_sel:DWORD src1_sel:BYTE_2
	v_lshlrev_b32_sdwa v28, v24, v30 dst_sel:DWORD dst_unused:UNUSED_PAD src0_sel:DWORD src1_sel:BYTE_3
	v_lshrrev_b32_e32 v29, 4, v33
	v_lshlrev_b32_sdwa v30, v24, v31 dst_sel:DWORD dst_unused:UNUSED_PAD src0_sel:DWORD src1_sel:BYTE_0
	v_lshlrev_b32_sdwa v35, v24, v31 dst_sel:DWORD dst_unused:UNUSED_PAD src0_sel:DWORD src1_sel:BYTE_1
	v_lshrrev_b32_e32 v36, 11, v33
	v_lshlrev_b32_sdwa v37, v24, v31 dst_sel:DWORD dst_unused:UNUSED_PAD src0_sel:DWORD src1_sel:BYTE_2
	v_lshlrev_b32_sdwa v31, v24, v31 dst_sel:DWORD dst_unused:UNUSED_PAD src0_sel:DWORD src1_sel:BYTE_3
	v_lshrrev_b32_e32 v38, 18, v33
	v_lshlrev_b32_e32 v39, 3, v26
	v_and_b32_e32 v42, 0x3f8, v29
	global_load_dword v43, v27, s[12:13]
	global_load_dword v44, v28, s[12:13]
	v_and_b32_e32 v36, 0x3f8, v36
	global_load_dword v45, v30, s[12:13]
	global_load_dword v46, v35, s[12:13]
	;; [unrolled: 3-line block ×3, first 2 shown]
	global_load_dwordx2 v[16:17], v39, s[4:5]
	global_load_dwordx2 v[26:27], v42, s[4:5]
	;; [unrolled: 1-line block ×3, first 2 shown]
	s_nop 0
	global_load_dwordx2 v[30:31], v35, s[4:5]
	s_waitcnt vmcnt(12)
	v_cvt_f32_f16_e32 v34, v34
	v_lshrrev_b32_e32 v33, 28, v33
	v_cvt_f32_ubyte0_e32 v33, v33
	v_add_f32_e32 v33, 0.5, v33
	s_waitcnt vmcnt(3)
	v_xor_b32_e32 v35, v16, v40
	v_and_b32_e32 v36, 0xff000000, v16
	v_and_b32_e32 v37, 0xff0000, v16
	;; [unrolled: 1-line block ×3, first 2 shown]
	v_xor_b32_e32 v40, v17, v41
	v_and_b32_e32 v41, 0xff000000, v17
	v_and_b32_e32 v42, 0xff0000, v17
	;; [unrolled: 1-line block ×3, first 2 shown]
	v_sub_u32_e32 v36, v35, v36
	v_sub_u32_e32 v37, v35, v37
	;; [unrolled: 1-line block ×4, first 2 shown]
	s_waitcnt vmcnt(2)
	v_xor_b32_e32 v43, v26, v43
	v_and_b32_e32 v49, 0xff000000, v26
	v_and_b32_e32 v50, 0xff0000, v26
	;; [unrolled: 1-line block ×3, first 2 shown]
	v_sub_u32_e32 v17, v40, v17
	v_sub_u32_e32 v41, v40, v41
	;; [unrolled: 1-line block ×4, first 2 shown]
	v_and_b32_e32 v36, 0xff000000, v36
	v_and_b32_e32 v39, 0xff00, v39
	v_perm_b32 v16, v37, v16, s7
	v_xor_b32_e32 v44, v27, v44
	v_and_b32_e32 v52, 0xff000000, v27
	v_and_b32_e32 v53, 0xff0000, v27
	;; [unrolled: 1-line block ×3, first 2 shown]
	s_waitcnt vmcnt(1)
	v_xor_b32_e32 v45, v28, v45
	v_and_b32_e32 v55, 0xff000000, v28
	v_and_b32_e32 v56, 0xff0000, v28
	;; [unrolled: 1-line block ×3, first 2 shown]
	v_xor_b32_e32 v46, v29, v46
	v_and_b32_e32 v58, 0xff000000, v29
	v_and_b32_e32 v59, 0xff0000, v29
	;; [unrolled: 1-line block ×3, first 2 shown]
	v_sub_u32_e32 v49, v43, v49
	v_sub_u32_e32 v50, v43, v50
	;; [unrolled: 1-line block ×4, first 2 shown]
	v_and_b32_e32 v37, 0xff000000, v41
	v_and_b32_e32 v40, 0xff00, v40
	v_perm_b32 v17, v42, v17, s7
	v_or3_b32 v16, v16, v36, v39
	s_waitcnt vmcnt(0)
	v_xor_b32_e32 v38, v30, v38
	v_and_b32_e32 v35, 0xff000000, v30
	v_and_b32_e32 v48, 0xff0000, v30
	v_sub_u32_e32 v27, v44, v27
	v_and_b32_e32 v43, 0xff00, v30
	v_xor_b32_e32 v47, v31, v47
	v_sub_u32_e32 v52, v44, v52
	v_sub_u32_e32 v53, v44, v53
	;; [unrolled: 1-line block ×3, first 2 shown]
	v_and_b32_e32 v54, 0xff000000, v31
	v_sub_u32_e32 v55, v45, v55
	v_sub_u32_e32 v56, v45, v56
	;; [unrolled: 1-line block ×5, first 2 shown]
	v_and_b32_e32 v45, 0xff0000, v31
	v_sub_u32_e32 v58, v46, v58
	v_sub_u32_e32 v59, v46, v59
	;; [unrolled: 1-line block ×3, first 2 shown]
	v_and_b32_e32 v60, 0xff00, v31
	v_and_b32_e32 v41, 0xff000000, v49
	v_and_b32_e32 v42, 0xff00, v51
	v_perm_b32 v26, v50, v26, s7
	v_or3_b32 v17, v17, v37, v40
	v_dot4c_i32_i8_e32 v25, v16, v5
	v_sub_u32_e32 v35, v38, v35
	v_sub_u32_e32 v48, v38, v48
	;; [unrolled: 1-line block ×8, first 2 shown]
	v_and_b32_e32 v47, 0xff000000, v52
	v_and_b32_e32 v44, 0xff00, v44
	v_perm_b32 v27, v53, v27, s7
	v_or3_b32 v26, v26, v41, v42
	v_dot4c_i32_i8_e32 v25, v17, v6
	v_and_b32_e32 v49, 0xff000000, v55
	v_and_b32_e32 v50, 0xff00, v57
	v_perm_b32 v28, v56, v28, s7
	v_or3_b32 v27, v27, v47, v44
	v_dot4c_i32_i8_e32 v25, v26, v7
	;; [unrolled: 5-line block ×5, first 2 shown]
	v_or3_b32 v31, v31, v38, v48
	v_dot4c_i32_i8_e32 v25, v30, v3
	v_dot4c_i32_i8_e32 v25, v31, v32
	v_mul_f32_e32 v1, v33, v34
	v_mul_f32_e32 v1, v1, v4
	v_mul_f32_e32 v1, 0.5, v1
	v_cvt_f32_i32_e32 v0, v25
	v_fmac_f32_e32 v21, v1, v0
	s_andn2_b64 exec, exec, s[0:1]
	s_cbranch_execnz .LBB249_3
; %bb.4:
	s_or_b64 exec, exec, s[0:1]
.LBB249_5:
	s_or_b64 exec, exec, s[10:11]
	v_mbcnt_lo_u32_b32 v0, -1, 0
	v_mbcnt_hi_u32_b32 v1, -1, v0
	v_and_b32_e32 v0, 64, v1
	v_add_u32_e32 v2, 64, v0
	v_xor_b32_e32 v0, 32, v1
	v_cmp_lt_i32_e32 vcc, v0, v2
	v_xor_b32_e32 v3, 16, v1
	v_xor_b32_e32 v4, 8, v1
	v_cndmask_b32_e32 v0, v1, v0, vcc
	v_lshlrev_b32_e32 v0, 2, v0
	ds_bpermute_b32 v0, v0, v21
	v_cmp_lt_i32_e32 vcc, v3, v2
	s_waitcnt lgkmcnt(0)
	v_add_f32_e32 v0, v21, v0
	v_cndmask_b32_e32 v3, v1, v3, vcc
	v_lshlrev_b32_e32 v3, 2, v3
	ds_bpermute_b32 v3, v3, v0
	v_cmp_lt_i32_e32 vcc, v4, v2
	s_waitcnt lgkmcnt(0)
	v_add_f32_e32 v0, v0, v3
	v_cndmask_b32_e32 v3, v1, v4, vcc
	v_lshlrev_b32_e32 v3, 2, v3
	ds_bpermute_b32 v3, v3, v0
	v_xor_b32_e32 v4, 4, v1
	v_cmp_lt_i32_e32 vcc, v4, v2
	s_waitcnt lgkmcnt(0)
	v_add_f32_e32 v0, v0, v3
	v_cndmask_b32_e32 v3, v1, v4, vcc
	v_lshlrev_b32_e32 v3, 2, v3
	ds_bpermute_b32 v3, v3, v0
	v_xor_b32_e32 v4, 2, v1
	;; [unrolled: 7-line block ×3, first 2 shown]
	v_cmp_lt_i32_e32 vcc, v4, v2
	s_waitcnt lgkmcnt(0)
	v_add_f32_e32 v0, v0, v3
	v_cndmask_b32_e32 v1, v1, v4, vcc
	v_lshlrev_b32_e32 v1, 2, v1
	ds_bpermute_b32 v1, v1, v0
	v_cmp_eq_u32_e32 vcc, 0, v19
	s_and_b64 exec, exec, vcc
	s_cbranch_execz .LBB249_7
; %bb.6:
	s_mul_i32 s0, s6, s8
	s_waitcnt lgkmcnt(0)
	v_add_f32_e32 v2, v0, v1
	v_add_u32_e32 v0, s0, v18
	v_mov_b32_e32 v1, 0
	v_lshl_add_u64 v[0:1], v[0:1], 2, s[2:3]
	global_store_dword v[0:1], v2, off
.LBB249_7:
	s_endpgm
	.section	.rodata,"a",@progbits
	.p2align	6, 0x0
	.amdhsa_kernel _ZL9moe_vec_qIfLi256ELi8E13block_iq3_xxsLi1EXadL_ZL20vec_dot_iq3_xxs_q8_1PKvPK10block_q8_1RKiEEEvS2_S2_PT_PS6_iiii
		.amdhsa_group_segment_fixed_size 0
		.amdhsa_private_segment_fixed_size 0
		.amdhsa_kernarg_size 304
		.amdhsa_user_sgpr_count 2
		.amdhsa_user_sgpr_dispatch_ptr 0
		.amdhsa_user_sgpr_queue_ptr 0
		.amdhsa_user_sgpr_kernarg_segment_ptr 1
		.amdhsa_user_sgpr_dispatch_id 0
		.amdhsa_user_sgpr_kernarg_preload_length 0
		.amdhsa_user_sgpr_kernarg_preload_offset 0
		.amdhsa_user_sgpr_private_segment_size 0
		.amdhsa_uses_dynamic_stack 0
		.amdhsa_enable_private_segment 0
		.amdhsa_system_sgpr_workgroup_id_x 1
		.amdhsa_system_sgpr_workgroup_id_y 0
		.amdhsa_system_sgpr_workgroup_id_z 1
		.amdhsa_system_sgpr_workgroup_info 0
		.amdhsa_system_vgpr_workitem_id 1
		.amdhsa_next_free_vgpr 61
		.amdhsa_next_free_sgpr 20
		.amdhsa_accum_offset 64
		.amdhsa_reserve_vcc 1
		.amdhsa_float_round_mode_32 0
		.amdhsa_float_round_mode_16_64 0
		.amdhsa_float_denorm_mode_32 3
		.amdhsa_float_denorm_mode_16_64 3
		.amdhsa_dx10_clamp 1
		.amdhsa_ieee_mode 1
		.amdhsa_fp16_overflow 0
		.amdhsa_tg_split 0
		.amdhsa_exception_fp_ieee_invalid_op 0
		.amdhsa_exception_fp_denorm_src 0
		.amdhsa_exception_fp_ieee_div_zero 0
		.amdhsa_exception_fp_ieee_overflow 0
		.amdhsa_exception_fp_ieee_underflow 0
		.amdhsa_exception_fp_ieee_inexact 0
		.amdhsa_exception_int_div_zero 0
	.end_amdhsa_kernel
	.section	.text._ZL9moe_vec_qIfLi256ELi8E13block_iq3_xxsLi1EXadL_ZL20vec_dot_iq3_xxs_q8_1PKvPK10block_q8_1RKiEEEvS2_S2_PT_PS6_iiii,"axG",@progbits,_ZL9moe_vec_qIfLi256ELi8E13block_iq3_xxsLi1EXadL_ZL20vec_dot_iq3_xxs_q8_1PKvPK10block_q8_1RKiEEEvS2_S2_PT_PS6_iiii,comdat
.Lfunc_end249:
	.size	_ZL9moe_vec_qIfLi256ELi8E13block_iq3_xxsLi1EXadL_ZL20vec_dot_iq3_xxs_q8_1PKvPK10block_q8_1RKiEEEvS2_S2_PT_PS6_iiii, .Lfunc_end249-_ZL9moe_vec_qIfLi256ELi8E13block_iq3_xxsLi1EXadL_ZL20vec_dot_iq3_xxs_q8_1PKvPK10block_q8_1RKiEEEvS2_S2_PT_PS6_iiii
                                        ; -- End function
	.set _ZL9moe_vec_qIfLi256ELi8E13block_iq3_xxsLi1EXadL_ZL20vec_dot_iq3_xxs_q8_1PKvPK10block_q8_1RKiEEEvS2_S2_PT_PS6_iiii.num_vgpr, 61
	.set _ZL9moe_vec_qIfLi256ELi8E13block_iq3_xxsLi1EXadL_ZL20vec_dot_iq3_xxs_q8_1PKvPK10block_q8_1RKiEEEvS2_S2_PT_PS6_iiii.num_agpr, 0
	.set _ZL9moe_vec_qIfLi256ELi8E13block_iq3_xxsLi1EXadL_ZL20vec_dot_iq3_xxs_q8_1PKvPK10block_q8_1RKiEEEvS2_S2_PT_PS6_iiii.numbered_sgpr, 20
	.set _ZL9moe_vec_qIfLi256ELi8E13block_iq3_xxsLi1EXadL_ZL20vec_dot_iq3_xxs_q8_1PKvPK10block_q8_1RKiEEEvS2_S2_PT_PS6_iiii.num_named_barrier, 0
	.set _ZL9moe_vec_qIfLi256ELi8E13block_iq3_xxsLi1EXadL_ZL20vec_dot_iq3_xxs_q8_1PKvPK10block_q8_1RKiEEEvS2_S2_PT_PS6_iiii.private_seg_size, 0
	.set _ZL9moe_vec_qIfLi256ELi8E13block_iq3_xxsLi1EXadL_ZL20vec_dot_iq3_xxs_q8_1PKvPK10block_q8_1RKiEEEvS2_S2_PT_PS6_iiii.uses_vcc, 1
	.set _ZL9moe_vec_qIfLi256ELi8E13block_iq3_xxsLi1EXadL_ZL20vec_dot_iq3_xxs_q8_1PKvPK10block_q8_1RKiEEEvS2_S2_PT_PS6_iiii.uses_flat_scratch, 0
	.set _ZL9moe_vec_qIfLi256ELi8E13block_iq3_xxsLi1EXadL_ZL20vec_dot_iq3_xxs_q8_1PKvPK10block_q8_1RKiEEEvS2_S2_PT_PS6_iiii.has_dyn_sized_stack, 0
	.set _ZL9moe_vec_qIfLi256ELi8E13block_iq3_xxsLi1EXadL_ZL20vec_dot_iq3_xxs_q8_1PKvPK10block_q8_1RKiEEEvS2_S2_PT_PS6_iiii.has_recursion, 0
	.set _ZL9moe_vec_qIfLi256ELi8E13block_iq3_xxsLi1EXadL_ZL20vec_dot_iq3_xxs_q8_1PKvPK10block_q8_1RKiEEEvS2_S2_PT_PS6_iiii.has_indirect_call, 0
	.section	.AMDGPU.csdata,"",@progbits
; Kernel info:
; codeLenInByte = 1708
; TotalNumSgprs: 26
; NumVgprs: 61
; NumAgprs: 0
; TotalNumVgprs: 61
; ScratchSize: 0
; MemoryBound: 0
; FloatMode: 240
; IeeeMode: 1
; LDSByteSize: 0 bytes/workgroup (compile time only)
; SGPRBlocks: 3
; VGPRBlocks: 7
; NumSGPRsForWavesPerEU: 26
; NumVGPRsForWavesPerEU: 61
; AccumOffset: 64
; Occupancy: 8
; WaveLimiterHint : 1
; COMPUTE_PGM_RSRC2:SCRATCH_EN: 0
; COMPUTE_PGM_RSRC2:USER_SGPR: 2
; COMPUTE_PGM_RSRC2:TRAP_HANDLER: 0
; COMPUTE_PGM_RSRC2:TGID_X_EN: 1
; COMPUTE_PGM_RSRC2:TGID_Y_EN: 0
; COMPUTE_PGM_RSRC2:TGID_Z_EN: 1
; COMPUTE_PGM_RSRC2:TIDIG_COMP_CNT: 1
; COMPUTE_PGM_RSRC3_GFX90A:ACCUM_OFFSET: 15
; COMPUTE_PGM_RSRC3_GFX90A:TG_SPLIT: 0
	.section	.text._ZL9moe_vec_qIfLi256ELi8E11block_iq1_sLi1EXadL_ZL18vec_dot_iq1_s_q8_1PKvPK10block_q8_1RKiEEEvS2_S2_PT_PS6_iiii,"axG",@progbits,_ZL9moe_vec_qIfLi256ELi8E11block_iq1_sLi1EXadL_ZL18vec_dot_iq1_s_q8_1PKvPK10block_q8_1RKiEEEvS2_S2_PT_PS6_iiii,comdat
	.globl	_ZL9moe_vec_qIfLi256ELi8E11block_iq1_sLi1EXadL_ZL18vec_dot_iq1_s_q8_1PKvPK10block_q8_1RKiEEEvS2_S2_PT_PS6_iiii ; -- Begin function _ZL9moe_vec_qIfLi256ELi8E11block_iq1_sLi1EXadL_ZL18vec_dot_iq1_s_q8_1PKvPK10block_q8_1RKiEEEvS2_S2_PT_PS6_iiii
	.p2align	8
	.type	_ZL9moe_vec_qIfLi256ELi8E11block_iq1_sLi1EXadL_ZL18vec_dot_iq1_s_q8_1PKvPK10block_q8_1RKiEEEvS2_S2_PT_PS6_iiii,@function
_ZL9moe_vec_qIfLi256ELi8E11block_iq1_sLi1EXadL_ZL18vec_dot_iq1_s_q8_1PKvPK10block_q8_1RKiEEEvS2_S2_PT_PS6_iiii: ; @_ZL9moe_vec_qIfLi256ELi8E11block_iq1_sLi1EXadL_ZL18vec_dot_iq1_s_q8_1PKvPK10block_q8_1RKiEEEvS2_S2_PT_PS6_iiii
; %bb.0:
	s_mov_b32 s8, s3
	s_load_dword s3, s[0:1], 0x3c
	s_load_dwordx4 s[4:7], s[0:1], 0x20
	v_bfe_u32 v1, v0, 10, 10
	s_waitcnt lgkmcnt(0)
	s_lshr_b32 s3, s3, 16
	s_mul_i32 s2, s2, s3
	v_add_u32_e32 v6, s2, v1
	v_cmp_gt_u32_e32 vcc, s6, v6
	s_and_saveexec_b64 s[2:3], vcc
	s_cbranch_execz .LBB250_7
; %bb.1:
	s_load_dwordx2 s[2:3], s[0:1], 0x10
	s_ashr_i32 s9, s5, 31
	s_lshr_b32 s9, s9, 24
	s_add_i32 s5, s5, s9
	s_ashr_i32 s12, s5, 8
	v_bfe_u32 v8, v0, 3, 7
	v_and_b32_e32 v7, 0x3ff, v0
	v_cmp_gt_u32_e32 vcc, s12, v8
	v_mov_b32_e32 v9, 0
	s_and_saveexec_b64 s[10:11], vcc
	s_cbranch_execz .LBB250_5
; %bb.2:
	s_load_dwordx2 s[14:15], s[0:1], 0x18
	v_cvt_f32_u32_e32 v0, s4
	s_mov_b32 s9, 0
	s_lshl_b64 s[16:17], s[8:9], 2
	v_and_b32_e32 v4, 7, v7
	v_rcp_iflag_f32_e32 v0, v0
	s_waitcnt lgkmcnt(0)
	s_add_u32 s14, s14, s16
	s_addc_u32 s15, s15, s17
	s_load_dword s5, s[14:15], 0x0
	s_load_dwordx4 s[16:19], s[0:1], 0x0
	v_mul_f32_e32 v0, 0x4f7ffffe, v0
	s_mul_i32 s0, s12, s6
	v_cvt_u32_f32_e32 v0, v0
	s_waitcnt lgkmcnt(0)
	s_mul_i32 s0, s0, s5
	s_mul_hi_i32 s1, s0, 50
	s_mul_i32 s0, s0, 50
	s_add_u32 s0, s16, s0
	s_addc_u32 s1, s17, s1
	s_sub_i32 s5, 0, s4
	v_readfirstlane_b32 s13, v0
	s_mul_i32 s5, s5, s13
	s_mul_hi_u32 s5, s13, s5
	s_add_i32 s13, s13, s5
	s_mul_hi_u32 s5, s8, s13
	s_mul_i32 s13, s5, s4
	s_sub_i32 s13, s8, s13
	s_add_i32 s14, s5, 1
	s_sub_i32 s15, s13, s4
	s_cmp_ge_u32 s13, s4
	s_cselect_b32 s5, s14, s5
	s_cselect_b32 s13, s15, s13
	s_add_i32 s14, s5, 1
	s_cmp_ge_u32 s13, s4
	s_cselect_b32 s4, s14, s5
	s_mul_i32 s4, s4, s7
	s_mov_b32 s5, s9
	s_lshl_b64 s[4:5], s[4:5], 2
	s_add_u32 s4, s18, s4
	s_addc_u32 s5, s19, s5
	v_lshlrev_b32_e32 v0, 1, v4
	v_mov_b32_e32 v1, 0
	v_mad_u64_u32 v[2:3], s[4:5], v4, 36, s[4:5]
	v_mul_lo_u32 v10, v6, s12
	v_lshlrev_b32_e32 v11, 3, v8
	s_mov_b64 s[4:5], 0
	v_lshlrev_b32_e32 v0, 1, v0
	v_lshlrev_b32_e32 v4, 1, v4
	v_mov_b32_e32 v5, v1
	s_movk_i32 s7, 0x700
	v_mov_b32_e32 v12, 0xbf600000
	v_mov_b32_e32 v9, v1
.LBB250_3:                              ; =>This Inner Loop Header: Depth=1
	v_add_u32_e32 v13, v10, v8
	v_mad_i64_i32 v[22:23], s[14:15], v13, 50, s[0:1]
	v_lshl_add_u64 v[14:15], v[22:23], 0, v[0:1]
	v_lshl_add_u64 v[16:17], v[22:23], 0, v[4:5]
	global_load_dword v13, v[14:15], off offset:2
	global_load_ushort v26, v[16:17], off offset:34
	v_mad_i64_i32 v[24:25], s[14:15], v11, 36, v[2:3]
	global_load_dwordx4 v[14:17], v[24:25], off
	global_load_dwordx4 v[18:21], v[24:25], off offset:16
	global_load_ushort v27, v[22:23], off
	s_getpc_b64 s[14:15]
	s_add_u32 s14, s14, _ZL13iq1s_grid_gpu@rel32@lo+4
	s_addc_u32 s15, s15, _ZL13iq1s_grid_gpu@rel32@hi+12
	v_add_u32_e32 v8, 8, v8
	v_cmp_le_u32_e32 vcc, s12, v8
	v_add_u32_e32 v11, 64, v11
	s_or_b64 s[4:5], vcc, s[4:5]
	s_waitcnt vmcnt(4)
	v_and_b32_e32 v23, 0xff, v13
	s_waitcnt vmcnt(3)
	v_lshlrev_b32_e32 v28, 8, v26
	v_lshrrev_b32_e32 v22, 24, v13
	v_bfe_u32 v29, v13, 8, 8
	v_lshlrev_b32_e32 v30, 5, v26
	v_bfe_u32 v13, v13, 16, 8
	v_lshlrev_b32_e32 v31, 2, v26
	v_lshrrev_b32_e32 v32, 1, v26
	v_and_or_b32 v23, v28, s7, v23
	v_and_or_b32 v28, v30, s7, v29
	;; [unrolled: 1-line block ×4, first 2 shown]
	v_lshlrev_b32_e32 v23, 3, v23
	v_lshlrev_b32_e32 v28, 3, v28
	v_lshlrev_b32_e32 v13, 3, v13
	v_lshlrev_b32_e32 v22, 3, v22
	global_load_dword v29, v23, s[14:15]
	global_load_dword v30, v28, s[14:15]
	;; [unrolled: 1-line block ×4, first 2 shown]
	global_load_dword v33, v[24:25], off offset:32
	s_waitcnt vmcnt(7)
	v_cvt_f32_f16_e32 v22, v14
	v_cvt_f32_f16_sdwa v23, v14 dst_sel:DWORD dst_unused:UNUSED_PAD src0_sel:WORD_1
	v_lshrrev_b32_e32 v14, 11, v26
	v_mov_b32_e32 v13, 0
	s_waitcnt vmcnt(5)
	v_cvt_f32_f16_e32 v24, v27
	v_and_b32_e32 v25, 0x8000, v26
	v_and_or_b32 v26, v14, 14, 1
	v_cvt_f32_u32_e32 v25, v25
	s_waitcnt vmcnt(4)
	v_and_b32_e32 v14, 0xf0f0f0f, v29
	v_lshrrev_b32_e32 v27, 4, v29
	v_and_b32_e32 v27, 0xf0f0f0f, v27
	v_dot4c_i32_i8_e32 v13, v14, v15
	s_waitcnt vmcnt(3)
	v_and_b32_e32 v28, 0xf0f0f0f, v30
	v_lshrrev_b32_e32 v29, 4, v30
	v_dot4c_i32_i8_e32 v13, v27, v16
	v_and_b32_e32 v14, 0xf0f0f0f, v29
	v_dot4c_i32_i8_e32 v13, v28, v17
	s_waitcnt vmcnt(2)
	v_and_b32_e32 v30, 0xf0f0f0f, v31
	v_lshrrev_b32_e32 v31, 4, v31
	v_dot4c_i32_i8_e32 v13, v14, v18
	;; [unrolled: 6-line block ×3, first 2 shown]
	v_and_b32_e32 v29, 0xf0f0f0f, v32
	v_dot4c_i32_i8_e32 v13, v34, v21
	s_waitcnt vmcnt(0)
	v_dot4c_i32_i8_e32 v13, v29, v33
	v_fmamk_f32 v15, v25, 0xb7000000, v12
	s_nop 1
	v_cvt_f32_i32_e32 v14, v13
	v_cvt_f32_ubyte0_e32 v13, v26
	v_mul_f32_e32 v13, v13, v24
	v_pk_mul_f32 v[14:15], v[14:15], v[22:23]
	s_nop 0
	v_add_f32_e32 v14, v14, v15
	v_fmac_f32_e32 v9, v13, v14
	s_andn2_b64 exec, exec, s[4:5]
	s_cbranch_execnz .LBB250_3
; %bb.4:
	s_or_b64 exec, exec, s[4:5]
.LBB250_5:
	s_or_b64 exec, exec, s[10:11]
	v_mbcnt_lo_u32_b32 v0, -1, 0
	v_mbcnt_hi_u32_b32 v1, -1, v0
	v_and_b32_e32 v0, 64, v1
	v_add_u32_e32 v2, 64, v0
	v_xor_b32_e32 v0, 32, v1
	v_cmp_lt_i32_e32 vcc, v0, v2
	v_xor_b32_e32 v3, 16, v1
	v_xor_b32_e32 v4, 8, v1
	v_cndmask_b32_e32 v0, v1, v0, vcc
	v_lshlrev_b32_e32 v0, 2, v0
	ds_bpermute_b32 v0, v0, v9
	v_cmp_lt_i32_e32 vcc, v3, v2
	s_waitcnt lgkmcnt(0)
	v_add_f32_e32 v0, v9, v0
	v_cndmask_b32_e32 v3, v1, v3, vcc
	v_lshlrev_b32_e32 v3, 2, v3
	ds_bpermute_b32 v3, v3, v0
	v_cmp_lt_i32_e32 vcc, v4, v2
	s_waitcnt lgkmcnt(0)
	v_add_f32_e32 v0, v0, v3
	v_cndmask_b32_e32 v3, v1, v4, vcc
	v_lshlrev_b32_e32 v3, 2, v3
	ds_bpermute_b32 v3, v3, v0
	v_xor_b32_e32 v4, 4, v1
	v_cmp_lt_i32_e32 vcc, v4, v2
	s_waitcnt lgkmcnt(0)
	v_add_f32_e32 v0, v0, v3
	v_cndmask_b32_e32 v3, v1, v4, vcc
	v_lshlrev_b32_e32 v3, 2, v3
	ds_bpermute_b32 v3, v3, v0
	v_xor_b32_e32 v4, 2, v1
	;; [unrolled: 7-line block ×3, first 2 shown]
	v_cmp_lt_i32_e32 vcc, v4, v2
	s_waitcnt lgkmcnt(0)
	v_add_f32_e32 v0, v0, v3
	v_cndmask_b32_e32 v1, v1, v4, vcc
	v_lshlrev_b32_e32 v1, 2, v1
	ds_bpermute_b32 v1, v1, v0
	v_cmp_eq_u32_e32 vcc, 0, v7
	s_and_b64 exec, exec, vcc
	s_cbranch_execz .LBB250_7
; %bb.6:
	s_mul_i32 s0, s6, s8
	s_waitcnt lgkmcnt(0)
	v_add_f32_e32 v2, v0, v1
	v_add_u32_e32 v0, s0, v6
	v_mov_b32_e32 v1, 0
	v_lshl_add_u64 v[0:1], v[0:1], 2, s[2:3]
	global_store_dword v[0:1], v2, off
.LBB250_7:
	s_endpgm
	.section	.rodata,"a",@progbits
	.p2align	6, 0x0
	.amdhsa_kernel _ZL9moe_vec_qIfLi256ELi8E11block_iq1_sLi1EXadL_ZL18vec_dot_iq1_s_q8_1PKvPK10block_q8_1RKiEEEvS2_S2_PT_PS6_iiii
		.amdhsa_group_segment_fixed_size 0
		.amdhsa_private_segment_fixed_size 0
		.amdhsa_kernarg_size 304
		.amdhsa_user_sgpr_count 2
		.amdhsa_user_sgpr_dispatch_ptr 0
		.amdhsa_user_sgpr_queue_ptr 0
		.amdhsa_user_sgpr_kernarg_segment_ptr 1
		.amdhsa_user_sgpr_dispatch_id 0
		.amdhsa_user_sgpr_kernarg_preload_length 0
		.amdhsa_user_sgpr_kernarg_preload_offset 0
		.amdhsa_user_sgpr_private_segment_size 0
		.amdhsa_uses_dynamic_stack 0
		.amdhsa_enable_private_segment 0
		.amdhsa_system_sgpr_workgroup_id_x 1
		.amdhsa_system_sgpr_workgroup_id_y 0
		.amdhsa_system_sgpr_workgroup_id_z 1
		.amdhsa_system_sgpr_workgroup_info 0
		.amdhsa_system_vgpr_workitem_id 1
		.amdhsa_next_free_vgpr 35
		.amdhsa_next_free_sgpr 20
		.amdhsa_accum_offset 36
		.amdhsa_reserve_vcc 1
		.amdhsa_float_round_mode_32 0
		.amdhsa_float_round_mode_16_64 0
		.amdhsa_float_denorm_mode_32 3
		.amdhsa_float_denorm_mode_16_64 3
		.amdhsa_dx10_clamp 1
		.amdhsa_ieee_mode 1
		.amdhsa_fp16_overflow 0
		.amdhsa_tg_split 0
		.amdhsa_exception_fp_ieee_invalid_op 0
		.amdhsa_exception_fp_denorm_src 0
		.amdhsa_exception_fp_ieee_div_zero 0
		.amdhsa_exception_fp_ieee_overflow 0
		.amdhsa_exception_fp_ieee_underflow 0
		.amdhsa_exception_fp_ieee_inexact 0
		.amdhsa_exception_int_div_zero 0
	.end_amdhsa_kernel
	.section	.text._ZL9moe_vec_qIfLi256ELi8E11block_iq1_sLi1EXadL_ZL18vec_dot_iq1_s_q8_1PKvPK10block_q8_1RKiEEEvS2_S2_PT_PS6_iiii,"axG",@progbits,_ZL9moe_vec_qIfLi256ELi8E11block_iq1_sLi1EXadL_ZL18vec_dot_iq1_s_q8_1PKvPK10block_q8_1RKiEEEvS2_S2_PT_PS6_iiii,comdat
.Lfunc_end250:
	.size	_ZL9moe_vec_qIfLi256ELi8E11block_iq1_sLi1EXadL_ZL18vec_dot_iq1_s_q8_1PKvPK10block_q8_1RKiEEEvS2_S2_PT_PS6_iiii, .Lfunc_end250-_ZL9moe_vec_qIfLi256ELi8E11block_iq1_sLi1EXadL_ZL18vec_dot_iq1_s_q8_1PKvPK10block_q8_1RKiEEEvS2_S2_PT_PS6_iiii
                                        ; -- End function
	.set _ZL9moe_vec_qIfLi256ELi8E11block_iq1_sLi1EXadL_ZL18vec_dot_iq1_s_q8_1PKvPK10block_q8_1RKiEEEvS2_S2_PT_PS6_iiii.num_vgpr, 35
	.set _ZL9moe_vec_qIfLi256ELi8E11block_iq1_sLi1EXadL_ZL18vec_dot_iq1_s_q8_1PKvPK10block_q8_1RKiEEEvS2_S2_PT_PS6_iiii.num_agpr, 0
	.set _ZL9moe_vec_qIfLi256ELi8E11block_iq1_sLi1EXadL_ZL18vec_dot_iq1_s_q8_1PKvPK10block_q8_1RKiEEEvS2_S2_PT_PS6_iiii.numbered_sgpr, 20
	.set _ZL9moe_vec_qIfLi256ELi8E11block_iq1_sLi1EXadL_ZL18vec_dot_iq1_s_q8_1PKvPK10block_q8_1RKiEEEvS2_S2_PT_PS6_iiii.num_named_barrier, 0
	.set _ZL9moe_vec_qIfLi256ELi8E11block_iq1_sLi1EXadL_ZL18vec_dot_iq1_s_q8_1PKvPK10block_q8_1RKiEEEvS2_S2_PT_PS6_iiii.private_seg_size, 0
	.set _ZL9moe_vec_qIfLi256ELi8E11block_iq1_sLi1EXadL_ZL18vec_dot_iq1_s_q8_1PKvPK10block_q8_1RKiEEEvS2_S2_PT_PS6_iiii.uses_vcc, 1
	.set _ZL9moe_vec_qIfLi256ELi8E11block_iq1_sLi1EXadL_ZL18vec_dot_iq1_s_q8_1PKvPK10block_q8_1RKiEEEvS2_S2_PT_PS6_iiii.uses_flat_scratch, 0
	.set _ZL9moe_vec_qIfLi256ELi8E11block_iq1_sLi1EXadL_ZL18vec_dot_iq1_s_q8_1PKvPK10block_q8_1RKiEEEvS2_S2_PT_PS6_iiii.has_dyn_sized_stack, 0
	.set _ZL9moe_vec_qIfLi256ELi8E11block_iq1_sLi1EXadL_ZL18vec_dot_iq1_s_q8_1PKvPK10block_q8_1RKiEEEvS2_S2_PT_PS6_iiii.has_recursion, 0
	.set _ZL9moe_vec_qIfLi256ELi8E11block_iq1_sLi1EXadL_ZL18vec_dot_iq1_s_q8_1PKvPK10block_q8_1RKiEEEvS2_S2_PT_PS6_iiii.has_indirect_call, 0
	.section	.AMDGPU.csdata,"",@progbits
; Kernel info:
; codeLenInByte = 1108
; TotalNumSgprs: 26
; NumVgprs: 35
; NumAgprs: 0
; TotalNumVgprs: 35
; ScratchSize: 0
; MemoryBound: 0
; FloatMode: 240
; IeeeMode: 1
; LDSByteSize: 0 bytes/workgroup (compile time only)
; SGPRBlocks: 3
; VGPRBlocks: 4
; NumSGPRsForWavesPerEU: 26
; NumVGPRsForWavesPerEU: 35
; AccumOffset: 36
; Occupancy: 8
; WaveLimiterHint : 1
; COMPUTE_PGM_RSRC2:SCRATCH_EN: 0
; COMPUTE_PGM_RSRC2:USER_SGPR: 2
; COMPUTE_PGM_RSRC2:TRAP_HANDLER: 0
; COMPUTE_PGM_RSRC2:TGID_X_EN: 1
; COMPUTE_PGM_RSRC2:TGID_Y_EN: 0
; COMPUTE_PGM_RSRC2:TGID_Z_EN: 1
; COMPUTE_PGM_RSRC2:TIDIG_COMP_CNT: 1
; COMPUTE_PGM_RSRC3_GFX90A:ACCUM_OFFSET: 8
; COMPUTE_PGM_RSRC3_GFX90A:TG_SPLIT: 0
	.section	.text._ZL9moe_vec_qIfLi32ELi4E12block_iq4_nlLi2EXadL_ZL19vec_dot_iq4_nl_q8_1PKvPK10block_q8_1RKiEEEvS2_S2_PT_PS6_iiii,"axG",@progbits,_ZL9moe_vec_qIfLi32ELi4E12block_iq4_nlLi2EXadL_ZL19vec_dot_iq4_nl_q8_1PKvPK10block_q8_1RKiEEEvS2_S2_PT_PS6_iiii,comdat
	.globl	_ZL9moe_vec_qIfLi32ELi4E12block_iq4_nlLi2EXadL_ZL19vec_dot_iq4_nl_q8_1PKvPK10block_q8_1RKiEEEvS2_S2_PT_PS6_iiii ; -- Begin function _ZL9moe_vec_qIfLi32ELi4E12block_iq4_nlLi2EXadL_ZL19vec_dot_iq4_nl_q8_1PKvPK10block_q8_1RKiEEEvS2_S2_PT_PS6_iiii
	.p2align	8
	.type	_ZL9moe_vec_qIfLi32ELi4E12block_iq4_nlLi2EXadL_ZL19vec_dot_iq4_nl_q8_1PKvPK10block_q8_1RKiEEEvS2_S2_PT_PS6_iiii,@function
_ZL9moe_vec_qIfLi32ELi4E12block_iq4_nlLi2EXadL_ZL19vec_dot_iq4_nl_q8_1PKvPK10block_q8_1RKiEEEvS2_S2_PT_PS6_iiii: ; @_ZL9moe_vec_qIfLi32ELi4E12block_iq4_nlLi2EXadL_ZL19vec_dot_iq4_nl_q8_1PKvPK10block_q8_1RKiEEEvS2_S2_PT_PS6_iiii
; %bb.0:
	s_mov_b32 s8, s3
	s_load_dword s3, s[0:1], 0x3c
	s_load_dwordx4 s[4:7], s[0:1], 0x20
	v_bfe_u32 v1, v0, 10, 10
	s_waitcnt lgkmcnt(0)
	s_lshr_b32 s3, s3, 16
	s_mul_i32 s2, s2, s3
	v_add_u32_e32 v4, s2, v1
	v_cmp_gt_u32_e32 vcc, s6, v4
	s_and_saveexec_b64 s[2:3], vcc
	s_cbranch_execz .LBB251_7
; %bb.1:
	v_cvt_f32_u32_e32 v1, s4
	v_and_b32_e32 v5, 0x3ff, v0
	v_bfe_u32 v6, v0, 1, 9
	s_load_dwordx2 s[2:3], s[0:1], 0x10
	v_rcp_iflag_f32_e32 v1, v1
	s_ashr_i32 s9, s5, 31
	s_lshr_b32 s9, s9, 27
	s_add_i32 s5, s5, s9
	v_mul_f32_e32 v0, 0x4f7ffffe, v1
	v_cvt_u32_f32_e32 v0, v0
	s_ashr_i32 s16, s5, 5
	v_cmp_gt_u32_e32 vcc, s16, v6
	v_mov_b32_e32 v7, 0
	v_readfirstlane_b32 s5, v0
	s_and_saveexec_b64 s[10:11], vcc
	s_cbranch_execz .LBB251_5
; %bb.2:
	s_sub_i32 s12, 0, s4
	s_mul_i32 s17, s12, s5
	s_load_dwordx4 s[12:15], s[0:1], 0x0
	s_load_dwordx2 s[18:19], s[0:1], 0x18
	s_mov_b32 s9, 0
	s_mul_hi_u32 s0, s5, s17
	s_add_i32 s5, s5, s0
	s_lshl_b64 s[0:1], s[8:9], 2
	s_waitcnt lgkmcnt(0)
	s_add_u32 s0, s18, s0
	s_mul_hi_u32 s5, s8, s5
	s_addc_u32 s1, s19, s1
	s_load_dword s0, s[0:1], 0x0
	s_mul_i32 s1, s5, s4
	s_sub_i32 s1, s8, s1
	s_add_i32 s17, s5, 1
	s_sub_i32 s18, s1, s4
	s_cmp_ge_u32 s1, s4
	s_cselect_b32 s5, s17, s5
	s_cselect_b32 s1, s18, s1
	s_add_i32 s17, s5, 1
	s_cmp_ge_u32 s1, s4
	s_mul_i32 s1, s16, s6
	s_waitcnt lgkmcnt(0)
	s_mul_i32 s0, s1, s0
	s_cselect_b32 s4, s17, s5
	s_mul_hi_i32 s1, s0, 18
	s_mul_i32 s0, s0, 18
	s_add_u32 s0, s12, s0
	s_mul_i32 s4, s4, s7
	s_mov_b32 s5, s9
	v_lshlrev_b32_e32 v0, 1, v5
	s_addc_u32 s1, s13, s1
	s_lshl_b64 s[4:5], s[4:5], 2
	v_and_b32_e32 v2, 2, v0
	s_add_u32 s4, s14, s4
	v_lshlrev_b32_e32 v0, 1, v2
	v_mov_b32_e32 v1, 0
	s_addc_u32 s5, s15, s5
	v_mul_lo_u32 v8, v4, s16
	s_mov_b64 s[12:13], 0
	v_lshlrev_b32_e32 v0, 1, v0
	v_lshlrev_b32_e32 v2, 2, v2
	v_mov_b32_e32 v3, v1
	v_mov_b32_e32 v7, v1
.LBB251_3:                              ; =>This Inner Loop Header: Depth=1
	v_add_u32_e32 v9, v8, v6
	v_mad_i64_i32 v[10:11], s[14:15], v9, 18, s[0:1]
	v_lshl_add_u64 v[12:13], v[10:11], 0, v[0:1]
	global_load_dwordx2 v[12:13], v[12:13], off offset:2
	v_mad_i64_i32 v[14:15], s[14:15], v6, 36, s[4:5]
	v_lshl_add_u64 v[16:17], v[14:15], 0, v[2:3]
	s_getpc_b64 s[14:15]
	s_add_u32 s14, s14, _ZL13kvalues_iq4nl@rel32@lo+4
	s_addc_u32 s15, s15, _ZL13kvalues_iq4nl@rel32@hi+12
	global_load_dword v9, v[14:15], off
	global_load_dwordx2 v[18:19], v[16:17], off offset:4
	global_load_dwordx2 v[20:21], v[16:17], off offset:20
	v_add_u32_e32 v6, 32, v6
	v_cmp_le_u32_e32 vcc, s16, v6
	s_or_b64 s[12:13], vcc, s[12:13]
	s_waitcnt vmcnt(3)
	v_bfe_u32 v14, v12, 24, 4
	v_and_b32_e32 v15, 15, v12
	v_bfe_u32 v16, v12, 8, 4
	v_bfe_u32 v17, v12, 16, 4
	;; [unrolled: 1-line block ×4, first 2 shown]
	v_lshrrev_b32_e32 v24, 28, v12
	v_bfe_u32 v12, v12, 4, 4
	v_bfe_u32 v25, v13, 24, 4
	v_and_b32_e32 v26, 15, v13
	v_bfe_u32 v27, v13, 8, 4
	v_bfe_u32 v28, v13, 16, 4
	;; [unrolled: 1-line block ×4, first 2 shown]
	v_lshrrev_b32_e32 v31, 28, v13
	v_bfe_u32 v13, v13, 4, 4
	global_load_ubyte v32, v15, s[14:15]
	global_load_ubyte v33, v16, s[14:15]
	;; [unrolled: 1-line block ×15, first 2 shown]
                                        ; kill: killed $vgpr22
                                        ; kill: killed $vgpr31
                                        ; kill: killed $vgpr24
                                        ; kill: killed $vgpr29
                                        ; kill: killed $vgpr28
                                        ; kill: killed $vgpr23
                                        ; kill: killed $vgpr27
                                        ; kill: killed $vgpr13
                                        ; kill: killed $vgpr15
                                        ; kill: killed $vgpr12
                                        ; kill: killed $vgpr26
                                        ; kill: killed $vgpr30
                                        ; kill: killed $vgpr17
                                        ; kill: killed $vgpr14
                                        ; kill: killed $vgpr16
	global_load_ubyte v12, v25, s[14:15]
	s_nop 0
	global_load_ushort v13, v[10:11], off
	v_mov_b32_e32 v10, 0
	v_mov_b32_e32 v11, 0
	s_waitcnt vmcnt(19)
	v_cvt_f32_f16_e32 v9, v9
	s_waitcnt vmcnt(15)
	v_lshl_or_b32 v16, v33, 8, v32
	s_waitcnt vmcnt(14)
	v_lshlrev_b32_e32 v15, 16, v34
	s_waitcnt vmcnt(12)
	v_lshl_or_b32 v23, v36, 8, v35
	s_waitcnt vmcnt(11)
	v_lshlrev_b32_e32 v22, 16, v37
	s_waitcnt vmcnt(10)
	v_lshlrev_b32_e32 v17, 24, v38
	;; [unrolled: 2-line block ×3, first 2 shown]
	v_or3_b32 v14, v16, v15, v14
	s_waitcnt vmcnt(7)
	v_lshl_or_b32 v25, v41, 8, v40
	s_waitcnt vmcnt(6)
	v_lshlrev_b32_e32 v24, 16, v42
	v_or3_b32 v15, v23, v22, v17
	s_waitcnt vmcnt(4)
	v_lshl_or_b32 v28, v44, 8, v43
	s_waitcnt vmcnt(3)
	v_lshlrev_b32_e32 v27, 16, v45
	s_waitcnt vmcnt(2)
	v_lshlrev_b32_e32 v26, 24, v46
	v_or3_b32 v16, v28, v27, v26
	v_dot4c_i32_i8_e32 v10, v14, v18
	v_dot4c_i32_i8_e32 v11, v15, v20
	;; [unrolled: 1-line block ×3, first 2 shown]
	s_waitcnt vmcnt(1)
	v_lshlrev_b32_e32 v12, 24, v12
	v_or3_b32 v12, v25, v24, v12
	v_dot4c_i32_i8_e32 v10, v12, v19
	s_waitcnt vmcnt(0)
	v_cvt_f32_f16_e32 v13, v13
	v_mul_f32_e32 v9, v13, v9
	v_add_u32_e32 v10, v11, v10
	v_cvt_f32_i32_e32 v10, v10
	v_fmac_f32_e32 v7, v9, v10
	s_andn2_b64 exec, exec, s[12:13]
	s_cbranch_execnz .LBB251_3
; %bb.4:
	s_or_b64 exec, exec, s[12:13]
.LBB251_5:
	s_or_b64 exec, exec, s[10:11]
	v_mbcnt_lo_u32_b32 v0, -1, 0
	v_mbcnt_hi_u32_b32 v1, -1, v0
	v_and_b32_e32 v0, 64, v1
	v_add_u32_e32 v2, 64, v0
	v_xor_b32_e32 v0, 32, v1
	v_cmp_lt_i32_e32 vcc, v0, v2
	v_xor_b32_e32 v3, 16, v1
	v_xor_b32_e32 v6, 8, v1
	v_cndmask_b32_e32 v0, v1, v0, vcc
	v_lshlrev_b32_e32 v0, 2, v0
	ds_bpermute_b32 v0, v0, v7
	v_cmp_lt_i32_e32 vcc, v3, v2
	s_waitcnt lgkmcnt(0)
	v_add_f32_e32 v0, v7, v0
	v_cndmask_b32_e32 v3, v1, v3, vcc
	v_lshlrev_b32_e32 v3, 2, v3
	ds_bpermute_b32 v3, v3, v0
	v_cmp_lt_i32_e32 vcc, v6, v2
	s_waitcnt lgkmcnt(0)
	v_add_f32_e32 v0, v0, v3
	v_cndmask_b32_e32 v3, v1, v6, vcc
	v_lshlrev_b32_e32 v3, 2, v3
	ds_bpermute_b32 v3, v3, v0
	v_xor_b32_e32 v6, 4, v1
	v_cmp_lt_i32_e32 vcc, v6, v2
	s_waitcnt lgkmcnt(0)
	v_add_f32_e32 v0, v0, v3
	v_cndmask_b32_e32 v3, v1, v6, vcc
	v_lshlrev_b32_e32 v3, 2, v3
	ds_bpermute_b32 v3, v3, v0
	v_xor_b32_e32 v6, 2, v1
	;; [unrolled: 7-line block ×3, first 2 shown]
	v_cmp_lt_i32_e32 vcc, v6, v2
	s_waitcnt lgkmcnt(0)
	v_add_f32_e32 v0, v0, v3
	v_cndmask_b32_e32 v1, v1, v6, vcc
	v_lshlrev_b32_e32 v1, 2, v1
	ds_bpermute_b32 v1, v1, v0
	v_cmp_eq_u32_e32 vcc, 0, v5
	s_and_b64 exec, exec, vcc
	s_cbranch_execz .LBB251_7
; %bb.6:
	s_mul_i32 s0, s6, s8
	s_waitcnt lgkmcnt(0)
	v_add_f32_e32 v2, v0, v1
	v_add_u32_e32 v0, s0, v4
	v_mov_b32_e32 v1, 0
	v_lshl_add_u64 v[0:1], v[0:1], 2, s[2:3]
	global_store_dword v[0:1], v2, off
.LBB251_7:
	s_endpgm
	.section	.rodata,"a",@progbits
	.p2align	6, 0x0
	.amdhsa_kernel _ZL9moe_vec_qIfLi32ELi4E12block_iq4_nlLi2EXadL_ZL19vec_dot_iq4_nl_q8_1PKvPK10block_q8_1RKiEEEvS2_S2_PT_PS6_iiii
		.amdhsa_group_segment_fixed_size 0
		.amdhsa_private_segment_fixed_size 0
		.amdhsa_kernarg_size 304
		.amdhsa_user_sgpr_count 2
		.amdhsa_user_sgpr_dispatch_ptr 0
		.amdhsa_user_sgpr_queue_ptr 0
		.amdhsa_user_sgpr_kernarg_segment_ptr 1
		.amdhsa_user_sgpr_dispatch_id 0
		.amdhsa_user_sgpr_kernarg_preload_length 0
		.amdhsa_user_sgpr_kernarg_preload_offset 0
		.amdhsa_user_sgpr_private_segment_size 0
		.amdhsa_uses_dynamic_stack 0
		.amdhsa_enable_private_segment 0
		.amdhsa_system_sgpr_workgroup_id_x 1
		.amdhsa_system_sgpr_workgroup_id_y 0
		.amdhsa_system_sgpr_workgroup_id_z 1
		.amdhsa_system_sgpr_workgroup_info 0
		.amdhsa_system_vgpr_workitem_id 1
		.amdhsa_next_free_vgpr 47
		.amdhsa_next_free_sgpr 20
		.amdhsa_accum_offset 48
		.amdhsa_reserve_vcc 1
		.amdhsa_float_round_mode_32 0
		.amdhsa_float_round_mode_16_64 0
		.amdhsa_float_denorm_mode_32 3
		.amdhsa_float_denorm_mode_16_64 3
		.amdhsa_dx10_clamp 1
		.amdhsa_ieee_mode 1
		.amdhsa_fp16_overflow 0
		.amdhsa_tg_split 0
		.amdhsa_exception_fp_ieee_invalid_op 0
		.amdhsa_exception_fp_denorm_src 0
		.amdhsa_exception_fp_ieee_div_zero 0
		.amdhsa_exception_fp_ieee_overflow 0
		.amdhsa_exception_fp_ieee_underflow 0
		.amdhsa_exception_fp_ieee_inexact 0
		.amdhsa_exception_int_div_zero 0
	.end_amdhsa_kernel
	.section	.text._ZL9moe_vec_qIfLi32ELi4E12block_iq4_nlLi2EXadL_ZL19vec_dot_iq4_nl_q8_1PKvPK10block_q8_1RKiEEEvS2_S2_PT_PS6_iiii,"axG",@progbits,_ZL9moe_vec_qIfLi32ELi4E12block_iq4_nlLi2EXadL_ZL19vec_dot_iq4_nl_q8_1PKvPK10block_q8_1RKiEEEvS2_S2_PT_PS6_iiii,comdat
.Lfunc_end251:
	.size	_ZL9moe_vec_qIfLi32ELi4E12block_iq4_nlLi2EXadL_ZL19vec_dot_iq4_nl_q8_1PKvPK10block_q8_1RKiEEEvS2_S2_PT_PS6_iiii, .Lfunc_end251-_ZL9moe_vec_qIfLi32ELi4E12block_iq4_nlLi2EXadL_ZL19vec_dot_iq4_nl_q8_1PKvPK10block_q8_1RKiEEEvS2_S2_PT_PS6_iiii
                                        ; -- End function
	.set _ZL9moe_vec_qIfLi32ELi4E12block_iq4_nlLi2EXadL_ZL19vec_dot_iq4_nl_q8_1PKvPK10block_q8_1RKiEEEvS2_S2_PT_PS6_iiii.num_vgpr, 47
	.set _ZL9moe_vec_qIfLi32ELi4E12block_iq4_nlLi2EXadL_ZL19vec_dot_iq4_nl_q8_1PKvPK10block_q8_1RKiEEEvS2_S2_PT_PS6_iiii.num_agpr, 0
	.set _ZL9moe_vec_qIfLi32ELi4E12block_iq4_nlLi2EXadL_ZL19vec_dot_iq4_nl_q8_1PKvPK10block_q8_1RKiEEEvS2_S2_PT_PS6_iiii.numbered_sgpr, 20
	.set _ZL9moe_vec_qIfLi32ELi4E12block_iq4_nlLi2EXadL_ZL19vec_dot_iq4_nl_q8_1PKvPK10block_q8_1RKiEEEvS2_S2_PT_PS6_iiii.num_named_barrier, 0
	.set _ZL9moe_vec_qIfLi32ELi4E12block_iq4_nlLi2EXadL_ZL19vec_dot_iq4_nl_q8_1PKvPK10block_q8_1RKiEEEvS2_S2_PT_PS6_iiii.private_seg_size, 0
	.set _ZL9moe_vec_qIfLi32ELi4E12block_iq4_nlLi2EXadL_ZL19vec_dot_iq4_nl_q8_1PKvPK10block_q8_1RKiEEEvS2_S2_PT_PS6_iiii.uses_vcc, 1
	.set _ZL9moe_vec_qIfLi32ELi4E12block_iq4_nlLi2EXadL_ZL19vec_dot_iq4_nl_q8_1PKvPK10block_q8_1RKiEEEvS2_S2_PT_PS6_iiii.uses_flat_scratch, 0
	.set _ZL9moe_vec_qIfLi32ELi4E12block_iq4_nlLi2EXadL_ZL19vec_dot_iq4_nl_q8_1PKvPK10block_q8_1RKiEEEvS2_S2_PT_PS6_iiii.has_dyn_sized_stack, 0
	.set _ZL9moe_vec_qIfLi32ELi4E12block_iq4_nlLi2EXadL_ZL19vec_dot_iq4_nl_q8_1PKvPK10block_q8_1RKiEEEvS2_S2_PT_PS6_iiii.has_recursion, 0
	.set _ZL9moe_vec_qIfLi32ELi4E12block_iq4_nlLi2EXadL_ZL19vec_dot_iq4_nl_q8_1PKvPK10block_q8_1RKiEEEvS2_S2_PT_PS6_iiii.has_indirect_call, 0
	.section	.AMDGPU.csdata,"",@progbits
; Kernel info:
; codeLenInByte = 1164
; TotalNumSgprs: 26
; NumVgprs: 47
; NumAgprs: 0
; TotalNumVgprs: 47
; ScratchSize: 0
; MemoryBound: 0
; FloatMode: 240
; IeeeMode: 1
; LDSByteSize: 0 bytes/workgroup (compile time only)
; SGPRBlocks: 3
; VGPRBlocks: 5
; NumSGPRsForWavesPerEU: 26
; NumVGPRsForWavesPerEU: 47
; AccumOffset: 48
; Occupancy: 8
; WaveLimiterHint : 1
; COMPUTE_PGM_RSRC2:SCRATCH_EN: 0
; COMPUTE_PGM_RSRC2:USER_SGPR: 2
; COMPUTE_PGM_RSRC2:TRAP_HANDLER: 0
; COMPUTE_PGM_RSRC2:TGID_X_EN: 1
; COMPUTE_PGM_RSRC2:TGID_Y_EN: 0
; COMPUTE_PGM_RSRC2:TGID_Z_EN: 1
; COMPUTE_PGM_RSRC2:TIDIG_COMP_CNT: 1
; COMPUTE_PGM_RSRC3_GFX90A:ACCUM_OFFSET: 11
; COMPUTE_PGM_RSRC3_GFX90A:TG_SPLIT: 0
	.section	.text._ZL9moe_vec_qIfLi256ELi8E11block_iq3_sLi1EXadL_ZL18vec_dot_iq3_s_q8_1PKvPK10block_q8_1RKiEEEvS2_S2_PT_PS6_iiii,"axG",@progbits,_ZL9moe_vec_qIfLi256ELi8E11block_iq3_sLi1EXadL_ZL18vec_dot_iq3_s_q8_1PKvPK10block_q8_1RKiEEEvS2_S2_PT_PS6_iiii,comdat
	.globl	_ZL9moe_vec_qIfLi256ELi8E11block_iq3_sLi1EXadL_ZL18vec_dot_iq3_s_q8_1PKvPK10block_q8_1RKiEEEvS2_S2_PT_PS6_iiii ; -- Begin function _ZL9moe_vec_qIfLi256ELi8E11block_iq3_sLi1EXadL_ZL18vec_dot_iq3_s_q8_1PKvPK10block_q8_1RKiEEEvS2_S2_PT_PS6_iiii
	.p2align	8
	.type	_ZL9moe_vec_qIfLi256ELi8E11block_iq3_sLi1EXadL_ZL18vec_dot_iq3_s_q8_1PKvPK10block_q8_1RKiEEEvS2_S2_PT_PS6_iiii,@function
_ZL9moe_vec_qIfLi256ELi8E11block_iq3_sLi1EXadL_ZL18vec_dot_iq3_s_q8_1PKvPK10block_q8_1RKiEEEvS2_S2_PT_PS6_iiii: ; @_ZL9moe_vec_qIfLi256ELi8E11block_iq3_sLi1EXadL_ZL18vec_dot_iq3_s_q8_1PKvPK10block_q8_1RKiEEEvS2_S2_PT_PS6_iiii
; %bb.0:
	s_mov_b32 s8, s3
	s_load_dword s3, s[0:1], 0x3c
	s_load_dwordx4 s[4:7], s[0:1], 0x20
	v_bfe_u32 v1, v0, 10, 10
	s_waitcnt lgkmcnt(0)
	s_lshr_b32 s3, s3, 16
	s_mul_i32 s2, s2, s3
	v_add_u32_e32 v24, s2, v1
	v_cmp_gt_u32_e32 vcc, s6, v24
	s_and_saveexec_b64 s[2:3], vcc
	s_cbranch_execz .LBB252_9
; %bb.1:
	s_load_dwordx2 s[2:3], s[0:1], 0x10
	s_ashr_i32 s9, s5, 31
	s_lshr_b32 s9, s9, 24
	s_add_i32 s5, s5, s9
	s_ashr_i32 s5, s5, 8
	v_bfe_u32 v26, v0, 3, 7
	v_and_b32_e32 v25, 0x3ff, v0
	v_cmp_gt_u32_e32 vcc, s5, v26
	v_mov_b32_e32 v1, 0
	s_and_saveexec_b64 s[10:11], vcc
	s_cbranch_execz .LBB252_7
; %bb.2:
	s_load_dwordx2 s[12:13], s[0:1], 0x18
	v_cvt_f32_u32_e32 v0, s4
	s_mov_b32 s9, 0
	s_lshl_b64 s[14:15], s[8:9], 2
	v_and_b32_e32 v2, 7, v25
	s_waitcnt lgkmcnt(0)
	s_add_u32 s12, s12, s14
	v_rcp_iflag_f32_e32 v0, v0
	s_addc_u32 s13, s13, s15
	s_load_dword s14, s[12:13], 0x0
	s_load_dwordx4 s[16:19], s[0:1], 0x0
	s_mul_i32 s0, s5, s6
	v_mul_f32_e32 v0, 0x4f7ffffe, v0
	v_cvt_u32_f32_e32 v0, v0
	s_waitcnt lgkmcnt(0)
	s_mul_i32 s0, s0, s14
	s_mul_hi_i32 s1, s0, 0x6e
	s_mulk_i32 s0, 0x6e
	s_add_u32 s14, s16, s0
	s_addc_u32 s15, s17, s1
	s_sub_i32 s0, 0, s4
	v_readfirstlane_b32 s1, v0
	s_mul_i32 s0, s0, s1
	s_mul_hi_u32 s0, s1, s0
	s_add_i32 s1, s1, s0
	s_mul_hi_u32 s0, s8, s1
	s_mul_i32 s1, s0, s4
	s_sub_i32 s1, s8, s1
	s_add_i32 s13, s0, 1
	s_sub_i32 s16, s1, s4
	s_cmp_ge_u32 s1, s4
	s_cselect_b32 s0, s13, s0
	s_cselect_b32 s1, s16, s1
	s_add_i32 s13, s0, 1
	s_cmp_ge_u32 s1, s4
	s_cselect_b32 s0, s13, s0
	s_mul_i32 s0, s0, s7
	s_mov_b32 s1, s9
	s_lshl_b64 s[0:1], s[0:1], 2
	s_add_u32 s0, s18, s0
	s_addc_u32 s1, s19, s1
	v_mov_b32_e32 v1, 0
	v_lshlrev_b32_e32 v8, 2, v25
	v_lshlrev_b32_e32 v0, 3, v2
	v_mad_u64_u32 v[4:5], s[0:1], v2, 36, s[0:1]
	v_and_b32_e32 v28, 4, v8
	v_lshlrev_b32_e32 v8, 2, v2
	v_mov_b32_e32 v9, v1
	v_mul_lo_u32 v27, v24, s5
	v_lshl_add_u64 v[8:9], s[14:15], 0, v[8:9]
	s_mov_b64 s[0:1], 0x4a
	v_lshl_add_u64 v[10:11], s[14:15], 0, v[0:1]
	s_movk_i32 s12, 0x6e
	v_mov_b32_e32 v3, v1
	v_bfe_u32 v6, v25, 1, 2
	v_mov_b32_e32 v7, v1
	v_lshl_add_u64 v[8:9], v[8:9], 0, s[0:1]
	v_add_u32_e32 v29, v26, v27
	v_lshl_add_u64 v[10:11], v[10:11], 0, 2
	s_mov_b64 s[0:1], 0
	v_mov_b64_e32 v[12:13], s[14:15]
	s_movk_i32 s4, 0x100
	s_mov_b32 s7, 0x1010101
	s_mov_b32 s9, 0x8040201
	;; [unrolled: 1-line block ×4, first 2 shown]
	v_mov_b32_e32 v0, 0xff0000
	s_movk_i32 s15, 0x200
	v_mov_b32_e32 v30, 0xff00
	v_mov_b32_e32 v31, 0xff
	s_mov_b32 s16, 0xc060c00
.LBB252_3:                              ; =>This Loop Header: Depth=1
                                        ;     Child Loop BB252_4 Depth 2
	v_add_u32_e32 v14, v26, v27
	v_mad_i64_i32 v[16:17], s[18:19], v14, s12, v[12:13]
	v_lshl_add_u64 v[14:15], v[16:17], 0, v[2:3]
	global_load_ubyte v33, v[14:15], off offset:66
	v_lshlrev_b32_e32 v14, 3, v26
	v_mad_i64_i32 v[14:15], s[18:19], v14, 36, v[4:5]
	v_mad_i64_i32 v[18:19], s[18:19], v29, s12, v[8:9]
	;; [unrolled: 1-line block ×3, first 2 shown]
	v_lshl_add_u64 v[22:23], v[14:15], 0, 4
	s_mov_b32 s17, 7
	v_mov_b32_e32 v32, 0
.LBB252_4:                              ;   Parent Loop BB252_3 Depth=1
                                        ; =>  This Inner Loop Header: Depth=2
	global_load_ushort v34, v[20:21], off
	global_load_ubyte v36, v[18:19], off
	s_add_i32 s20, s17, 1
	s_waitcnt vmcnt(2)
	v_lshlrev_b32_e32 v37, s20, v33
	v_lshlrev_b32_e32 v35, s17, v33
	s_getpc_b64 s[18:19]
	s_add_u32 s18, s18, _ZL10iq3xs_grid@rel32@lo+4
	s_addc_u32 s19, s19, _ZL10iq3xs_grid@rel32@hi+12
	s_add_i32 s17, s17, -2
	v_lshl_add_u64 v[18:19], v[18:19], 0, 1
	v_lshl_add_u64 v[20:21], v[20:21], 0, 2
	s_cmp_lg_u32 s17, -1
	s_waitcnt vmcnt(1)
	v_and_b32_e32 v38, 0xff, v34
	v_lshrrev_b16_e32 v34, 8, v34
	v_and_or_b32 v37, v37, s4, v38
	v_and_or_b32 v34, v35, s4, v34
	v_lshlrev_b32_e32 v37, 2, v37
	v_lshlrev_b32_e32 v38, 2, v34
	global_load_dword v39, v37, s[18:19]
	global_load_dword v40, v38, s[18:19]
	global_load_dwordx2 v[34:35], v[22:23], off
	s_waitcnt vmcnt(3)
	v_and_b32_e32 v37, 15, v36
	v_lshrrev_b16_e32 v36, 4, v36
	v_mul_lo_u32 v36, v36, s7
	v_bitop3_b32 v38, v36, s9, v36 bitop3:0xc
	v_bitop3_b32 v41, v36, s14, v36 bitop3:0xc
	v_cmp_gt_u32_e32 vcc, s13, v38
	v_and_b32_e32 v37, 0xffff, v37
	v_bitop3_b32 v42, v36, s15, v36 bitop3:0xc
	v_cndmask_b32_e64 v38, 0, -1, vcc
	v_cmp_eq_u32_e32 vcc, 0, v41
	v_mul_lo_u32 v37, v37, s7
	v_bitop3_b32 v36, v36, 1, v36 bitop3:0xc
	v_cndmask_b32_e32 v41, 0, v0, vcc
	v_cmp_eq_u32_e32 vcc, 0, v42
	v_bitop3_b32 v43, v37, s9, v37 bitop3:0xc
	v_bitop3_b32 v44, v37, s14, v37 bitop3:0xc
	v_cndmask_b32_e32 v42, 0, v30, vcc
	v_cmp_eq_u32_e32 vcc, 0, v36
	v_bitop3_b32 v45, v37, s15, v37 bitop3:0xc
	v_bitop3_b32 v37, v37, 1, v37 bitop3:0xc
	v_cndmask_b32_e32 v36, 0, v31, vcc
	v_cmp_gt_u32_e32 vcc, s13, v43
	v_lshlrev_b32_e32 v38, 24, v38
	v_or3_b32 v46, v42, v36, v41
	v_cndmask_b32_e64 v43, 0, -1, vcc
	v_cmp_eq_u32_e32 vcc, 0, v44
	v_lshlrev_b32_e32 v43, 24, v43
	v_lshl_add_u64 v[22:23], v[22:23], 0, 8
	v_cndmask_b32_e32 v44, 0, v0, vcc
	v_cmp_eq_u32_e32 vcc, 0, v45
	s_waitcnt vmcnt(1)
	v_bitop3_b32 v40, v46, v40, v38 bitop3:0x36
	v_cndmask_b32_e32 v45, 0, v30, vcc
	v_cmp_eq_u32_e32 vcc, 0, v37
	v_sub_u32_e32 v38, v40, v38
	v_sub_u32_e32 v36, v40, v36
	v_cndmask_b32_e32 v37, 0, v31, vcc
	v_or3_b32 v47, v45, v37, v44
	v_bitop3_b32 v39, v47, v39, v43 bitop3:0x36
	v_sub_u32_e32 v43, v39, v43
	v_sub_u32_e32 v44, v39, v44
	;; [unrolled: 1-line block ×6, first 2 shown]
	v_and_b32_e32 v40, 0xff000000, v43
	v_and_b32_e32 v42, 0xff00, v45
	v_perm_b32 v37, v44, v37, s16
	v_and_b32_e32 v38, 0xff000000, v38
	v_and_b32_e32 v41, 0xff00, v41
	v_perm_b32 v36, v39, v36, s16
	v_or3_b32 v37, v37, v40, v42
	v_or3_b32 v36, v36, v38, v41
	s_waitcnt vmcnt(0)
	v_dot4c_i32_i8_e32 v32, v37, v34
	v_dot4c_i32_i8_e32 v32, v36, v35
	s_cbranch_scc1 .LBB252_4
; %bb.5:                                ;   in Loop: Header=BB252_3 Depth=1
	global_load_ushort v18, v[16:17], off
	v_lshl_add_u64 v[16:17], v[16:17], 0, v[6:7]
	global_load_dword v19, v[14:15], off
	global_load_ubyte v20, v[16:17], off offset:106
	v_cvt_f32_i32_e32 v14, v32
	v_add_u32_e32 v26, 8, v26
	v_cmp_le_u32_e32 vcc, s5, v26
	s_or_b64 s[0:1], vcc, s[0:1]
	v_add_u32_e32 v29, 8, v29
	s_waitcnt vmcnt(2)
	v_cvt_f32_f16_e32 v15, v18
	s_waitcnt vmcnt(1)
	v_cvt_f32_f16_e32 v16, v19
	s_waitcnt vmcnt(0)
	v_bfe_u32 v17, v20, v28, 4
	v_cvt_f32_ubyte0_e32 v17, v17
	v_add_f32_e32 v17, 0.5, v17
	v_mul_f32_e32 v15, v17, v15
	v_mul_f32_e32 v15, v15, v16
	v_mul_f32_e32 v15, 0.5, v15
	v_fmac_f32_e32 v1, v15, v14
	s_andn2_b64 exec, exec, s[0:1]
	s_cbranch_execnz .LBB252_3
; %bb.6:
	s_or_b64 exec, exec, s[0:1]
.LBB252_7:
	s_or_b64 exec, exec, s[10:11]
	v_mbcnt_lo_u32_b32 v0, -1, 0
	v_mbcnt_hi_u32_b32 v2, -1, v0
	v_and_b32_e32 v0, 64, v2
	v_add_u32_e32 v3, 64, v0
	v_xor_b32_e32 v0, 32, v2
	v_cmp_lt_i32_e32 vcc, v0, v3
	v_xor_b32_e32 v4, 16, v2
	s_nop 0
	v_cndmask_b32_e32 v0, v2, v0, vcc
	v_lshlrev_b32_e32 v0, 2, v0
	ds_bpermute_b32 v0, v0, v1
	v_cmp_lt_i32_e32 vcc, v4, v3
	s_waitcnt lgkmcnt(0)
	v_add_f32_e32 v0, v1, v0
	v_cndmask_b32_e32 v1, v2, v4, vcc
	v_lshlrev_b32_e32 v1, 2, v1
	ds_bpermute_b32 v1, v1, v0
	v_xor_b32_e32 v4, 8, v2
	v_cmp_lt_i32_e32 vcc, v4, v3
	s_waitcnt lgkmcnt(0)
	v_add_f32_e32 v0, v0, v1
	v_cndmask_b32_e32 v1, v2, v4, vcc
	v_lshlrev_b32_e32 v1, 2, v1
	ds_bpermute_b32 v1, v1, v0
	v_xor_b32_e32 v4, 4, v2
	;; [unrolled: 7-line block ×4, first 2 shown]
	v_cmp_lt_i32_e32 vcc, v4, v3
	s_waitcnt lgkmcnt(0)
	v_add_f32_e32 v0, v0, v1
	v_cndmask_b32_e32 v1, v2, v4, vcc
	v_lshlrev_b32_e32 v1, 2, v1
	ds_bpermute_b32 v1, v1, v0
	v_cmp_eq_u32_e32 vcc, 0, v25
	s_and_b64 exec, exec, vcc
	s_cbranch_execz .LBB252_9
; %bb.8:
	s_mul_i32 s0, s6, s8
	s_waitcnt lgkmcnt(0)
	v_add_f32_e32 v2, v0, v1
	v_add_u32_e32 v0, s0, v24
	v_mov_b32_e32 v1, 0
	v_lshl_add_u64 v[0:1], v[0:1], 2, s[2:3]
	global_store_dword v[0:1], v2, off
.LBB252_9:
	s_endpgm
	.section	.rodata,"a",@progbits
	.p2align	6, 0x0
	.amdhsa_kernel _ZL9moe_vec_qIfLi256ELi8E11block_iq3_sLi1EXadL_ZL18vec_dot_iq3_s_q8_1PKvPK10block_q8_1RKiEEEvS2_S2_PT_PS6_iiii
		.amdhsa_group_segment_fixed_size 0
		.amdhsa_private_segment_fixed_size 0
		.amdhsa_kernarg_size 304
		.amdhsa_user_sgpr_count 2
		.amdhsa_user_sgpr_dispatch_ptr 0
		.amdhsa_user_sgpr_queue_ptr 0
		.amdhsa_user_sgpr_kernarg_segment_ptr 1
		.amdhsa_user_sgpr_dispatch_id 0
		.amdhsa_user_sgpr_kernarg_preload_length 0
		.amdhsa_user_sgpr_kernarg_preload_offset 0
		.amdhsa_user_sgpr_private_segment_size 0
		.amdhsa_uses_dynamic_stack 0
		.amdhsa_enable_private_segment 0
		.amdhsa_system_sgpr_workgroup_id_x 1
		.amdhsa_system_sgpr_workgroup_id_y 0
		.amdhsa_system_sgpr_workgroup_id_z 1
		.amdhsa_system_sgpr_workgroup_info 0
		.amdhsa_system_vgpr_workitem_id 1
		.amdhsa_next_free_vgpr 48
		.amdhsa_next_free_sgpr 21
		.amdhsa_accum_offset 48
		.amdhsa_reserve_vcc 1
		.amdhsa_float_round_mode_32 0
		.amdhsa_float_round_mode_16_64 0
		.amdhsa_float_denorm_mode_32 3
		.amdhsa_float_denorm_mode_16_64 3
		.amdhsa_dx10_clamp 1
		.amdhsa_ieee_mode 1
		.amdhsa_fp16_overflow 0
		.amdhsa_tg_split 0
		.amdhsa_exception_fp_ieee_invalid_op 0
		.amdhsa_exception_fp_denorm_src 0
		.amdhsa_exception_fp_ieee_div_zero 0
		.amdhsa_exception_fp_ieee_overflow 0
		.amdhsa_exception_fp_ieee_underflow 0
		.amdhsa_exception_fp_ieee_inexact 0
		.amdhsa_exception_int_div_zero 0
	.end_amdhsa_kernel
	.section	.text._ZL9moe_vec_qIfLi256ELi8E11block_iq3_sLi1EXadL_ZL18vec_dot_iq3_s_q8_1PKvPK10block_q8_1RKiEEEvS2_S2_PT_PS6_iiii,"axG",@progbits,_ZL9moe_vec_qIfLi256ELi8E11block_iq3_sLi1EXadL_ZL18vec_dot_iq3_s_q8_1PKvPK10block_q8_1RKiEEEvS2_S2_PT_PS6_iiii,comdat
.Lfunc_end252:
	.size	_ZL9moe_vec_qIfLi256ELi8E11block_iq3_sLi1EXadL_ZL18vec_dot_iq3_s_q8_1PKvPK10block_q8_1RKiEEEvS2_S2_PT_PS6_iiii, .Lfunc_end252-_ZL9moe_vec_qIfLi256ELi8E11block_iq3_sLi1EXadL_ZL18vec_dot_iq3_s_q8_1PKvPK10block_q8_1RKiEEEvS2_S2_PT_PS6_iiii
                                        ; -- End function
	.set _ZL9moe_vec_qIfLi256ELi8E11block_iq3_sLi1EXadL_ZL18vec_dot_iq3_s_q8_1PKvPK10block_q8_1RKiEEEvS2_S2_PT_PS6_iiii.num_vgpr, 48
	.set _ZL9moe_vec_qIfLi256ELi8E11block_iq3_sLi1EXadL_ZL18vec_dot_iq3_s_q8_1PKvPK10block_q8_1RKiEEEvS2_S2_PT_PS6_iiii.num_agpr, 0
	.set _ZL9moe_vec_qIfLi256ELi8E11block_iq3_sLi1EXadL_ZL18vec_dot_iq3_s_q8_1PKvPK10block_q8_1RKiEEEvS2_S2_PT_PS6_iiii.numbered_sgpr, 21
	.set _ZL9moe_vec_qIfLi256ELi8E11block_iq3_sLi1EXadL_ZL18vec_dot_iq3_s_q8_1PKvPK10block_q8_1RKiEEEvS2_S2_PT_PS6_iiii.num_named_barrier, 0
	.set _ZL9moe_vec_qIfLi256ELi8E11block_iq3_sLi1EXadL_ZL18vec_dot_iq3_s_q8_1PKvPK10block_q8_1RKiEEEvS2_S2_PT_PS6_iiii.private_seg_size, 0
	.set _ZL9moe_vec_qIfLi256ELi8E11block_iq3_sLi1EXadL_ZL18vec_dot_iq3_s_q8_1PKvPK10block_q8_1RKiEEEvS2_S2_PT_PS6_iiii.uses_vcc, 1
	.set _ZL9moe_vec_qIfLi256ELi8E11block_iq3_sLi1EXadL_ZL18vec_dot_iq3_s_q8_1PKvPK10block_q8_1RKiEEEvS2_S2_PT_PS6_iiii.uses_flat_scratch, 0
	.set _ZL9moe_vec_qIfLi256ELi8E11block_iq3_sLi1EXadL_ZL18vec_dot_iq3_s_q8_1PKvPK10block_q8_1RKiEEEvS2_S2_PT_PS6_iiii.has_dyn_sized_stack, 0
	.set _ZL9moe_vec_qIfLi256ELi8E11block_iq3_sLi1EXadL_ZL18vec_dot_iq3_s_q8_1PKvPK10block_q8_1RKiEEEvS2_S2_PT_PS6_iiii.has_recursion, 0
	.set _ZL9moe_vec_qIfLi256ELi8E11block_iq3_sLi1EXadL_ZL18vec_dot_iq3_s_q8_1PKvPK10block_q8_1RKiEEEvS2_S2_PT_PS6_iiii.has_indirect_call, 0
	.section	.AMDGPU.csdata,"",@progbits
; Kernel info:
; codeLenInByte = 1412
; TotalNumSgprs: 27
; NumVgprs: 48
; NumAgprs: 0
; TotalNumVgprs: 48
; ScratchSize: 0
; MemoryBound: 0
; FloatMode: 240
; IeeeMode: 1
; LDSByteSize: 0 bytes/workgroup (compile time only)
; SGPRBlocks: 3
; VGPRBlocks: 5
; NumSGPRsForWavesPerEU: 27
; NumVGPRsForWavesPerEU: 48
; AccumOffset: 48
; Occupancy: 8
; WaveLimiterHint : 1
; COMPUTE_PGM_RSRC2:SCRATCH_EN: 0
; COMPUTE_PGM_RSRC2:USER_SGPR: 2
; COMPUTE_PGM_RSRC2:TRAP_HANDLER: 0
; COMPUTE_PGM_RSRC2:TGID_X_EN: 1
; COMPUTE_PGM_RSRC2:TGID_Y_EN: 0
; COMPUTE_PGM_RSRC2:TGID_Z_EN: 1
; COMPUTE_PGM_RSRC2:TIDIG_COMP_CNT: 1
; COMPUTE_PGM_RSRC3_GFX90A:ACCUM_OFFSET: 11
; COMPUTE_PGM_RSRC3_GFX90A:TG_SPLIT: 0
	.section	.text._ZL9moe_vec_qIfLi256ELi8E11block_iq2_sLi1EXadL_ZL18vec_dot_iq2_s_q8_1PKvPK10block_q8_1RKiEEEvS2_S2_PT_PS6_iiii,"axG",@progbits,_ZL9moe_vec_qIfLi256ELi8E11block_iq2_sLi1EXadL_ZL18vec_dot_iq2_s_q8_1PKvPK10block_q8_1RKiEEEvS2_S2_PT_PS6_iiii,comdat
	.globl	_ZL9moe_vec_qIfLi256ELi8E11block_iq2_sLi1EXadL_ZL18vec_dot_iq2_s_q8_1PKvPK10block_q8_1RKiEEEvS2_S2_PT_PS6_iiii ; -- Begin function _ZL9moe_vec_qIfLi256ELi8E11block_iq2_sLi1EXadL_ZL18vec_dot_iq2_s_q8_1PKvPK10block_q8_1RKiEEEvS2_S2_PT_PS6_iiii
	.p2align	8
	.type	_ZL9moe_vec_qIfLi256ELi8E11block_iq2_sLi1EXadL_ZL18vec_dot_iq2_s_q8_1PKvPK10block_q8_1RKiEEEvS2_S2_PT_PS6_iiii,@function
_ZL9moe_vec_qIfLi256ELi8E11block_iq2_sLi1EXadL_ZL18vec_dot_iq2_s_q8_1PKvPK10block_q8_1RKiEEEvS2_S2_PT_PS6_iiii: ; @_ZL9moe_vec_qIfLi256ELi8E11block_iq2_sLi1EXadL_ZL18vec_dot_iq2_s_q8_1PKvPK10block_q8_1RKiEEEvS2_S2_PT_PS6_iiii
; %bb.0:
	s_mov_b32 s8, s3
	s_load_dword s3, s[0:1], 0x3c
	s_load_dwordx4 s[4:7], s[0:1], 0x20
	v_bfe_u32 v1, v0, 10, 10
	s_waitcnt lgkmcnt(0)
	s_lshr_b32 s3, s3, 16
	s_mul_i32 s2, s2, s3
	v_add_u32_e32 v14, s2, v1
	v_cmp_gt_u32_e32 vcc, s6, v14
	s_and_saveexec_b64 s[2:3], vcc
	s_cbranch_execz .LBB253_7
; %bb.1:
	s_load_dwordx2 s[2:3], s[0:1], 0x10
	s_ashr_i32 s9, s5, 31
	s_lshr_b32 s9, s9, 24
	s_add_i32 s5, s5, s9
	s_ashr_i32 s12, s5, 8
	v_bfe_u32 v16, v0, 3, 7
	v_and_b32_e32 v15, 0x3ff, v0
	v_cmp_gt_u32_e32 vcc, s12, v16
	v_mov_b32_e32 v17, 0
	s_and_saveexec_b64 s[10:11], vcc
	s_cbranch_execz .LBB253_5
; %bb.2:
	s_load_dwordx2 s[14:15], s[0:1], 0x18
	v_cvt_f32_u32_e32 v0, s4
	s_mov_b32 s9, 0
	s_lshl_b64 s[16:17], s[8:9], 2
	v_mov_b32_e32 v1, 0
	s_waitcnt lgkmcnt(0)
	s_add_u32 s14, s14, s16
	v_rcp_iflag_f32_e32 v0, v0
	s_addc_u32 s15, s15, s17
	s_load_dword s5, s[14:15], 0x0
	s_load_dwordx4 s[16:19], s[0:1], 0x0
	s_mul_i32 s0, s12, s6
	v_mul_f32_e32 v0, 0x4f7ffffe, v0
	v_cvt_u32_f32_e32 v0, v0
	s_waitcnt lgkmcnt(0)
	s_mul_i32 s0, s0, s5
	s_mul_hi_i32 s1, s0, 0x52
	s_mulk_i32 s0, 0x52
	s_add_u32 s0, s16, s0
	s_addc_u32 s1, s17, s1
	s_sub_i32 s5, 0, s4
	v_readfirstlane_b32 s14, v0
	s_mul_i32 s5, s5, s14
	s_mul_hi_u32 s5, s14, s5
	s_add_i32 s14, s14, s5
	s_mul_hi_u32 s5, s8, s14
	s_mul_i32 s14, s5, s4
	s_sub_i32 s14, s8, s14
	s_add_i32 s15, s5, 1
	s_sub_i32 s16, s14, s4
	s_cmp_ge_u32 s14, s4
	s_cselect_b32 s5, s15, s5
	s_cselect_b32 s14, s16, s14
	s_add_i32 s15, s5, 1
	s_cmp_ge_u32 s14, s4
	s_cselect_b32 s4, s15, s5
	s_mul_i32 s4, s4, s7
	s_mov_b32 s5, s9
	s_lshl_b64 s[4:5], s[4:5], 2
	s_add_u32 s4, s18, s4
	s_addc_u32 s5, s19, s5
	v_and_b32_e32 v0, 7, v15
	v_mad_u64_u32 v[2:3], s[4:5], v0, 36, s[4:5]
	s_movk_i32 s13, 0x52
	v_mul_lo_u32 v18, v14, s12
	v_lshlrev_b32_e32 v4, 2, v0
	v_mov_b32_e32 v5, v1
	v_lshlrev_b32_e32 v19, 3, v16
	s_mov_b64 s[4:5], 0
	v_mov_b64_e32 v[6:7], s[0:1]
	s_movk_i32 s7, 0x300
	s_mov_b32 s9, 0x1010101
	s_mov_b32 s14, 0x8040201
	;; [unrolled: 1-line block ×4, first 2 shown]
	v_mov_b32_e32 v20, 0xff0000
	s_movk_i32 s17, 0x200
	v_mov_b32_e32 v21, 0xff00
	v_mov_b32_e32 v22, 0xff
	s_mov_b32 s18, 0xc060c00
	v_mov_b32_e32 v23, 4
	v_mov_b32_e32 v17, v1
.LBB253_3:                              ; =>This Inner Loop Header: Depth=1
	v_add_u32_e32 v8, v18, v16
	v_mad_i64_i32 v[8:9], s[20:21], v8, s13, v[6:7]
	v_lshl_add_u64 v[10:11], v[8:9], 0, v[4:5]
	v_lshl_add_u64 v[12:13], v[8:9], 0, v[0:1]
	global_load_ushort v28, v[8:9], off
	global_load_dword v24, v[10:11], off offset:2
	global_load_ubyte v25, v[12:13], off offset:66
	global_load_dword v26, v[10:11], off offset:34
	global_load_ubyte v27, v[12:13], off offset:74
	s_getpc_b64 s[0:1]
	s_add_u32 s0, s0, _ZL9iq2s_grid@rel32@lo+4
	s_addc_u32 s1, s1, _ZL9iq2s_grid@rel32@hi+12
	v_add_u32_e32 v16, 8, v16
	s_waitcnt vmcnt(4)
	v_cvt_f32_f16_e32 v28, v28
	s_waitcnt vmcnt(3)
	v_and_b32_e32 v9, 0xff, v24
	s_waitcnt vmcnt(2)
	v_lshlrev_b32_e32 v10, 8, v25
	s_waitcnt vmcnt(1)
	v_and_b32_e32 v12, 15, v26
	v_lshrrev_b32_e32 v8, 24, v24
	v_bfe_u32 v29, v24, 8, 8
	v_bfe_u32 v24, v24, 16, 8
	v_lshlrev_b32_e32 v32, 4, v25
	v_and_or_b32 v9, v10, s7, v9
	v_mul_lo_u32 v10, v12, s9
	v_lshrrev_b16_e32 v13, 4, v26
	v_lshlrev_b32_e32 v30, 6, v25
	v_bfe_u32 v33, v26, 16, 4
	v_and_or_b32 v24, v32, s7, v24
	v_bitop3_b32 v32, v10, s14, v10 bitop3:0xc
	v_bfe_u32 v31, v26, 8, 4
	v_bfe_u32 v34, v26, 20, 4
	v_lshlrev_b32_e32 v25, 2, v25
	v_and_b32_e32 v12, 15, v13
	v_and_or_b32 v13, v30, s7, v29
	v_mul_lo_u32 v30, v33, s9
	v_bitop3_b32 v33, v10, s16, v10 bitop3:0xc
	v_cmp_gt_u32_e32 vcc, s15, v32
	v_lshrrev_b32_e32 v11, 8, v26
	v_mul_lo_u32 v29, v31, s9
	v_mul_lo_u32 v31, v34, s9
	v_and_or_b32 v8, v25, s7, v8
	v_lshlrev_b32_e32 v9, 3, v9
	v_bitop3_b32 v34, v10, s17, v10 bitop3:0xc
	v_cndmask_b32_e64 v32, 0, -1, vcc
	v_cmp_eq_u32_e32 vcc, 0, v33
	v_lshrrev_b16_e32 v11, 4, v11
	v_bitop3_b32 v10, v10, 1, v10 bitop3:0xc
	v_lshlrev_b32_e32 v13, 3, v13
	v_lshlrev_b32_e32 v45, 3, v8
	v_cndmask_b32_e32 v33, 0, v20, vcc
	global_load_dwordx2 v[8:9], v9, s[0:1]
	v_cmp_eq_u32_e32 vcc, 0, v34
	v_bfe_u32 v35, v26, 24, 4
	v_and_b32_e32 v12, 0xffff, v12
	v_and_b32_e32 v38, 15, v11
	v_lshlrev_b32_e32 v24, 3, v24
	v_cndmask_b32_e32 v34, 0, v21, vcc
	v_cmp_eq_u32_e32 vcc, 0, v10
	global_load_dwordx2 v[10:11], v13, s[0:1]
	v_mul_lo_u32 v25, v35, s9
	v_mul_lo_u32 v54, v12, s9
	global_load_dwordx2 v[12:13], v24, s[0:1]
	v_bitop3_b32 v46, v25, s14, v25 bitop3:0xc
	v_bitop3_b32 v47, v25, s16, v25 bitop3:0xc
	;; [unrolled: 1-line block ×4, first 2 shown]
	global_load_dwordx2 v[24:25], v45, s[0:1]
	v_bitop3_b32 v35, v29, s14, v29 bitop3:0xc
	v_bitop3_b32 v36, v29, s16, v29 bitop3:0xc
	v_cndmask_b32_e32 v53, 0, v22, vcc
	v_cmp_gt_u32_e32 vcc, s15, v35
	v_bitop3_b32 v37, v29, s17, v29 bitop3:0xc
	v_bitop3_b32 v29, v29, 1, v29 bitop3:0xc
	v_cndmask_b32_e64 v35, 0, -1, vcc
	v_cmp_eq_u32_e32 vcc, 0, v36
	v_bitop3_b32 v39, v30, s14, v30 bitop3:0xc
	v_bitop3_b32 v40, v30, s16, v30 bitop3:0xc
	v_cndmask_b32_e32 v36, 0, v20, vcc
	v_cmp_eq_u32_e32 vcc, 0, v37
	v_bitop3_b32 v41, v30, s17, v30 bitop3:0xc
	v_bitop3_b32 v30, v30, 1, v30 bitop3:0xc
	v_cndmask_b32_e32 v37, 0, v21, vcc
	v_cmp_eq_u32_e32 vcc, 0, v29
	v_bitop3_b32 v42, v31, s14, v31 bitop3:0xc
	v_bitop3_b32 v43, v31, s16, v31 bitop3:0xc
	v_cndmask_b32_e32 v29, 0, v22, vcc
	v_cmp_gt_u32_e32 vcc, s15, v39
	v_bitop3_b32 v44, v31, s17, v31 bitop3:0xc
	v_bitop3_b32 v31, v31, 1, v31 bitop3:0xc
	v_cndmask_b32_e64 v39, 0, -1, vcc
	v_cmp_eq_u32_e32 vcc, 0, v40
	v_lshrrev_b16_sdwa v26, v23, v26 dst_sel:DWORD dst_unused:UNUSED_PAD src0_sel:DWORD src1_sel:BYTE_3
	v_mul_lo_u32 v26, v26, s9
	v_cndmask_b32_e32 v40, 0, v20, vcc
	v_cmp_eq_u32_e32 vcc, 0, v41
	v_bitop3_b32 v50, v26, s14, v26 bitop3:0xc
	v_bitop3_b32 v51, v26, s16, v26 bitop3:0xc
	v_cndmask_b32_e32 v41, 0, v21, vcc
	v_cmp_eq_u32_e32 vcc, 0, v30
	v_bitop3_b32 v52, v26, s17, v26 bitop3:0xc
	v_bitop3_b32 v26, v26, 1, v26 bitop3:0xc
	v_cndmask_b32_e32 v30, 0, v22, vcc
	v_cmp_gt_u32_e32 vcc, s15, v42
	v_bitop3_b32 v55, v54, s14, v54 bitop3:0xc
	v_and_b32_e32 v38, 0xffff, v38
	v_cndmask_b32_e64 v42, 0, -1, vcc
	v_cmp_eq_u32_e32 vcc, 0, v43
	v_bitop3_b32 v56, v54, s16, v54 bitop3:0xc
	v_bitop3_b32 v57, v54, s17, v54 bitop3:0xc
	v_cndmask_b32_e32 v43, 0, v20, vcc
	v_cmp_eq_u32_e32 vcc, 0, v44
	v_mul_lo_u32 v38, v38, s9
	v_bitop3_b32 v54, v54, 1, v54 bitop3:0xc
	v_cndmask_b32_e32 v44, 0, v21, vcc
	v_cmp_eq_u32_e32 vcc, 0, v31
	v_bitop3_b32 v59, v38, s14, v38 bitop3:0xc
	v_bitop3_b32 v60, v38, s16, v38 bitop3:0xc
	v_cndmask_b32_e32 v31, 0, v22, vcc
	v_cmp_gt_u32_e32 vcc, s15, v46
	v_cmp_gt_u32_e64 s[0:1], s15, v59
	v_bitop3_b32 v61, v38, s17, v38 bitop3:0xc
	v_cndmask_b32_e64 v45, 0, -1, vcc
	v_cmp_eq_u32_e32 vcc, 0, v47
	v_bitop3_b32 v38, v38, 1, v38 bitop3:0xc
	v_cndmask_b32_e64 v59, 0, -1, s[0:1]
	v_cndmask_b32_e32 v46, 0, v20, vcc
	v_cmp_eq_u32_e32 vcc, 0, v48
	v_cmp_eq_u32_e64 s[0:1], 0, v60
	v_lshlrev_b32_e32 v32, 24, v32
	v_cndmask_b32_e32 v47, 0, v21, vcc
	v_cmp_eq_u32_e32 vcc, 0, v49
	v_cndmask_b32_e64 v60, 0, v20, s[0:1]
	v_cmp_eq_u32_e64 s[0:1], 0, v61
	v_cndmask_b32_e32 v48, 0, v22, vcc
	v_cmp_gt_u32_e32 vcc, s15, v50
	v_lshlrev_b32_e32 v35, 24, v35
	v_or3_b32 v58, v37, v29, v36
	v_cndmask_b32_e64 v49, 0, -1, vcc
	v_cmp_eq_u32_e32 vcc, 0, v51
	v_cndmask_b32_e64 v61, 0, v21, s[0:1]
	v_lshlrev_b32_e32 v39, 24, v39
	v_cndmask_b32_e32 v50, 0, v20, vcc
	v_cmp_eq_u32_e32 vcc, 0, v52
	v_or3_b32 v52, v34, v53, v33
	s_waitcnt vmcnt(3)
	v_bitop3_b32 v8, v52, v8, v32 bitop3:0x36
	v_cndmask_b32_e32 v51, 0, v21, vcc
	v_cmp_eq_u32_e32 vcc, 0, v26
	v_lshlrev_b32_e32 v52, 24, v59
	s_waitcnt vmcnt(2)
	v_bitop3_b32 v10, v58, v10, v35 bitop3:0x36
	v_cndmask_b32_e32 v26, 0, v22, vcc
	v_cmp_gt_u32_e32 vcc, s15, v55
	v_or3_b32 v58, v41, v30, v40
	v_lshlrev_b32_e32 v42, 24, v42
	v_cndmask_b32_e64 v55, 0, -1, vcc
	v_cmp_eq_u32_e32 vcc, 0, v56
	v_lshlrev_b32_e32 v55, 24, v55
	v_lshlrev_b32_e32 v45, 24, v45
	v_cndmask_b32_e32 v56, 0, v20, vcc
	v_cmp_eq_u32_e32 vcc, 0, v57
	s_waitcnt vmcnt(1)
	v_bitop3_b32 v58, v58, v12, v39 bitop3:0x36
	v_or3_b32 v12, v47, v48, v46
	v_cndmask_b32_e32 v57, 0, v21, vcc
	v_cmp_eq_u32_e32 vcc, 0, v54
	v_lshlrev_b32_e32 v49, 24, v49
	s_waitcnt vmcnt(0)
	v_bitop3_b32 v62, v12, v24, v45 bitop3:0x36
	v_cndmask_b32_e32 v54, 0, v22, vcc
	v_cmp_eq_u32_e32 vcc, 0, v38
	v_or3_b32 v38, v57, v54, v56
	v_bitop3_b32 v9, v38, v9, v55 bitop3:0x36
	v_cndmask_b32_e32 v38, 0, v22, vcc
	v_or3_b32 v59, v61, v38, v60
	v_bitop3_b32 v11, v59, v11, v52 bitop3:0x36
	v_or3_b32 v59, v44, v31, v43
	v_bitop3_b32 v59, v59, v13, v42 bitop3:0x36
	v_or3_b32 v13, v51, v26, v50
	v_lshrrev_b16_e32 v12, 4, v27
	v_and_b32_e32 v24, 15, v27
	v_bitop3_b32 v63, v13, v25, v49 bitop3:0x36
	v_cvt_f32_ubyte0_e32 v13, v12
	v_cvt_f32_ubyte0_e32 v12, v24
	v_mad_i64_i32 v[24:25], s[0:1], v19, 36, v[2:3]
	v_sub_u32_e32 v32, v8, v32
	v_sub_u32_e32 v33, v8, v33
	;; [unrolled: 1-line block ×16, first 2 shown]
	global_load_dwordx4 v[8:11], v[24:25], off
	v_sub_u32_e32 v39, v58, v39
	v_sub_u32_e32 v40, v58, v40
	v_sub_u32_e32 v41, v58, v41
	v_sub_u32_e32 v30, v58, v30
	v_sub_u32_e32 v42, v59, v42
	v_sub_u32_e32 v43, v59, v43
	v_sub_u32_e32 v44, v59, v44
	v_sub_u32_e32 v31, v59, v31
	global_load_dword v58, v[24:25], off offset:32
	v_sub_u32_e32 v59, v63, v26
	global_load_dwordx4 v[24:27], v[24:25], off offset:16
	v_sub_u32_e32 v45, v62, v45
	v_sub_u32_e32 v46, v62, v46
	;; [unrolled: 1-line block ×4, first 2 shown]
	v_perm_b32 v33, v33, v53, s18
	v_perm_b32 v29, v36, v29, s18
	v_and_b32_e32 v39, 0xff000000, v39
	v_and_b32_e32 v41, 0xff00, v41
	v_perm_b32 v30, v40, v30, s18
	v_and_b32_e32 v34, 0xff00, v34
	v_sub_u32_e32 v47, v62, v47
	v_mov_b32_e32 v53, 0
	v_perm_b32 v54, v56, v54, s18
	v_mov_b32_e32 v56, 0
	v_and_b32_e32 v40, 0xff000000, v42
	v_and_b32_e32 v42, 0xff00, v44
	v_perm_b32 v31, v43, v31, s18
	v_and_b32_e32 v43, 0xff000000, v45
	v_perm_b32 v45, v46, v48, s18
	v_and_b32_e32 v46, 0xff000000, v49
	v_and_b32_e32 v49, 0xff00, v57
	v_or3_b32 v30, v30, v39, v41
	v_sub_u32_e32 v50, v63, v50
	v_sub_u32_e32 v51, v63, v51
	v_and_b32_e32 v35, 0xff000000, v35
	v_and_b32_e32 v44, 0xff00, v47
	;; [unrolled: 1-line block ×3, first 2 shown]
	v_or3_b32 v31, v31, v40, v42
	v_and_b32_e32 v52, 0xff000000, v52
	v_perm_b32 v38, v60, v38, s18
	v_and_b32_e32 v47, 0xff00, v51
	v_perm_b32 v48, v50, v59, s18
	v_and_b32_e32 v50, 0xff00, v61
	v_or3_b32 v39, v45, v43, v44
	v_or3_b32 v29, v29, v35, v37
	;; [unrolled: 1-line block ×3, first 2 shown]
	v_cmp_le_u32_e32 vcc, s12, v16
	v_add_u32_e32 v19, 64, v19
	s_or_b64 s[4:5], vcc, s[4:5]
	s_waitcnt vmcnt(2)
	v_cvt_f32_f16_e32 v36, v8
	v_and_b32_e32 v8, 0xff000000, v32
	v_and_b32_e32 v32, 0xff000000, v55
	v_or3_b32 v8, v33, v8, v34
	v_or3_b32 v32, v54, v32, v49
	v_dot4c_i32_i8_e32 v56, v8, v9
	v_dot4c_i32_i8_e32 v56, v32, v10
	v_or3_b32 v33, v38, v52, v50
	v_dot4c_i32_i8_e32 v56, v29, v11
	v_pk_add_f32 v[10:11], v[12:13], 0.5 op_sel_hi:[1,0]
	v_mul_f32_e32 v12, v28, v36
	s_waitcnt vmcnt(0)
	v_dot4c_i32_i8_e32 v53, v30, v25
	v_dot4c_i32_i8_e32 v53, v31, v26
	;; [unrolled: 1-line block ×5, first 2 shown]
	v_mul_f32_e32 v12, 0x3e800000, v12
	s_nop 0
	v_cvt_f32_i32_e32 v9, v53
	v_cvt_f32_i32_e32 v8, v56
	v_pk_mul_f32 v[8:9], v[10:11], v[8:9]
	s_nop 0
	v_add_f32_e32 v8, v8, v9
	v_fmac_f32_e32 v17, v12, v8
	s_andn2_b64 exec, exec, s[4:5]
	s_cbranch_execnz .LBB253_3
; %bb.4:
	s_or_b64 exec, exec, s[4:5]
.LBB253_5:
	s_or_b64 exec, exec, s[10:11]
	v_mbcnt_lo_u32_b32 v0, -1, 0
	v_mbcnt_hi_u32_b32 v1, -1, v0
	v_and_b32_e32 v0, 64, v1
	v_add_u32_e32 v2, 64, v0
	v_xor_b32_e32 v0, 32, v1
	v_cmp_lt_i32_e32 vcc, v0, v2
	v_xor_b32_e32 v3, 16, v1
	v_xor_b32_e32 v4, 8, v1
	v_cndmask_b32_e32 v0, v1, v0, vcc
	v_lshlrev_b32_e32 v0, 2, v0
	ds_bpermute_b32 v0, v0, v17
	v_cmp_lt_i32_e32 vcc, v3, v2
	s_waitcnt lgkmcnt(0)
	v_add_f32_e32 v0, v17, v0
	v_cndmask_b32_e32 v3, v1, v3, vcc
	v_lshlrev_b32_e32 v3, 2, v3
	ds_bpermute_b32 v3, v3, v0
	v_cmp_lt_i32_e32 vcc, v4, v2
	s_waitcnt lgkmcnt(0)
	v_add_f32_e32 v0, v0, v3
	v_cndmask_b32_e32 v3, v1, v4, vcc
	v_lshlrev_b32_e32 v3, 2, v3
	ds_bpermute_b32 v3, v3, v0
	v_xor_b32_e32 v4, 4, v1
	v_cmp_lt_i32_e32 vcc, v4, v2
	s_waitcnt lgkmcnt(0)
	v_add_f32_e32 v0, v0, v3
	v_cndmask_b32_e32 v3, v1, v4, vcc
	v_lshlrev_b32_e32 v3, 2, v3
	ds_bpermute_b32 v3, v3, v0
	v_xor_b32_e32 v4, 2, v1
	;; [unrolled: 7-line block ×3, first 2 shown]
	v_cmp_lt_i32_e32 vcc, v4, v2
	s_waitcnt lgkmcnt(0)
	v_add_f32_e32 v0, v0, v3
	v_cndmask_b32_e32 v1, v1, v4, vcc
	v_lshlrev_b32_e32 v1, 2, v1
	ds_bpermute_b32 v1, v1, v0
	v_cmp_eq_u32_e32 vcc, 0, v15
	s_and_b64 exec, exec, vcc
	s_cbranch_execz .LBB253_7
; %bb.6:
	s_mul_i32 s0, s6, s8
	s_waitcnt lgkmcnt(0)
	v_add_f32_e32 v2, v0, v1
	v_add_u32_e32 v0, s0, v14
	v_mov_b32_e32 v1, 0
	v_lshl_add_u64 v[0:1], v[0:1], 2, s[2:3]
	global_store_dword v[0:1], v2, off
.LBB253_7:
	s_endpgm
	.section	.rodata,"a",@progbits
	.p2align	6, 0x0
	.amdhsa_kernel _ZL9moe_vec_qIfLi256ELi8E11block_iq2_sLi1EXadL_ZL18vec_dot_iq2_s_q8_1PKvPK10block_q8_1RKiEEEvS2_S2_PT_PS6_iiii
		.amdhsa_group_segment_fixed_size 0
		.amdhsa_private_segment_fixed_size 0
		.amdhsa_kernarg_size 304
		.amdhsa_user_sgpr_count 2
		.amdhsa_user_sgpr_dispatch_ptr 0
		.amdhsa_user_sgpr_queue_ptr 0
		.amdhsa_user_sgpr_kernarg_segment_ptr 1
		.amdhsa_user_sgpr_dispatch_id 0
		.amdhsa_user_sgpr_kernarg_preload_length 0
		.amdhsa_user_sgpr_kernarg_preload_offset 0
		.amdhsa_user_sgpr_private_segment_size 0
		.amdhsa_uses_dynamic_stack 0
		.amdhsa_enable_private_segment 0
		.amdhsa_system_sgpr_workgroup_id_x 1
		.amdhsa_system_sgpr_workgroup_id_y 0
		.amdhsa_system_sgpr_workgroup_id_z 1
		.amdhsa_system_sgpr_workgroup_info 0
		.amdhsa_system_vgpr_workitem_id 1
		.amdhsa_next_free_vgpr 64
		.amdhsa_next_free_sgpr 22
		.amdhsa_accum_offset 64
		.amdhsa_reserve_vcc 1
		.amdhsa_float_round_mode_32 0
		.amdhsa_float_round_mode_16_64 0
		.amdhsa_float_denorm_mode_32 3
		.amdhsa_float_denorm_mode_16_64 3
		.amdhsa_dx10_clamp 1
		.amdhsa_ieee_mode 1
		.amdhsa_fp16_overflow 0
		.amdhsa_tg_split 0
		.amdhsa_exception_fp_ieee_invalid_op 0
		.amdhsa_exception_fp_denorm_src 0
		.amdhsa_exception_fp_ieee_div_zero 0
		.amdhsa_exception_fp_ieee_overflow 0
		.amdhsa_exception_fp_ieee_underflow 0
		.amdhsa_exception_fp_ieee_inexact 0
		.amdhsa_exception_int_div_zero 0
	.end_amdhsa_kernel
	.section	.text._ZL9moe_vec_qIfLi256ELi8E11block_iq2_sLi1EXadL_ZL18vec_dot_iq2_s_q8_1PKvPK10block_q8_1RKiEEEvS2_S2_PT_PS6_iiii,"axG",@progbits,_ZL9moe_vec_qIfLi256ELi8E11block_iq2_sLi1EXadL_ZL18vec_dot_iq2_s_q8_1PKvPK10block_q8_1RKiEEEvS2_S2_PT_PS6_iiii,comdat
.Lfunc_end253:
	.size	_ZL9moe_vec_qIfLi256ELi8E11block_iq2_sLi1EXadL_ZL18vec_dot_iq2_s_q8_1PKvPK10block_q8_1RKiEEEvS2_S2_PT_PS6_iiii, .Lfunc_end253-_ZL9moe_vec_qIfLi256ELi8E11block_iq2_sLi1EXadL_ZL18vec_dot_iq2_s_q8_1PKvPK10block_q8_1RKiEEEvS2_S2_PT_PS6_iiii
                                        ; -- End function
	.set _ZL9moe_vec_qIfLi256ELi8E11block_iq2_sLi1EXadL_ZL18vec_dot_iq2_s_q8_1PKvPK10block_q8_1RKiEEEvS2_S2_PT_PS6_iiii.num_vgpr, 64
	.set _ZL9moe_vec_qIfLi256ELi8E11block_iq2_sLi1EXadL_ZL18vec_dot_iq2_s_q8_1PKvPK10block_q8_1RKiEEEvS2_S2_PT_PS6_iiii.num_agpr, 0
	.set _ZL9moe_vec_qIfLi256ELi8E11block_iq2_sLi1EXadL_ZL18vec_dot_iq2_s_q8_1PKvPK10block_q8_1RKiEEEvS2_S2_PT_PS6_iiii.numbered_sgpr, 22
	.set _ZL9moe_vec_qIfLi256ELi8E11block_iq2_sLi1EXadL_ZL18vec_dot_iq2_s_q8_1PKvPK10block_q8_1RKiEEEvS2_S2_PT_PS6_iiii.num_named_barrier, 0
	.set _ZL9moe_vec_qIfLi256ELi8E11block_iq2_sLi1EXadL_ZL18vec_dot_iq2_s_q8_1PKvPK10block_q8_1RKiEEEvS2_S2_PT_PS6_iiii.private_seg_size, 0
	.set _ZL9moe_vec_qIfLi256ELi8E11block_iq2_sLi1EXadL_ZL18vec_dot_iq2_s_q8_1PKvPK10block_q8_1RKiEEEvS2_S2_PT_PS6_iiii.uses_vcc, 1
	.set _ZL9moe_vec_qIfLi256ELi8E11block_iq2_sLi1EXadL_ZL18vec_dot_iq2_s_q8_1PKvPK10block_q8_1RKiEEEvS2_S2_PT_PS6_iiii.uses_flat_scratch, 0
	.set _ZL9moe_vec_qIfLi256ELi8E11block_iq2_sLi1EXadL_ZL18vec_dot_iq2_s_q8_1PKvPK10block_q8_1RKiEEEvS2_S2_PT_PS6_iiii.has_dyn_sized_stack, 0
	.set _ZL9moe_vec_qIfLi256ELi8E11block_iq2_sLi1EXadL_ZL18vec_dot_iq2_s_q8_1PKvPK10block_q8_1RKiEEEvS2_S2_PT_PS6_iiii.has_recursion, 0
	.set _ZL9moe_vec_qIfLi256ELi8E11block_iq2_sLi1EXadL_ZL18vec_dot_iq2_s_q8_1PKvPK10block_q8_1RKiEEEvS2_S2_PT_PS6_iiii.has_indirect_call, 0
	.section	.AMDGPU.csdata,"",@progbits
; Kernel info:
; codeLenInByte = 2364
; TotalNumSgprs: 28
; NumVgprs: 64
; NumAgprs: 0
; TotalNumVgprs: 64
; ScratchSize: 0
; MemoryBound: 0
; FloatMode: 240
; IeeeMode: 1
; LDSByteSize: 0 bytes/workgroup (compile time only)
; SGPRBlocks: 3
; VGPRBlocks: 7
; NumSGPRsForWavesPerEU: 28
; NumVGPRsForWavesPerEU: 64
; AccumOffset: 64
; Occupancy: 8
; WaveLimiterHint : 1
; COMPUTE_PGM_RSRC2:SCRATCH_EN: 0
; COMPUTE_PGM_RSRC2:USER_SGPR: 2
; COMPUTE_PGM_RSRC2:TRAP_HANDLER: 0
; COMPUTE_PGM_RSRC2:TGID_X_EN: 1
; COMPUTE_PGM_RSRC2:TGID_Y_EN: 0
; COMPUTE_PGM_RSRC2:TGID_Z_EN: 1
; COMPUTE_PGM_RSRC2:TIDIG_COMP_CNT: 1
; COMPUTE_PGM_RSRC3_GFX90A:ACCUM_OFFSET: 15
; COMPUTE_PGM_RSRC3_GFX90A:TG_SPLIT: 0
	.section	.text._ZL9moe_vec_qIfLi256ELi8E12block_iq4_xsLi1EXadL_ZL19vec_dot_iq4_xs_q8_1PKvPK10block_q8_1RKiEEEvS2_S2_PT_PS6_iiii,"axG",@progbits,_ZL9moe_vec_qIfLi256ELi8E12block_iq4_xsLi1EXadL_ZL19vec_dot_iq4_xs_q8_1PKvPK10block_q8_1RKiEEEvS2_S2_PT_PS6_iiii,comdat
	.globl	_ZL9moe_vec_qIfLi256ELi8E12block_iq4_xsLi1EXadL_ZL19vec_dot_iq4_xs_q8_1PKvPK10block_q8_1RKiEEEvS2_S2_PT_PS6_iiii ; -- Begin function _ZL9moe_vec_qIfLi256ELi8E12block_iq4_xsLi1EXadL_ZL19vec_dot_iq4_xs_q8_1PKvPK10block_q8_1RKiEEEvS2_S2_PT_PS6_iiii
	.p2align	8
	.type	_ZL9moe_vec_qIfLi256ELi8E12block_iq4_xsLi1EXadL_ZL19vec_dot_iq4_xs_q8_1PKvPK10block_q8_1RKiEEEvS2_S2_PT_PS6_iiii,@function
_ZL9moe_vec_qIfLi256ELi8E12block_iq4_xsLi1EXadL_ZL19vec_dot_iq4_xs_q8_1PKvPK10block_q8_1RKiEEEvS2_S2_PT_PS6_iiii: ; @_ZL9moe_vec_qIfLi256ELi8E12block_iq4_xsLi1EXadL_ZL19vec_dot_iq4_xs_q8_1PKvPK10block_q8_1RKiEEEvS2_S2_PT_PS6_iiii
; %bb.0:
	s_mov_b32 s8, s3
	s_load_dword s3, s[0:1], 0x3c
	s_load_dwordx4 s[4:7], s[0:1], 0x20
	v_bfe_u32 v1, v0, 10, 10
	s_waitcnt lgkmcnt(0)
	s_lshr_b32 s3, s3, 16
	s_mul_i32 s2, s2, s3
	v_add_u32_e32 v18, s2, v1
	v_cmp_gt_u32_e32 vcc, s6, v18
	s_and_saveexec_b64 s[2:3], vcc
	s_cbranch_execz .LBB254_7
; %bb.1:
	s_load_dwordx2 s[2:3], s[0:1], 0x10
	s_ashr_i32 s9, s5, 31
	s_lshr_b32 s9, s9, 24
	s_add_i32 s5, s5, s9
	s_ashr_i32 s12, s5, 8
	v_bfe_u32 v20, v0, 3, 7
	v_and_b32_e32 v19, 0x3ff, v0
	v_cmp_gt_u32_e32 vcc, s12, v20
	v_mov_b32_e32 v21, 0
	s_and_saveexec_b64 s[10:11], vcc
	s_cbranch_execz .LBB254_5
; %bb.2:
	s_load_dwordx2 s[14:15], s[0:1], 0x18
	v_cvt_f32_u32_e32 v0, s4
	s_mov_b32 s9, 0
	s_lshl_b64 s[16:17], s[8:9], 2
	v_and_b32_e32 v1, 7, v19
	s_waitcnt lgkmcnt(0)
	s_add_u32 s14, s14, s16
	v_rcp_iflag_f32_e32 v0, v0
	s_addc_u32 s15, s15, s17
	s_load_dword s5, s[14:15], 0x0
	s_load_dwordx4 s[16:19], s[0:1], 0x0
	s_mul_i32 s0, s12, s6
	v_mul_f32_e32 v0, 0x4f7ffffe, v0
	v_cvt_u32_f32_e32 v0, v0
	s_waitcnt lgkmcnt(0)
	s_mul_i32 s0, s0, s5
	s_mul_hi_i32 s1, s0, 0x88
	s_mulk_i32 s0, 0x88
	s_add_u32 s14, s16, s0
	s_addc_u32 s15, s17, s1
	s_sub_i32 s0, 0, s4
	v_readfirstlane_b32 s1, v0
	s_mul_i32 s0, s0, s1
	s_mul_hi_u32 s0, s1, s0
	s_add_i32 s1, s1, s0
	s_mul_hi_u32 s0, s8, s1
	s_mul_i32 s1, s0, s4
	s_sub_i32 s1, s8, s1
	s_add_i32 s5, s0, 1
	s_sub_i32 s16, s1, s4
	s_cmp_ge_u32 s1, s4
	s_cselect_b32 s0, s5, s0
	s_cselect_b32 s1, s16, s1
	s_add_i32 s5, s0, 1
	s_cmp_ge_u32 s1, s4
	s_cselect_b32 s0, s5, s0
	s_mul_i32 s0, s0, s7
	s_mov_b32 s1, s9
	s_lshl_b64 s[0:1], s[0:1], 2
	s_add_u32 s0, s18, s0
	s_addc_u32 s1, s19, s1
	v_mad_u64_u32 v[8:9], s[0:1], v1, 36, s[0:1]
	v_lshlrev_b32_e32 v0, 2, v1
	v_mov_b32_e32 v11, 0
	v_lshlrev_b32_e32 v2, 2, v19
	s_movk_i32 s13, 0x88
	v_mul_lo_u32 v22, v18, s12
	v_bfe_u32 v10, v19, 1, 2
	v_and_b32_e32 v23, 4, v2
	v_lshlrev_b32_e32 v24, 1, v1
	v_lshlrev_b32_e32 v25, 3, v20
	s_mov_b64 s[0:1], 0
	v_mov_b64_e32 v[12:13], s[14:15]
	v_lshlrev_b32_e32 v14, 2, v0
	v_mov_b32_e32 v15, v11
	v_mov_b32_e32 v21, v11
.LBB254_3:                              ; =>This Inner Loop Header: Depth=1
	v_add_u32_e32 v0, v22, v20
	v_mad_i64_i32 v[26:27], s[14:15], v0, s13, v[12:13]
	v_lshl_add_u64 v[28:29], v[26:27], 0, v[14:15]
	v_mad_i64_i32 v[16:17], s[4:5], v25, 36, v[8:9]
	v_lshl_add_u64 v[30:31], v[26:27], 0, v[10:11]
	global_load_dwordx4 v[4:7], v[28:29], off offset:8
	global_load_ubyte v32, v[30:31], off offset:4
	global_load_dwordx4 v[0:3], v[16:17], off
	s_getpc_b64 s[4:5]
	s_add_u32 s4, s4, _ZL13kvalues_iq4nl@rel32@lo+4
	s_addc_u32 s5, s5, _ZL13kvalues_iq4nl@rel32@hi+12
	v_add_u32_e32 v20, 8, v20
	v_cmp_le_u32_e32 vcc, s12, v20
	v_add_u32_e32 v25, 64, v25
	s_or_b64 s[0:1], vcc, s[0:1]
	s_waitcnt vmcnt(2)
	v_bfe_u32 v28, v4, 24, 4
	v_and_b32_e32 v29, 15, v4
	v_bfe_u32 v30, v4, 8, 4
	v_bfe_u32 v31, v4, 16, 4
	v_bfe_u32 v33, v4, 20, 4
	v_lshrrev_b32_e32 v34, 28, v4
	v_bfe_u32 v35, v4, 4, 4
	v_bfe_u32 v36, v4, 12, 4
	v_bfe_u32 v37, v5, 24, 4
	v_and_b32_e32 v38, 15, v5
	v_bfe_u32 v39, v5, 8, 4
	v_bfe_u32 v40, v5, 16, 4
	v_bfe_u32 v41, v5, 20, 4
	v_lshrrev_b32_e32 v42, 28, v5
	v_bfe_u32 v43, v5, 4, 4
	v_bfe_u32 v44, v5, 12, 4
	;; [unrolled: 8-line block ×3, first 2 shown]
	v_bfe_u32 v53, v7, 24, 4
	v_bfe_u32 v55, v7, 8, 4
	;; [unrolled: 1-line block ×4, first 2 shown]
	v_lshrrev_b32_e32 v58, 28, v7
	v_and_b32_e32 v54, 15, v7
	v_bfe_u32 v59, v7, 4, 4
	v_bfe_u32 v60, v7, 12, 4
	global_load_dwordx4 v[4:7], v[16:17], off offset:16
	global_load_dword v61, v[26:27], off
	global_load_ubyte v62, v29, s[4:5]
	global_load_ubyte v63, v30, s[4:5]
                                        ; kill: killed $vgpr29
                                        ; kill: killed $vgpr30
                                        ; kill: killed $vgpr26_vgpr27
	s_nop 0
	global_load_ubyte v26, v31, s[4:5]
	global_load_ubyte v27, v35, s[4:5]
	;; [unrolled: 1-line block ×4, first 2 shown]
                                        ; kill: killed $vgpr33
                                        ; kill: killed $vgpr36
                                        ; kill: killed $vgpr31
                                        ; kill: killed $vgpr35
	s_nop 0
	global_load_ubyte v31, v34, s[4:5]
	global_load_ubyte v33, v28, s[4:5]
	global_load_ubyte v35, v38, s[4:5]
	global_load_ubyte v36, v39, s[4:5]
                                        ; kill: killed $vgpr39
                                        ; kill: killed $vgpr38
                                        ; kill: killed $vgpr28
                                        ; kill: killed $vgpr34
	s_nop 0
	global_load_ubyte v28, v40, s[4:5]
	global_load_ubyte v34, v43, s[4:5]
	;; [unrolled: 1-line block ×4, first 2 shown]
                                        ; kill: killed $vgpr44
                                        ; kill: killed $vgpr43
                                        ; kill: killed $vgpr41
                                        ; kill: killed $vgpr40
	s_nop 0
	global_load_ubyte v40, v42, s[4:5]
	global_load_ubyte v41, v37, s[4:5]
	;; [unrolled: 1-line block ×4, first 2 shown]
                                        ; kill: killed $vgpr47
                                        ; kill: killed $vgpr46
                                        ; kill: killed $vgpr42
                                        ; kill: killed $vgpr37
	s_nop 0
	global_load_ubyte v37, v48, s[4:5]
	global_load_ubyte v42, v51, s[4:5]
	;; [unrolled: 1-line block ×4, first 2 shown]
                                        ; kill: killed $vgpr52
                                        ; kill: killed $vgpr51
                                        ; kill: killed $vgpr49
                                        ; kill: killed $vgpr48
	s_nop 0
	global_load_ubyte v48, v50, s[4:5]
	global_load_ubyte v49, v45, s[4:5]
	;; [unrolled: 1-line block ×4, first 2 shown]
                                        ; kill: killed $vgpr50
                                        ; kill: killed $vgpr45
                                        ; kill: killed $vgpr56
                                        ; kill: killed $vgpr55
	s_nop 0
	global_load_ubyte v45, v60, s[4:5]
	global_load_ubyte v50, v57, s[4:5]
	;; [unrolled: 1-line block ×4, first 2 shown]
                                        ; kill: killed $vgpr58
                                        ; kill: killed $vgpr60
                                        ; kill: killed $vgpr53
                                        ; kill: killed $vgpr57
	s_nop 0
	global_load_ubyte v53, v54, s[4:5]
	global_load_ubyte v57, v59, s[4:5]
	global_load_dword v58, v[16:17], off offset:32
	v_mov_b32_e32 v16, 0
	v_mov_b32_e32 v17, 0
	s_waitcnt vmcnt(36)
	v_bfe_u32 v32, v32, v23, 4
	s_waitcnt vmcnt(35)
	v_cvt_f32_f16_e32 v0, v0
	s_waitcnt vmcnt(33)
	v_lshrrev_b32_sdwa v54, v24, v61 dst_sel:DWORD dst_unused:UNUSED_PAD src0_sel:DWORD src1_sel:WORD_1
	v_lshlrev_b32_e32 v54, 4, v54
	s_waitcnt vmcnt(31)
	v_lshl_or_b32 v59, v63, 8, v62
	v_and_or_b32 v32, v54, 48, v32
	v_subrev_u32_e32 v32, 32, v32
	v_cvt_f32_f16_e32 v54, v61
	s_waitcnt vmcnt(30)
	v_lshlrev_b32_e32 v26, 16, v26
	v_cvt_f32_i32_e32 v32, v32
	s_waitcnt vmcnt(28)
	v_lshl_or_b32 v27, v29, 8, v27
	s_waitcnt vmcnt(27)
	v_lshlrev_b32_e32 v30, 16, v30
	s_waitcnt vmcnt(26)
	v_lshlrev_b32_e32 v31, 24, v31
	;; [unrolled: 2-line block ×3, first 2 shown]
	v_or3_b32 v26, v59, v26, v33
	s_waitcnt vmcnt(23)
	v_lshl_or_b32 v35, v36, 8, v35
	v_or3_b32 v27, v27, v30, v31
	v_dot4c_i32_i8_e32 v16, v26, v1
	v_dot4c_i32_i8_e32 v17, v27, v5
	s_waitcnt vmcnt(22)
	v_lshlrev_b32_e32 v28, 16, v28
	s_waitcnt vmcnt(20)
	v_lshl_or_b32 v34, v38, 8, v34
	s_waitcnt vmcnt(19)
	v_lshlrev_b32_e32 v39, 16, v39
	s_waitcnt vmcnt(18)
	v_lshlrev_b32_e32 v36, 24, v40
	;; [unrolled: 2-line block ×3, first 2 shown]
	v_or3_b32 v28, v35, v28, v29
	s_waitcnt vmcnt(15)
	v_lshl_or_b32 v40, v44, 8, v43
	v_or3_b32 v29, v34, v39, v36
	v_dot4c_i32_i8_e32 v16, v28, v2
	v_dot4c_i32_i8_e32 v17, v29, v6
	v_mul_f32_e32 v2, v54, v32
	s_waitcnt vmcnt(14)
	v_lshlrev_b32_e32 v37, 16, v37
	v_mul_f32_e32 v0, v2, v0
	s_waitcnt vmcnt(12)
	v_lshl_or_b32 v42, v46, 8, v42
	s_waitcnt vmcnt(11)
	v_lshlrev_b32_e32 v43, 16, v47
	s_waitcnt vmcnt(10)
	v_lshlrev_b32_e32 v41, 24, v48
	;; [unrolled: 2-line block ×3, first 2 shown]
	v_or3_b32 v30, v40, v37, v38
	s_waitcnt vmcnt(7)
	v_lshlrev_b32_e32 v46, 16, v52
	v_or3_b32 v31, v42, v43, v41
	v_dot4c_i32_i8_e32 v16, v30, v3
	v_dot4c_i32_i8_e32 v17, v31, v7
	s_waitcnt vmcnt(5)
	v_lshlrev_b32_e32 v49, 16, v50
	s_waitcnt vmcnt(4)
	v_lshlrev_b32_e32 v48, 24, v55
	;; [unrolled: 2-line block ×3, first 2 shown]
	s_waitcnt vmcnt(2)
	v_lshl_or_b32 v47, v51, 8, v53
	s_waitcnt vmcnt(1)
	v_lshl_or_b32 v45, v45, 8, v57
	v_or3_b32 v33, v47, v46, v44
	v_or3_b32 v34, v45, v49, v48
	v_dot4c_i32_i8_e32 v16, v33, v4
	s_waitcnt vmcnt(0)
	v_dot4c_i32_i8_e32 v17, v34, v58
	s_nop 2
	v_add_u32_e32 v1, v17, v16
	v_cvt_f32_i32_e32 v1, v1
	v_fmac_f32_e32 v21, v0, v1
	s_andn2_b64 exec, exec, s[0:1]
	s_cbranch_execnz .LBB254_3
; %bb.4:
	s_or_b64 exec, exec, s[0:1]
.LBB254_5:
	s_or_b64 exec, exec, s[10:11]
	v_mbcnt_lo_u32_b32 v0, -1, 0
	v_mbcnt_hi_u32_b32 v1, -1, v0
	v_and_b32_e32 v0, 64, v1
	v_add_u32_e32 v2, 64, v0
	v_xor_b32_e32 v0, 32, v1
	v_cmp_lt_i32_e32 vcc, v0, v2
	v_xor_b32_e32 v3, 16, v1
	v_xor_b32_e32 v4, 8, v1
	v_cndmask_b32_e32 v0, v1, v0, vcc
	v_lshlrev_b32_e32 v0, 2, v0
	ds_bpermute_b32 v0, v0, v21
	v_cmp_lt_i32_e32 vcc, v3, v2
	s_waitcnt lgkmcnt(0)
	v_add_f32_e32 v0, v21, v0
	v_cndmask_b32_e32 v3, v1, v3, vcc
	v_lshlrev_b32_e32 v3, 2, v3
	ds_bpermute_b32 v3, v3, v0
	v_cmp_lt_i32_e32 vcc, v4, v2
	s_waitcnt lgkmcnt(0)
	v_add_f32_e32 v0, v0, v3
	v_cndmask_b32_e32 v3, v1, v4, vcc
	v_lshlrev_b32_e32 v3, 2, v3
	ds_bpermute_b32 v3, v3, v0
	v_xor_b32_e32 v4, 4, v1
	v_cmp_lt_i32_e32 vcc, v4, v2
	s_waitcnt lgkmcnt(0)
	v_add_f32_e32 v0, v0, v3
	v_cndmask_b32_e32 v3, v1, v4, vcc
	v_lshlrev_b32_e32 v3, 2, v3
	ds_bpermute_b32 v3, v3, v0
	v_xor_b32_e32 v4, 2, v1
	;; [unrolled: 7-line block ×3, first 2 shown]
	v_cmp_lt_i32_e32 vcc, v4, v2
	s_waitcnt lgkmcnt(0)
	v_add_f32_e32 v0, v0, v3
	v_cndmask_b32_e32 v1, v1, v4, vcc
	v_lshlrev_b32_e32 v1, 2, v1
	ds_bpermute_b32 v1, v1, v0
	v_cmp_eq_u32_e32 vcc, 0, v19
	s_and_b64 exec, exec, vcc
	s_cbranch_execz .LBB254_7
; %bb.6:
	s_mul_i32 s0, s6, s8
	s_waitcnt lgkmcnt(0)
	v_add_f32_e32 v2, v0, v1
	v_add_u32_e32 v0, s0, v18
	v_mov_b32_e32 v1, 0
	v_lshl_add_u64 v[0:1], v[0:1], 2, s[2:3]
	global_store_dword v[0:1], v2, off
.LBB254_7:
	s_endpgm
	.section	.rodata,"a",@progbits
	.p2align	6, 0x0
	.amdhsa_kernel _ZL9moe_vec_qIfLi256ELi8E12block_iq4_xsLi1EXadL_ZL19vec_dot_iq4_xs_q8_1PKvPK10block_q8_1RKiEEEvS2_S2_PT_PS6_iiii
		.amdhsa_group_segment_fixed_size 0
		.amdhsa_private_segment_fixed_size 0
		.amdhsa_kernarg_size 304
		.amdhsa_user_sgpr_count 2
		.amdhsa_user_sgpr_dispatch_ptr 0
		.amdhsa_user_sgpr_queue_ptr 0
		.amdhsa_user_sgpr_kernarg_segment_ptr 1
		.amdhsa_user_sgpr_dispatch_id 0
		.amdhsa_user_sgpr_kernarg_preload_length 0
		.amdhsa_user_sgpr_kernarg_preload_offset 0
		.amdhsa_user_sgpr_private_segment_size 0
		.amdhsa_uses_dynamic_stack 0
		.amdhsa_enable_private_segment 0
		.amdhsa_system_sgpr_workgroup_id_x 1
		.amdhsa_system_sgpr_workgroup_id_y 0
		.amdhsa_system_sgpr_workgroup_id_z 1
		.amdhsa_system_sgpr_workgroup_info 0
		.amdhsa_system_vgpr_workitem_id 1
		.amdhsa_next_free_vgpr 64
		.amdhsa_next_free_sgpr 20
		.amdhsa_accum_offset 64
		.amdhsa_reserve_vcc 1
		.amdhsa_float_round_mode_32 0
		.amdhsa_float_round_mode_16_64 0
		.amdhsa_float_denorm_mode_32 3
		.amdhsa_float_denorm_mode_16_64 3
		.amdhsa_dx10_clamp 1
		.amdhsa_ieee_mode 1
		.amdhsa_fp16_overflow 0
		.amdhsa_tg_split 0
		.amdhsa_exception_fp_ieee_invalid_op 0
		.amdhsa_exception_fp_denorm_src 0
		.amdhsa_exception_fp_ieee_div_zero 0
		.amdhsa_exception_fp_ieee_overflow 0
		.amdhsa_exception_fp_ieee_underflow 0
		.amdhsa_exception_fp_ieee_inexact 0
		.amdhsa_exception_int_div_zero 0
	.end_amdhsa_kernel
	.section	.text._ZL9moe_vec_qIfLi256ELi8E12block_iq4_xsLi1EXadL_ZL19vec_dot_iq4_xs_q8_1PKvPK10block_q8_1RKiEEEvS2_S2_PT_PS6_iiii,"axG",@progbits,_ZL9moe_vec_qIfLi256ELi8E12block_iq4_xsLi1EXadL_ZL19vec_dot_iq4_xs_q8_1PKvPK10block_q8_1RKiEEEvS2_S2_PT_PS6_iiii,comdat
.Lfunc_end254:
	.size	_ZL9moe_vec_qIfLi256ELi8E12block_iq4_xsLi1EXadL_ZL19vec_dot_iq4_xs_q8_1PKvPK10block_q8_1RKiEEEvS2_S2_PT_PS6_iiii, .Lfunc_end254-_ZL9moe_vec_qIfLi256ELi8E12block_iq4_xsLi1EXadL_ZL19vec_dot_iq4_xs_q8_1PKvPK10block_q8_1RKiEEEvS2_S2_PT_PS6_iiii
                                        ; -- End function
	.set _ZL9moe_vec_qIfLi256ELi8E12block_iq4_xsLi1EXadL_ZL19vec_dot_iq4_xs_q8_1PKvPK10block_q8_1RKiEEEvS2_S2_PT_PS6_iiii.num_vgpr, 64
	.set _ZL9moe_vec_qIfLi256ELi8E12block_iq4_xsLi1EXadL_ZL19vec_dot_iq4_xs_q8_1PKvPK10block_q8_1RKiEEEvS2_S2_PT_PS6_iiii.num_agpr, 0
	.set _ZL9moe_vec_qIfLi256ELi8E12block_iq4_xsLi1EXadL_ZL19vec_dot_iq4_xs_q8_1PKvPK10block_q8_1RKiEEEvS2_S2_PT_PS6_iiii.numbered_sgpr, 20
	.set _ZL9moe_vec_qIfLi256ELi8E12block_iq4_xsLi1EXadL_ZL19vec_dot_iq4_xs_q8_1PKvPK10block_q8_1RKiEEEvS2_S2_PT_PS6_iiii.num_named_barrier, 0
	.set _ZL9moe_vec_qIfLi256ELi8E12block_iq4_xsLi1EXadL_ZL19vec_dot_iq4_xs_q8_1PKvPK10block_q8_1RKiEEEvS2_S2_PT_PS6_iiii.private_seg_size, 0
	.set _ZL9moe_vec_qIfLi256ELi8E12block_iq4_xsLi1EXadL_ZL19vec_dot_iq4_xs_q8_1PKvPK10block_q8_1RKiEEEvS2_S2_PT_PS6_iiii.uses_vcc, 1
	.set _ZL9moe_vec_qIfLi256ELi8E12block_iq4_xsLi1EXadL_ZL19vec_dot_iq4_xs_q8_1PKvPK10block_q8_1RKiEEEvS2_S2_PT_PS6_iiii.uses_flat_scratch, 0
	.set _ZL9moe_vec_qIfLi256ELi8E12block_iq4_xsLi1EXadL_ZL19vec_dot_iq4_xs_q8_1PKvPK10block_q8_1RKiEEEvS2_S2_PT_PS6_iiii.has_dyn_sized_stack, 0
	.set _ZL9moe_vec_qIfLi256ELi8E12block_iq4_xsLi1EXadL_ZL19vec_dot_iq4_xs_q8_1PKvPK10block_q8_1RKiEEEvS2_S2_PT_PS6_iiii.has_recursion, 0
	.set _ZL9moe_vec_qIfLi256ELi8E12block_iq4_xsLi1EXadL_ZL19vec_dot_iq4_xs_q8_1PKvPK10block_q8_1RKiEEEvS2_S2_PT_PS6_iiii.has_indirect_call, 0
	.section	.AMDGPU.csdata,"",@progbits
; Kernel info:
; codeLenInByte = 1692
; TotalNumSgprs: 26
; NumVgprs: 64
; NumAgprs: 0
; TotalNumVgprs: 64
; ScratchSize: 0
; MemoryBound: 0
; FloatMode: 240
; IeeeMode: 1
; LDSByteSize: 0 bytes/workgroup (compile time only)
; SGPRBlocks: 3
; VGPRBlocks: 7
; NumSGPRsForWavesPerEU: 26
; NumVGPRsForWavesPerEU: 64
; AccumOffset: 64
; Occupancy: 8
; WaveLimiterHint : 1
; COMPUTE_PGM_RSRC2:SCRATCH_EN: 0
; COMPUTE_PGM_RSRC2:USER_SGPR: 2
; COMPUTE_PGM_RSRC2:TRAP_HANDLER: 0
; COMPUTE_PGM_RSRC2:TGID_X_EN: 1
; COMPUTE_PGM_RSRC2:TGID_Y_EN: 0
; COMPUTE_PGM_RSRC2:TGID_Z_EN: 1
; COMPUTE_PGM_RSRC2:TIDIG_COMP_CNT: 1
; COMPUTE_PGM_RSRC3_GFX90A:ACCUM_OFFSET: 15
; COMPUTE_PGM_RSRC3_GFX90A:TG_SPLIT: 0
	.section	.text._ZL9moe_vec_qIfLi256ELi8E11block_iq1_mLi1EXadL_ZL18vec_dot_iq1_m_q8_1PKvPK10block_q8_1RKiEEEvS2_S2_PT_PS6_iiii,"axG",@progbits,_ZL9moe_vec_qIfLi256ELi8E11block_iq1_mLi1EXadL_ZL18vec_dot_iq1_m_q8_1PKvPK10block_q8_1RKiEEEvS2_S2_PT_PS6_iiii,comdat
	.globl	_ZL9moe_vec_qIfLi256ELi8E11block_iq1_mLi1EXadL_ZL18vec_dot_iq1_m_q8_1PKvPK10block_q8_1RKiEEEvS2_S2_PT_PS6_iiii ; -- Begin function _ZL9moe_vec_qIfLi256ELi8E11block_iq1_mLi1EXadL_ZL18vec_dot_iq1_m_q8_1PKvPK10block_q8_1RKiEEEvS2_S2_PT_PS6_iiii
	.p2align	8
	.type	_ZL9moe_vec_qIfLi256ELi8E11block_iq1_mLi1EXadL_ZL18vec_dot_iq1_m_q8_1PKvPK10block_q8_1RKiEEEvS2_S2_PT_PS6_iiii,@function
_ZL9moe_vec_qIfLi256ELi8E11block_iq1_mLi1EXadL_ZL18vec_dot_iq1_m_q8_1PKvPK10block_q8_1RKiEEEvS2_S2_PT_PS6_iiii: ; @_ZL9moe_vec_qIfLi256ELi8E11block_iq1_mLi1EXadL_ZL18vec_dot_iq1_m_q8_1PKvPK10block_q8_1RKiEEEvS2_S2_PT_PS6_iiii
; %bb.0:
	s_mov_b32 s8, s3
	s_load_dword s3, s[0:1], 0x3c
	s_load_dwordx4 s[4:7], s[0:1], 0x20
	v_bfe_u32 v1, v0, 10, 10
	s_waitcnt lgkmcnt(0)
	s_lshr_b32 s3, s3, 16
	s_mul_i32 s2, s2, s3
	v_add_u32_e32 v18, s2, v1
	v_cmp_gt_u32_e32 vcc, s6, v18
	s_and_saveexec_b64 s[2:3], vcc
	s_cbranch_execz .LBB255_7
; %bb.1:
	s_load_dwordx2 s[2:3], s[0:1], 0x10
	s_ashr_i32 s9, s5, 31
	s_lshr_b32 s9, s9, 24
	s_add_i32 s5, s5, s9
	s_ashr_i32 s13, s5, 8
	v_bfe_u32 v20, v0, 3, 7
	v_and_b32_e32 v19, 0x3ff, v0
	v_cmp_gt_u32_e32 vcc, s13, v20
	v_mov_b32_e32 v22, 0
	s_and_saveexec_b64 s[10:11], vcc
	s_cbranch_execz .LBB255_5
; %bb.2:
	s_load_dwordx2 s[14:15], s[0:1], 0x18
	v_cvt_f32_u32_e32 v0, s4
	s_mov_b32 s9, 0
	s_lshl_b64 s[16:17], s[8:9], 2
	v_and_b32_e32 v1, 1, v19
	v_rcp_iflag_f32_e32 v0, v0
	s_waitcnt lgkmcnt(0)
	s_add_u32 s14, s14, s16
	s_addc_u32 s15, s15, s17
	s_load_dword s5, s[14:15], 0x0
	s_load_dwordx4 s[16:19], s[0:1], 0x0
	v_mul_f32_e32 v0, 0x4f7ffffe, v0
	s_mul_i32 s0, s13, s6
	v_cvt_u32_f32_e32 v0, v0
	s_waitcnt lgkmcnt(0)
	s_mul_i32 s0, s0, s5
	s_mul_hi_i32 s1, s0, 56
	s_mul_i32 s0, s0, 56
	s_add_u32 s0, s16, s0
	s_addc_u32 s1, s17, s1
	s_sub_i32 s5, 0, s4
	v_readfirstlane_b32 s12, v0
	s_mul_i32 s5, s5, s12
	s_mul_hi_u32 s5, s12, s5
	s_add_i32 s12, s12, s5
	s_mul_hi_u32 s5, s8, s12
	s_mul_i32 s12, s5, s4
	s_sub_i32 s12, s8, s12
	s_add_i32 s14, s5, 1
	s_sub_i32 s15, s12, s4
	s_cmp_ge_u32 s12, s4
	s_cselect_b32 s5, s14, s5
	s_cselect_b32 s12, s15, s12
	s_add_i32 s14, s5, 1
	s_cmp_ge_u32 s12, s4
	s_cselect_b32 s4, s14, s5
	s_mul_i32 s4, s4, s7
	s_mov_b32 s5, s9
	s_lshl_b64 s[4:5], s[4:5], 2
	s_add_u32 s4, s18, s4
	s_addc_u32 s5, s19, s5
	v_and_b32_e32 v0, 7, v19
	v_mov_b32_e32 v9, 0
	v_mad_u64_u32 v[10:11], s[4:5], v0, 36, s[4:5]
	v_bfe_u32 v2, v19, 1, 2
	v_cmp_eq_u32_e32 vcc, 1, v1
	s_mov_b32 s14, 0xbf600000
	v_mul_lo_u32 v21, v18, s13
	v_lshlrev_b32_e32 v8, 1, v0
	v_cndmask_b32_e64 v23, 0, 6, vcc
	v_lshlrev_b32_e32 v24, 3, v20
	s_mov_b64 s[4:5], 0
	v_lshlrev_b32_e32 v12, 2, v0
	v_mov_b32_e32 v13, v9
	s_movk_i32 s7, 0x700
	s_mov_b32 s12, 0x3d000000
	v_mov_b64_e32 v[14:15], s[14:15]
	s_mov_b32 s9, 0x8000c
	s_movk_i32 s16, 0xf0
	v_lshlrev_b32_e32 v16, 1, v2
	v_mov_b32_e32 v17, v9
	v_mov_b32_e32 v25, 8
	;; [unrolled: 1-line block ×4, first 2 shown]
.LBB255_3:                              ; =>This Inner Loop Header: Depth=1
	v_add_u32_e32 v0, v21, v20
	v_mad_i64_i32 v[28:29], s[14:15], v0, 56, s[0:1]
	v_lshl_add_u64 v[0:1], v[28:29], 0, v[12:13]
	v_lshl_add_u64 v[2:3], v[28:29], 0, v[8:9]
	global_load_dword v27, v[0:1], off
	global_load_ushort v34, v[2:3], off offset:32
	v_mad_i64_i32 v[30:31], s[14:15], v24, 36, v[10:11]
	global_load_dwordx4 v[0:3], v[30:31], off
	global_load_dwordx4 v[4:7], v[30:31], off offset:16
	global_load_dword v38, v[30:31], off offset:32
	v_lshl_add_u64 v[30:31], v[28:29], 0, v[16:17]
	global_load_dwordx2 v[32:33], v[28:29], off offset:48
	global_load_ushort v35, v[30:31], off offset:48
	s_getpc_b64 s[14:15]
	s_add_u32 s14, s14, _ZL13iq1s_grid_gpu@rel32@lo+4
	s_addc_u32 s15, s15, _ZL13iq1s_grid_gpu@rel32@hi+12
	v_mov_b32_e32 v43, 0
	v_add_u32_e32 v20, 8, v20
	v_cmp_le_u32_e32 vcc, s13, v20
	v_add_u32_e32 v24, 64, v24
	s_or_b64 s[4:5], vcc, s[4:5]
	s_waitcnt vmcnt(6)
	v_and_b32_e32 v29, 0xff, v27
	s_waitcnt vmcnt(5)
	v_lshlrev_b32_e32 v30, 8, v34
	v_lshrrev_b32_e32 v28, 24, v27
	v_bfe_u32 v31, v27, 8, 8
	v_lshlrev_b32_e32 v36, 4, v34
	v_bfe_u32 v27, v27, 16, 8
	v_lshlrev_b32_sdwa v37, v25, v34 dst_sel:DWORD dst_unused:UNUSED_PAD src0_sel:DWORD src1_sel:BYTE_1
	v_lshlrev_b32_sdwa v39, v26, v34 dst_sel:DWORD dst_unused:UNUSED_PAD src0_sel:DWORD src1_sel:BYTE_1
	v_and_or_b32 v29, v30, s7, v29
	v_and_or_b32 v30, v36, s7, v31
	;; [unrolled: 1-line block ×4, first 2 shown]
	v_lshlrev_b32_e32 v29, 3, v29
	v_lshlrev_b32_e32 v30, 3, v30
	v_lshlrev_b32_e32 v27, 3, v27
	v_lshlrev_b32_e32 v28, 3, v28
	global_load_dword v39, v29, s[14:15]
	global_load_dword v40, v30, s[14:15]
	;; [unrolled: 1-line block ×4, first 2 shown]
	v_mov_b32_e32 v28, 0
	v_mov_b32_e32 v29, 0
	s_waitcnt vmcnt(8)
	v_dot4c_i32_i8_e32 v28, 0x1010101, v1
	v_dot4c_i32_i8_e32 v29, 0x1010101, v3
	;; [unrolled: 1-line block ×3, first 2 shown]
	s_waitcnt vmcnt(7)
	v_dot4c_i32_i8_e32 v29, 0x1010101, v4
	v_mov_b32_e32 v30, 0
	v_mov_b32_e32 v31, 0
	v_bfe_u32 v36, v34, 4, 4
	v_cvt_f32_i32_e32 v29, v29
	v_cvt_f32_i32_e32 v28, v28
	v_dot4c_i32_i8_e32 v30, 0x1010101, v5
	v_dot4c_i32_i8_e32 v31, 0x1010101, v7
	v_and_b32_sdwa v37, v34, v25 dst_sel:DWORD dst_unused:UNUSED_PAD src0_sel:BYTE_0 src1_sel:DWORD
	s_waitcnt vmcnt(5)
	v_pk_lshrrev_b16 v33, 4, v33
	v_and_b32_e32 v36, 8, v36
	v_dot4c_i32_i8_e32 v30, 0x1010101, v6
	v_dot4c_i32_i8_e32 v31, 0x1010101, v38
	v_pk_lshrrev_b16 v45, s9, v32
	v_cvt_f32_ubyte0_e32 v32, v37
	v_and_b32_e32 v46, 0xf0000f00, v33
	v_cvt_f32_ubyte0_e32 v33, v36
	v_lshrrev_b32_sdwa v44, v26, v34 dst_sel:DWORD dst_unused:UNUSED_PAD src0_sel:DWORD src1_sel:BYTE_1
	v_cvt_f32_i32_e32 v31, v31
	v_cvt_f32_i32_e32 v30, v30
	v_pk_fma_f32 v[32:33], v[32:33], s[12:13], v[14:15] op_sel_hi:[1,0,0] neg_lo:[1,0,0] neg_hi:[1,0,0]
	v_and_b32_sdwa v34, v34, v25 dst_sel:DWORD dst_unused:UNUSED_PAD src0_sel:BYTE_1 src1_sel:DWORD
	s_waitcnt vmcnt(4)
	v_lshrrev_b32_e32 v35, v23, v35
	v_and_b32_e32 v37, 8, v44
	v_pk_mul_f32 v[28:29], v[32:33], v[28:29]
	v_cvt_f32_ubyte0_e32 v34, v34
	v_lshlrev_b32_e32 v47, 1, v35
	v_lshrrev_b32_e32 v48, 2, v35
	v_cvt_f32_ubyte0_e32 v35, v37
	v_add_f32_e32 v28, 0, v28
	v_mov_b32_e32 v27, 0
	v_pk_fma_f32 v[34:35], v[34:35], s[12:13], v[14:15] op_sel_hi:[1,0,0] neg_lo:[1,0,0] neg_hi:[1,0,0]
	v_add_f32_e32 v28, v28, v29
	v_pk_mul_f32 v[30:31], v[34:35], v[30:31]
	v_lshrrev_b32_e32 v44, 16, v45
	v_bitop3_b16 v36, v44, v45, s16 bitop3:0xec
	v_lshrrev_b32_e32 v37, 16, v46
	v_bitop3_b16 v36, v36, v37, v46 bitop3:0xfe
	v_cvt_f32_f16_e32 v0, v0
	v_cvt_f32_f16_e32 v36, v36
	v_and_or_b32 v44, v47, 14, 1
	v_add_f32_e32 v30, 0, v30
	v_and_or_b32 v45, v48, 14, 1
	v_cvt_f32_ubyte0_e32 v37, v44
	v_cvt_f32_ubyte0_e32 v44, v45
	s_waitcnt vmcnt(3)
	v_and_b32_e32 v29, 0xf0f0f0f, v39
	v_lshrrev_b32_e32 v32, 4, v39
	s_waitcnt vmcnt(1)
	v_and_b32_e32 v35, 0xf0f0f0f, v41
	v_lshrrev_b32_e32 v39, 4, v41
	v_and_b32_e32 v32, 0xf0f0f0f, v32
	v_dot4c_i32_i8_e32 v27, v29, v1
	v_and_b32_e32 v33, 0xf0f0f0f, v40
	v_lshrrev_b32_e32 v34, 4, v40
	v_and_b32_e32 v29, 0xf0f0f0f, v39
	v_dot4c_i32_i8_e32 v43, v35, v5
	v_dot4c_i32_i8_e32 v27, v32, v2
	s_waitcnt vmcnt(0)
	v_and_b32_e32 v40, 0xf0f0f0f, v42
	v_lshrrev_b32_e32 v41, 4, v42
	v_and_b32_e32 v1, 0xf0f0f0f, v34
	v_dot4c_i32_i8_e32 v43, v29, v6
	v_dot4c_i32_i8_e32 v27, v33, v3
	v_and_b32_e32 v5, 0xf0f0f0f, v41
	v_dot4c_i32_i8_e32 v43, v40, v7
	v_dot4c_i32_i8_e32 v27, v1, v4
	;; [unrolled: 1-line block ×3, first 2 shown]
	v_add_f32_e32 v3, v30, v31
	s_nop 0
	v_cvt_f32_i32_e32 v1, v27
	v_cvt_f32_i32_e32 v2, v43
	v_add_f32_e32 v1, v28, v1
	v_add_f32_e32 v2, v3, v2
	v_pk_mul_f32 v[0:1], v[0:1], v[36:37]
	s_nop 0
	v_fma_f32 v1, v2, v44, v1
	v_fmac_f32_e32 v22, v0, v1
	s_andn2_b64 exec, exec, s[4:5]
	s_cbranch_execnz .LBB255_3
; %bb.4:
	s_or_b64 exec, exec, s[4:5]
.LBB255_5:
	s_or_b64 exec, exec, s[10:11]
	v_mbcnt_lo_u32_b32 v0, -1, 0
	v_mbcnt_hi_u32_b32 v1, -1, v0
	v_and_b32_e32 v0, 64, v1
	v_add_u32_e32 v2, 64, v0
	v_xor_b32_e32 v0, 32, v1
	v_cmp_lt_i32_e32 vcc, v0, v2
	v_xor_b32_e32 v3, 16, v1
	v_xor_b32_e32 v4, 8, v1
	v_cndmask_b32_e32 v0, v1, v0, vcc
	v_lshlrev_b32_e32 v0, 2, v0
	ds_bpermute_b32 v0, v0, v22
	v_cmp_lt_i32_e32 vcc, v3, v2
	s_waitcnt lgkmcnt(0)
	v_add_f32_e32 v0, v22, v0
	v_cndmask_b32_e32 v3, v1, v3, vcc
	v_lshlrev_b32_e32 v3, 2, v3
	ds_bpermute_b32 v3, v3, v0
	v_cmp_lt_i32_e32 vcc, v4, v2
	s_waitcnt lgkmcnt(0)
	v_add_f32_e32 v0, v0, v3
	v_cndmask_b32_e32 v3, v1, v4, vcc
	v_lshlrev_b32_e32 v3, 2, v3
	ds_bpermute_b32 v3, v3, v0
	v_xor_b32_e32 v4, 4, v1
	v_cmp_lt_i32_e32 vcc, v4, v2
	s_waitcnt lgkmcnt(0)
	v_add_f32_e32 v0, v0, v3
	v_cndmask_b32_e32 v3, v1, v4, vcc
	v_lshlrev_b32_e32 v3, 2, v3
	ds_bpermute_b32 v3, v3, v0
	v_xor_b32_e32 v4, 2, v1
	;; [unrolled: 7-line block ×3, first 2 shown]
	v_cmp_lt_i32_e32 vcc, v4, v2
	s_waitcnt lgkmcnt(0)
	v_add_f32_e32 v0, v0, v3
	v_cndmask_b32_e32 v1, v1, v4, vcc
	v_lshlrev_b32_e32 v1, 2, v1
	ds_bpermute_b32 v1, v1, v0
	v_cmp_eq_u32_e32 vcc, 0, v19
	s_and_b64 exec, exec, vcc
	s_cbranch_execz .LBB255_7
; %bb.6:
	s_mul_i32 s0, s6, s8
	s_waitcnt lgkmcnt(0)
	v_add_f32_e32 v2, v0, v1
	v_add_u32_e32 v0, s0, v18
	v_mov_b32_e32 v1, 0
	v_lshl_add_u64 v[0:1], v[0:1], 2, s[2:3]
	global_store_dword v[0:1], v2, off
.LBB255_7:
	s_endpgm
	.section	.rodata,"a",@progbits
	.p2align	6, 0x0
	.amdhsa_kernel _ZL9moe_vec_qIfLi256ELi8E11block_iq1_mLi1EXadL_ZL18vec_dot_iq1_m_q8_1PKvPK10block_q8_1RKiEEEvS2_S2_PT_PS6_iiii
		.amdhsa_group_segment_fixed_size 0
		.amdhsa_private_segment_fixed_size 0
		.amdhsa_kernarg_size 304
		.amdhsa_user_sgpr_count 2
		.amdhsa_user_sgpr_dispatch_ptr 0
		.amdhsa_user_sgpr_queue_ptr 0
		.amdhsa_user_sgpr_kernarg_segment_ptr 1
		.amdhsa_user_sgpr_dispatch_id 0
		.amdhsa_user_sgpr_kernarg_preload_length 0
		.amdhsa_user_sgpr_kernarg_preload_offset 0
		.amdhsa_user_sgpr_private_segment_size 0
		.amdhsa_uses_dynamic_stack 0
		.amdhsa_enable_private_segment 0
		.amdhsa_system_sgpr_workgroup_id_x 1
		.amdhsa_system_sgpr_workgroup_id_y 0
		.amdhsa_system_sgpr_workgroup_id_z 1
		.amdhsa_system_sgpr_workgroup_info 0
		.amdhsa_system_vgpr_workitem_id 1
		.amdhsa_next_free_vgpr 49
		.amdhsa_next_free_sgpr 20
		.amdhsa_accum_offset 52
		.amdhsa_reserve_vcc 1
		.amdhsa_float_round_mode_32 0
		.amdhsa_float_round_mode_16_64 0
		.amdhsa_float_denorm_mode_32 3
		.amdhsa_float_denorm_mode_16_64 3
		.amdhsa_dx10_clamp 1
		.amdhsa_ieee_mode 1
		.amdhsa_fp16_overflow 0
		.amdhsa_tg_split 0
		.amdhsa_exception_fp_ieee_invalid_op 0
		.amdhsa_exception_fp_denorm_src 0
		.amdhsa_exception_fp_ieee_div_zero 0
		.amdhsa_exception_fp_ieee_overflow 0
		.amdhsa_exception_fp_ieee_underflow 0
		.amdhsa_exception_fp_ieee_inexact 0
		.amdhsa_exception_int_div_zero 0
	.end_amdhsa_kernel
	.section	.text._ZL9moe_vec_qIfLi256ELi8E11block_iq1_mLi1EXadL_ZL18vec_dot_iq1_m_q8_1PKvPK10block_q8_1RKiEEEvS2_S2_PT_PS6_iiii,"axG",@progbits,_ZL9moe_vec_qIfLi256ELi8E11block_iq1_mLi1EXadL_ZL18vec_dot_iq1_m_q8_1PKvPK10block_q8_1RKiEEEvS2_S2_PT_PS6_iiii,comdat
.Lfunc_end255:
	.size	_ZL9moe_vec_qIfLi256ELi8E11block_iq1_mLi1EXadL_ZL18vec_dot_iq1_m_q8_1PKvPK10block_q8_1RKiEEEvS2_S2_PT_PS6_iiii, .Lfunc_end255-_ZL9moe_vec_qIfLi256ELi8E11block_iq1_mLi1EXadL_ZL18vec_dot_iq1_m_q8_1PKvPK10block_q8_1RKiEEEvS2_S2_PT_PS6_iiii
                                        ; -- End function
	.set _ZL9moe_vec_qIfLi256ELi8E11block_iq1_mLi1EXadL_ZL18vec_dot_iq1_m_q8_1PKvPK10block_q8_1RKiEEEvS2_S2_PT_PS6_iiii.num_vgpr, 49
	.set _ZL9moe_vec_qIfLi256ELi8E11block_iq1_mLi1EXadL_ZL18vec_dot_iq1_m_q8_1PKvPK10block_q8_1RKiEEEvS2_S2_PT_PS6_iiii.num_agpr, 0
	.set _ZL9moe_vec_qIfLi256ELi8E11block_iq1_mLi1EXadL_ZL18vec_dot_iq1_m_q8_1PKvPK10block_q8_1RKiEEEvS2_S2_PT_PS6_iiii.numbered_sgpr, 20
	.set _ZL9moe_vec_qIfLi256ELi8E11block_iq1_mLi1EXadL_ZL18vec_dot_iq1_m_q8_1PKvPK10block_q8_1RKiEEEvS2_S2_PT_PS6_iiii.num_named_barrier, 0
	.set _ZL9moe_vec_qIfLi256ELi8E11block_iq1_mLi1EXadL_ZL18vec_dot_iq1_m_q8_1PKvPK10block_q8_1RKiEEEvS2_S2_PT_PS6_iiii.private_seg_size, 0
	.set _ZL9moe_vec_qIfLi256ELi8E11block_iq1_mLi1EXadL_ZL18vec_dot_iq1_m_q8_1PKvPK10block_q8_1RKiEEEvS2_S2_PT_PS6_iiii.uses_vcc, 1
	.set _ZL9moe_vec_qIfLi256ELi8E11block_iq1_mLi1EXadL_ZL18vec_dot_iq1_m_q8_1PKvPK10block_q8_1RKiEEEvS2_S2_PT_PS6_iiii.uses_flat_scratch, 0
	.set _ZL9moe_vec_qIfLi256ELi8E11block_iq1_mLi1EXadL_ZL18vec_dot_iq1_m_q8_1PKvPK10block_q8_1RKiEEEvS2_S2_PT_PS6_iiii.has_dyn_sized_stack, 0
	.set _ZL9moe_vec_qIfLi256ELi8E11block_iq1_mLi1EXadL_ZL18vec_dot_iq1_m_q8_1PKvPK10block_q8_1RKiEEEvS2_S2_PT_PS6_iiii.has_recursion, 0
	.set _ZL9moe_vec_qIfLi256ELi8E11block_iq1_mLi1EXadL_ZL18vec_dot_iq1_m_q8_1PKvPK10block_q8_1RKiEEEvS2_S2_PT_PS6_iiii.has_indirect_call, 0
	.section	.AMDGPU.csdata,"",@progbits
; Kernel info:
; codeLenInByte = 1448
; TotalNumSgprs: 26
; NumVgprs: 49
; NumAgprs: 0
; TotalNumVgprs: 49
; ScratchSize: 0
; MemoryBound: 0
; FloatMode: 240
; IeeeMode: 1
; LDSByteSize: 0 bytes/workgroup (compile time only)
; SGPRBlocks: 3
; VGPRBlocks: 6
; NumSGPRsForWavesPerEU: 26
; NumVGPRsForWavesPerEU: 49
; AccumOffset: 52
; Occupancy: 8
; WaveLimiterHint : 1
; COMPUTE_PGM_RSRC2:SCRATCH_EN: 0
; COMPUTE_PGM_RSRC2:USER_SGPR: 2
; COMPUTE_PGM_RSRC2:TRAP_HANDLER: 0
; COMPUTE_PGM_RSRC2:TGID_X_EN: 1
; COMPUTE_PGM_RSRC2:TGID_Y_EN: 0
; COMPUTE_PGM_RSRC2:TGID_Z_EN: 1
; COMPUTE_PGM_RSRC2:TIDIG_COMP_CNT: 1
; COMPUTE_PGM_RSRC3_GFX90A:ACCUM_OFFSET: 12
; COMPUTE_PGM_RSRC3_GFX90A:TG_SPLIT: 0
	.section	.text._ZL9moe_vec_qIN3c104HalfELi32ELi4E10block_q4_0Li2EXadL_ZL17vec_dot_q4_0_q8_1PKvPK10block_q8_1RKiEEEvS4_S4_PT_PS8_iiii,"axG",@progbits,_ZL9moe_vec_qIN3c104HalfELi32ELi4E10block_q4_0Li2EXadL_ZL17vec_dot_q4_0_q8_1PKvPK10block_q8_1RKiEEEvS4_S4_PT_PS8_iiii,comdat
	.globl	_ZL9moe_vec_qIN3c104HalfELi32ELi4E10block_q4_0Li2EXadL_ZL17vec_dot_q4_0_q8_1PKvPK10block_q8_1RKiEEEvS4_S4_PT_PS8_iiii ; -- Begin function _ZL9moe_vec_qIN3c104HalfELi32ELi4E10block_q4_0Li2EXadL_ZL17vec_dot_q4_0_q8_1PKvPK10block_q8_1RKiEEEvS4_S4_PT_PS8_iiii
	.p2align	8
	.type	_ZL9moe_vec_qIN3c104HalfELi32ELi4E10block_q4_0Li2EXadL_ZL17vec_dot_q4_0_q8_1PKvPK10block_q8_1RKiEEEvS4_S4_PT_PS8_iiii,@function
_ZL9moe_vec_qIN3c104HalfELi32ELi4E10block_q4_0Li2EXadL_ZL17vec_dot_q4_0_q8_1PKvPK10block_q8_1RKiEEEvS4_S4_PT_PS8_iiii: ; @_ZL9moe_vec_qIN3c104HalfELi32ELi4E10block_q4_0Li2EXadL_ZL17vec_dot_q4_0_q8_1PKvPK10block_q8_1RKiEEEvS4_S4_PT_PS8_iiii
; %bb.0:
	s_mov_b32 s8, s3
	s_load_dword s3, s[0:1], 0x3c
	s_load_dwordx4 s[4:7], s[0:1], 0x20
	v_bfe_u32 v1, v0, 10, 10
	s_waitcnt lgkmcnt(0)
	s_lshr_b32 s3, s3, 16
	s_mul_i32 s2, s2, s3
	v_add_u32_e32 v4, s2, v1
	v_cmp_gt_u32_e32 vcc, s6, v4
	s_and_saveexec_b64 s[2:3], vcc
	s_cbranch_execz .LBB256_7
; %bb.1:
	v_cvt_f32_u32_e32 v1, s4
	v_and_b32_e32 v5, 0x3ff, v0
	v_bfe_u32 v6, v0, 1, 9
	s_load_dwordx2 s[2:3], s[0:1], 0x10
	v_rcp_iflag_f32_e32 v1, v1
	s_ashr_i32 s9, s5, 31
	s_lshr_b32 s9, s9, 27
	s_add_i32 s5, s5, s9
	v_mul_f32_e32 v0, 0x4f7ffffe, v1
	v_cvt_u32_f32_e32 v0, v0
	s_ashr_i32 s14, s5, 5
	v_cmp_gt_u32_e32 vcc, s14, v6
	v_mov_b32_e32 v7, 0
	v_readfirstlane_b32 s5, v0
	s_and_saveexec_b64 s[10:11], vcc
	s_cbranch_execz .LBB256_5
; %bb.2:
	s_sub_i32 s12, 0, s4
	s_mul_i32 s15, s12, s5
	s_load_dwordx4 s[16:19], s[0:1], 0x0
	s_load_dwordx2 s[12:13], s[0:1], 0x18
	s_mov_b32 s9, 0
	s_mul_hi_u32 s0, s5, s15
	s_add_i32 s5, s5, s0
	s_lshl_b64 s[0:1], s[8:9], 2
	s_waitcnt lgkmcnt(0)
	s_add_u32 s0, s12, s0
	s_mul_hi_u32 s5, s8, s5
	s_addc_u32 s1, s13, s1
	s_load_dword s0, s[0:1], 0x0
	s_mul_i32 s1, s5, s4
	s_sub_i32 s1, s8, s1
	s_add_i32 s12, s5, 1
	s_sub_i32 s13, s1, s4
	s_cmp_ge_u32 s1, s4
	s_cselect_b32 s5, s12, s5
	s_cselect_b32 s1, s13, s1
	s_add_i32 s12, s5, 1
	s_cmp_ge_u32 s1, s4
	s_mul_i32 s1, s14, s6
	s_waitcnt lgkmcnt(0)
	s_mul_i32 s0, s1, s0
	s_cselect_b32 s4, s12, s5
	s_mul_hi_i32 s1, s0, 18
	s_mul_i32 s0, s0, 18
	s_add_u32 s0, s16, s0
	s_mul_i32 s4, s4, s7
	s_mov_b32 s5, s9
	s_addc_u32 s1, s17, s1
	s_lshl_b64 s[4:5], s[4:5], 2
	s_add_u32 s4, s18, s4
	v_lshlrev_b32_e32 v0, 3, v5
	v_mov_b32_e32 v1, 0
	s_addc_u32 s5, s19, s5
	v_mul_lo_u32 v8, v4, s14
	v_and_b32_e32 v0, 8, v0
	s_mov_b64 s[12:13], 0
	v_mov_b32_e32 v3, 4.0
	v_mov_b32_e32 v7, v1
.LBB256_3:                              ; =>This Inner Loop Header: Depth=1
	v_add_u32_e32 v2, v8, v6
	v_mad_i64_i32 v[10:11], s[16:17], v6, 36, s[4:5]
	v_mad_i64_i32 v[12:13], s[16:17], v2, 18, s[0:1]
	v_lshl_add_u64 v[14:15], v[10:11], 0, v[0:1]
	v_lshl_add_u64 v[16:17], v[12:13], 0, v[0:1]
	global_load_dwordx2 v[18:19], v[14:15], off offset:4
	global_load_dwordx2 v[20:21], v[14:15], off offset:20
	;; [unrolled: 1-line block ×3, first 2 shown]
	global_load_dword v2, v[10:11], off
	global_load_ushort v9, v[12:13], off
	v_mov_b32_e32 v12, 0
	v_add_u32_e32 v6, 32, v6
	v_cmp_le_u32_e32 vcc, s14, v6
	s_or_b64 s[12:13], vcc, s[12:13]
	s_waitcnt vmcnt(2)
	v_lshrrev_b32_e32 v13, 4, v22
	s_waitcnt vmcnt(1)
	v_cvt_f32_f16_e32 v10, v2
	v_cvt_f32_f16_sdwa v11, v2 dst_sel:DWORD dst_unused:UNUSED_PAD src0_sel:WORD_1
	v_and_b32_e32 v2, 0xf0f0f0f, v22
	v_and_b32_e32 v13, 0xf0f0f0f, v13
	v_dot4c_i32_i8_e32 v12, v2, v18
	v_and_b32_e32 v14, 0xf0f0f0f, v23
	v_lshrrev_b32_e32 v15, 4, v23
	v_dot4c_i32_i8_e32 v12, v13, v20
	v_and_b32_e32 v2, 0xf0f0f0f, v15
	v_dot4c_i32_i8_e32 v12, v14, v19
	v_dot4c_i32_i8_e32 v12, v2, v21
	s_nop 2
	v_cvt_f32_i32_e32 v2, v12
	v_pk_mul_f32 v[10:11], v[2:3], v[10:11]
	s_nop 0
	v_sub_f32_e32 v2, v10, v11
	s_waitcnt vmcnt(0)
	v_fma_mix_f32 v7, v2, v9, v7 op_sel_hi:[0,1,0]
	s_andn2_b64 exec, exec, s[12:13]
	s_cbranch_execnz .LBB256_3
; %bb.4:
	s_or_b64 exec, exec, s[12:13]
.LBB256_5:
	s_or_b64 exec, exec, s[10:11]
	v_mbcnt_lo_u32_b32 v0, -1, 0
	v_mbcnt_hi_u32_b32 v1, -1, v0
	v_and_b32_e32 v0, 64, v1
	v_add_u32_e32 v2, 64, v0
	v_xor_b32_e32 v0, 32, v1
	v_cmp_lt_i32_e32 vcc, v0, v2
	v_xor_b32_e32 v3, 16, v1
	v_xor_b32_e32 v6, 8, v1
	v_cndmask_b32_e32 v0, v1, v0, vcc
	v_lshlrev_b32_e32 v0, 2, v0
	ds_bpermute_b32 v0, v0, v7
	v_cmp_lt_i32_e32 vcc, v3, v2
	s_waitcnt lgkmcnt(0)
	v_add_f32_e32 v0, v7, v0
	v_cndmask_b32_e32 v3, v1, v3, vcc
	v_lshlrev_b32_e32 v3, 2, v3
	ds_bpermute_b32 v3, v3, v0
	v_cmp_lt_i32_e32 vcc, v6, v2
	s_waitcnt lgkmcnt(0)
	v_add_f32_e32 v0, v0, v3
	v_cndmask_b32_e32 v3, v1, v6, vcc
	v_lshlrev_b32_e32 v3, 2, v3
	ds_bpermute_b32 v3, v3, v0
	v_xor_b32_e32 v6, 4, v1
	v_cmp_lt_i32_e32 vcc, v6, v2
	s_waitcnt lgkmcnt(0)
	v_add_f32_e32 v0, v0, v3
	v_cndmask_b32_e32 v3, v1, v6, vcc
	v_lshlrev_b32_e32 v3, 2, v3
	ds_bpermute_b32 v3, v3, v0
	v_xor_b32_e32 v6, 2, v1
	;; [unrolled: 7-line block ×3, first 2 shown]
	v_cmp_lt_i32_e32 vcc, v6, v2
	s_waitcnt lgkmcnt(0)
	v_add_f32_e32 v0, v0, v3
	v_cndmask_b32_e32 v1, v1, v6, vcc
	v_lshlrev_b32_e32 v1, 2, v1
	ds_bpermute_b32 v1, v1, v0
	v_cmp_eq_u32_e32 vcc, 0, v5
	s_and_b64 exec, exec, vcc
	s_cbranch_execz .LBB256_7
; %bb.6:
	s_waitcnt lgkmcnt(0)
	v_add_f32_e32 v0, v0, v1
	v_cvt_f16_f32_e32 v2, v0
	s_mul_i32 s0, s6, s8
	v_add_u32_e32 v0, s0, v4
	v_mov_b32_e32 v1, 0
	v_lshl_add_u64 v[0:1], v[0:1], 1, s[2:3]
	global_store_short v[0:1], v2, off
.LBB256_7:
	s_endpgm
	.section	.rodata,"a",@progbits
	.p2align	6, 0x0
	.amdhsa_kernel _ZL9moe_vec_qIN3c104HalfELi32ELi4E10block_q4_0Li2EXadL_ZL17vec_dot_q4_0_q8_1PKvPK10block_q8_1RKiEEEvS4_S4_PT_PS8_iiii
		.amdhsa_group_segment_fixed_size 0
		.amdhsa_private_segment_fixed_size 0
		.amdhsa_kernarg_size 304
		.amdhsa_user_sgpr_count 2
		.amdhsa_user_sgpr_dispatch_ptr 0
		.amdhsa_user_sgpr_queue_ptr 0
		.amdhsa_user_sgpr_kernarg_segment_ptr 1
		.amdhsa_user_sgpr_dispatch_id 0
		.amdhsa_user_sgpr_kernarg_preload_length 0
		.amdhsa_user_sgpr_kernarg_preload_offset 0
		.amdhsa_user_sgpr_private_segment_size 0
		.amdhsa_uses_dynamic_stack 0
		.amdhsa_enable_private_segment 0
		.amdhsa_system_sgpr_workgroup_id_x 1
		.amdhsa_system_sgpr_workgroup_id_y 0
		.amdhsa_system_sgpr_workgroup_id_z 1
		.amdhsa_system_sgpr_workgroup_info 0
		.amdhsa_system_vgpr_workitem_id 1
		.amdhsa_next_free_vgpr 24
		.amdhsa_next_free_sgpr 20
		.amdhsa_accum_offset 24
		.amdhsa_reserve_vcc 1
		.amdhsa_float_round_mode_32 0
		.amdhsa_float_round_mode_16_64 0
		.amdhsa_float_denorm_mode_32 3
		.amdhsa_float_denorm_mode_16_64 3
		.amdhsa_dx10_clamp 1
		.amdhsa_ieee_mode 1
		.amdhsa_fp16_overflow 0
		.amdhsa_tg_split 0
		.amdhsa_exception_fp_ieee_invalid_op 0
		.amdhsa_exception_fp_denorm_src 0
		.amdhsa_exception_fp_ieee_div_zero 0
		.amdhsa_exception_fp_ieee_overflow 0
		.amdhsa_exception_fp_ieee_underflow 0
		.amdhsa_exception_fp_ieee_inexact 0
		.amdhsa_exception_int_div_zero 0
	.end_amdhsa_kernel
	.section	.text._ZL9moe_vec_qIN3c104HalfELi32ELi4E10block_q4_0Li2EXadL_ZL17vec_dot_q4_0_q8_1PKvPK10block_q8_1RKiEEEvS4_S4_PT_PS8_iiii,"axG",@progbits,_ZL9moe_vec_qIN3c104HalfELi32ELi4E10block_q4_0Li2EXadL_ZL17vec_dot_q4_0_q8_1PKvPK10block_q8_1RKiEEEvS4_S4_PT_PS8_iiii,comdat
.Lfunc_end256:
	.size	_ZL9moe_vec_qIN3c104HalfELi32ELi4E10block_q4_0Li2EXadL_ZL17vec_dot_q4_0_q8_1PKvPK10block_q8_1RKiEEEvS4_S4_PT_PS8_iiii, .Lfunc_end256-_ZL9moe_vec_qIN3c104HalfELi32ELi4E10block_q4_0Li2EXadL_ZL17vec_dot_q4_0_q8_1PKvPK10block_q8_1RKiEEEvS4_S4_PT_PS8_iiii
                                        ; -- End function
	.set _ZL9moe_vec_qIN3c104HalfELi32ELi4E10block_q4_0Li2EXadL_ZL17vec_dot_q4_0_q8_1PKvPK10block_q8_1RKiEEEvS4_S4_PT_PS8_iiii.num_vgpr, 24
	.set _ZL9moe_vec_qIN3c104HalfELi32ELi4E10block_q4_0Li2EXadL_ZL17vec_dot_q4_0_q8_1PKvPK10block_q8_1RKiEEEvS4_S4_PT_PS8_iiii.num_agpr, 0
	.set _ZL9moe_vec_qIN3c104HalfELi32ELi4E10block_q4_0Li2EXadL_ZL17vec_dot_q4_0_q8_1PKvPK10block_q8_1RKiEEEvS4_S4_PT_PS8_iiii.numbered_sgpr, 20
	.set _ZL9moe_vec_qIN3c104HalfELi32ELi4E10block_q4_0Li2EXadL_ZL17vec_dot_q4_0_q8_1PKvPK10block_q8_1RKiEEEvS4_S4_PT_PS8_iiii.num_named_barrier, 0
	.set _ZL9moe_vec_qIN3c104HalfELi32ELi4E10block_q4_0Li2EXadL_ZL17vec_dot_q4_0_q8_1PKvPK10block_q8_1RKiEEEvS4_S4_PT_PS8_iiii.private_seg_size, 0
	.set _ZL9moe_vec_qIN3c104HalfELi32ELi4E10block_q4_0Li2EXadL_ZL17vec_dot_q4_0_q8_1PKvPK10block_q8_1RKiEEEvS4_S4_PT_PS8_iiii.uses_vcc, 1
	.set _ZL9moe_vec_qIN3c104HalfELi32ELi4E10block_q4_0Li2EXadL_ZL17vec_dot_q4_0_q8_1PKvPK10block_q8_1RKiEEEvS4_S4_PT_PS8_iiii.uses_flat_scratch, 0
	.set _ZL9moe_vec_qIN3c104HalfELi32ELi4E10block_q4_0Li2EXadL_ZL17vec_dot_q4_0_q8_1PKvPK10block_q8_1RKiEEEvS4_S4_PT_PS8_iiii.has_dyn_sized_stack, 0
	.set _ZL9moe_vec_qIN3c104HalfELi32ELi4E10block_q4_0Li2EXadL_ZL17vec_dot_q4_0_q8_1PKvPK10block_q8_1RKiEEEvS4_S4_PT_PS8_iiii.has_recursion, 0
	.set _ZL9moe_vec_qIN3c104HalfELi32ELi4E10block_q4_0Li2EXadL_ZL17vec_dot_q4_0_q8_1PKvPK10block_q8_1RKiEEEvS4_S4_PT_PS8_iiii.has_indirect_call, 0
	.section	.AMDGPU.csdata,"",@progbits
; Kernel info:
; codeLenInByte = 804
; TotalNumSgprs: 26
; NumVgprs: 24
; NumAgprs: 0
; TotalNumVgprs: 24
; ScratchSize: 0
; MemoryBound: 0
; FloatMode: 240
; IeeeMode: 1
; LDSByteSize: 0 bytes/workgroup (compile time only)
; SGPRBlocks: 3
; VGPRBlocks: 2
; NumSGPRsForWavesPerEU: 26
; NumVGPRsForWavesPerEU: 24
; AccumOffset: 24
; Occupancy: 8
; WaveLimiterHint : 1
; COMPUTE_PGM_RSRC2:SCRATCH_EN: 0
; COMPUTE_PGM_RSRC2:USER_SGPR: 2
; COMPUTE_PGM_RSRC2:TRAP_HANDLER: 0
; COMPUTE_PGM_RSRC2:TGID_X_EN: 1
; COMPUTE_PGM_RSRC2:TGID_Y_EN: 0
; COMPUTE_PGM_RSRC2:TGID_Z_EN: 1
; COMPUTE_PGM_RSRC2:TIDIG_COMP_CNT: 1
; COMPUTE_PGM_RSRC3_GFX90A:ACCUM_OFFSET: 5
; COMPUTE_PGM_RSRC3_GFX90A:TG_SPLIT: 0
	.section	.text._ZL9moe_vec_qIN3c104HalfELi32ELi4E10block_q4_1Li2EXadL_ZL17vec_dot_q4_1_q8_1PKvPK10block_q8_1RKiEEEvS4_S4_PT_PS8_iiii,"axG",@progbits,_ZL9moe_vec_qIN3c104HalfELi32ELi4E10block_q4_1Li2EXadL_ZL17vec_dot_q4_1_q8_1PKvPK10block_q8_1RKiEEEvS4_S4_PT_PS8_iiii,comdat
	.globl	_ZL9moe_vec_qIN3c104HalfELi32ELi4E10block_q4_1Li2EXadL_ZL17vec_dot_q4_1_q8_1PKvPK10block_q8_1RKiEEEvS4_S4_PT_PS8_iiii ; -- Begin function _ZL9moe_vec_qIN3c104HalfELi32ELi4E10block_q4_1Li2EXadL_ZL17vec_dot_q4_1_q8_1PKvPK10block_q8_1RKiEEEvS4_S4_PT_PS8_iiii
	.p2align	8
	.type	_ZL9moe_vec_qIN3c104HalfELi32ELi4E10block_q4_1Li2EXadL_ZL17vec_dot_q4_1_q8_1PKvPK10block_q8_1RKiEEEvS4_S4_PT_PS8_iiii,@function
_ZL9moe_vec_qIN3c104HalfELi32ELi4E10block_q4_1Li2EXadL_ZL17vec_dot_q4_1_q8_1PKvPK10block_q8_1RKiEEEvS4_S4_PT_PS8_iiii: ; @_ZL9moe_vec_qIN3c104HalfELi32ELi4E10block_q4_1Li2EXadL_ZL17vec_dot_q4_1_q8_1PKvPK10block_q8_1RKiEEEvS4_S4_PT_PS8_iiii
; %bb.0:
	s_mov_b32 s8, s3
	s_load_dword s3, s[0:1], 0x3c
	s_load_dwordx4 s[4:7], s[0:1], 0x20
	v_bfe_u32 v1, v0, 10, 10
	s_waitcnt lgkmcnt(0)
	s_lshr_b32 s3, s3, 16
	s_mul_i32 s2, s2, s3
	v_add_u32_e32 v4, s2, v1
	v_cmp_gt_u32_e32 vcc, s6, v4
	s_and_saveexec_b64 s[2:3], vcc
	s_cbranch_execz .LBB257_7
; %bb.1:
	v_cvt_f32_u32_e32 v1, s4
	v_and_b32_e32 v5, 0x3ff, v0
	v_bfe_u32 v6, v0, 1, 9
	s_load_dwordx2 s[2:3], s[0:1], 0x10
	v_rcp_iflag_f32_e32 v1, v1
	s_ashr_i32 s9, s5, 31
	s_lshr_b32 s9, s9, 27
	s_add_i32 s5, s5, s9
	v_mul_f32_e32 v0, 0x4f7ffffe, v1
	v_cvt_u32_f32_e32 v0, v0
	s_ashr_i32 s14, s5, 5
	v_cmp_gt_u32_e32 vcc, s14, v6
	v_mov_b32_e32 v7, 0
	v_readfirstlane_b32 s5, v0
	s_and_saveexec_b64 s[10:11], vcc
	s_cbranch_execz .LBB257_5
; %bb.2:
	s_sub_i32 s12, 0, s4
	s_mul_i32 s15, s12, s5
	s_load_dwordx4 s[16:19], s[0:1], 0x0
	s_load_dwordx2 s[12:13], s[0:1], 0x18
	s_mov_b32 s9, 0
	s_mul_hi_u32 s0, s5, s15
	s_add_i32 s5, s5, s0
	s_lshl_b64 s[0:1], s[8:9], 2
	s_waitcnt lgkmcnt(0)
	s_add_u32 s0, s12, s0
	s_mul_hi_u32 s5, s8, s5
	s_addc_u32 s1, s13, s1
	s_load_dword s0, s[0:1], 0x0
	s_mul_i32 s1, s5, s4
	s_sub_i32 s1, s8, s1
	s_add_i32 s12, s5, 1
	s_sub_i32 s13, s1, s4
	s_cmp_ge_u32 s1, s4
	s_cselect_b32 s5, s12, s5
	s_cselect_b32 s1, s13, s1
	s_add_i32 s12, s5, 1
	s_cmp_ge_u32 s1, s4
	s_mul_i32 s1, s14, s6
	s_waitcnt lgkmcnt(0)
	s_mul_i32 s0, s1, s0
	s_cselect_b32 s4, s12, s5
	s_mul_hi_i32 s1, s0, 20
	s_mul_i32 s0, s0, 20
	s_add_u32 s0, s16, s0
	s_mul_i32 s4, s4, s7
	s_mov_b32 s5, s9
	s_addc_u32 s1, s17, s1
	s_lshl_b64 s[4:5], s[4:5], 2
	s_add_u32 s4, s18, s4
	v_lshlrev_b32_e32 v0, 3, v5
	v_mov_b32_e32 v1, 0
	s_addc_u32 s5, s19, s5
	v_mul_lo_u32 v8, v4, s14
	v_and_b32_e32 v0, 8, v0
	s_mov_b64 s[12:13], 0
	v_mov_b32_e32 v3, 0.5
	v_mov_b32_e32 v7, v1
.LBB257_3:                              ; =>This Inner Loop Header: Depth=1
	v_add_u32_e32 v2, v8, v6
	v_mad_i64_i32 v[10:11], s[16:17], v6, 36, s[4:5]
	v_mad_i64_i32 v[12:13], s[16:17], v2, 20, s[0:1]
	v_lshl_add_u64 v[14:15], v[10:11], 0, v[0:1]
	global_load_dword v2, v[10:11], off
	v_lshl_add_u64 v[10:11], v[12:13], 0, v[0:1]
	global_load_dwordx2 v[16:17], v[14:15], off offset:4
	global_load_dwordx2 v[18:19], v[14:15], off offset:20
	;; [unrolled: 1-line block ×3, first 2 shown]
	global_load_dword v9, v[12:13], off
	v_mov_b32_e32 v12, 0
	v_add_u32_e32 v6, 32, v6
	v_cmp_le_u32_e32 vcc, s14, v6
	s_or_b64 s[12:13], vcc, s[12:13]
	s_waitcnt vmcnt(1)
	v_lshrrev_b32_e32 v13, 4, v20
	s_waitcnt vmcnt(0)
	v_pk_mul_f16 v2, v9, v2
	v_and_b32_e32 v9, 0xf0f0f0f, v20
	v_cvt_f32_f16_e32 v10, v2
	v_cvt_f32_f16_sdwa v11, v2 dst_sel:DWORD dst_unused:UNUSED_PAD src0_sel:WORD_1
	v_and_b32_e32 v2, 0xf0f0f0f, v13
	v_dot4c_i32_i8_e32 v12, v9, v16
	v_and_b32_e32 v14, 0xf0f0f0f, v21
	v_lshrrev_b32_e32 v15, 4, v21
	v_dot4c_i32_i8_e32 v12, v2, v18
	v_and_b32_e32 v9, 0xf0f0f0f, v15
	v_dot4c_i32_i8_e32 v12, v14, v17
	v_dot4c_i32_i8_e32 v12, v9, v19
	s_nop 2
	v_cvt_f32_i32_e32 v2, v12
	v_pk_mul_f32 v[10:11], v[2:3], v[10:11]
	s_nop 0
	v_add_f32_e32 v2, v11, v10
	v_add_f32_e32 v7, v7, v2
	s_andn2_b64 exec, exec, s[12:13]
	s_cbranch_execnz .LBB257_3
; %bb.4:
	s_or_b64 exec, exec, s[12:13]
.LBB257_5:
	s_or_b64 exec, exec, s[10:11]
	v_mbcnt_lo_u32_b32 v0, -1, 0
	v_mbcnt_hi_u32_b32 v1, -1, v0
	v_and_b32_e32 v0, 64, v1
	v_add_u32_e32 v2, 64, v0
	v_xor_b32_e32 v0, 32, v1
	v_cmp_lt_i32_e32 vcc, v0, v2
	v_xor_b32_e32 v3, 16, v1
	v_xor_b32_e32 v6, 8, v1
	v_cndmask_b32_e32 v0, v1, v0, vcc
	v_lshlrev_b32_e32 v0, 2, v0
	ds_bpermute_b32 v0, v0, v7
	v_cmp_lt_i32_e32 vcc, v3, v2
	s_waitcnt lgkmcnt(0)
	v_add_f32_e32 v0, v7, v0
	v_cndmask_b32_e32 v3, v1, v3, vcc
	v_lshlrev_b32_e32 v3, 2, v3
	ds_bpermute_b32 v3, v3, v0
	v_cmp_lt_i32_e32 vcc, v6, v2
	s_waitcnt lgkmcnt(0)
	v_add_f32_e32 v0, v0, v3
	v_cndmask_b32_e32 v3, v1, v6, vcc
	v_lshlrev_b32_e32 v3, 2, v3
	ds_bpermute_b32 v3, v3, v0
	v_xor_b32_e32 v6, 4, v1
	v_cmp_lt_i32_e32 vcc, v6, v2
	s_waitcnt lgkmcnt(0)
	v_add_f32_e32 v0, v0, v3
	v_cndmask_b32_e32 v3, v1, v6, vcc
	v_lshlrev_b32_e32 v3, 2, v3
	ds_bpermute_b32 v3, v3, v0
	v_xor_b32_e32 v6, 2, v1
	v_cmp_lt_i32_e32 vcc, v6, v2
	s_waitcnt lgkmcnt(0)
	v_add_f32_e32 v0, v0, v3
	v_cndmask_b32_e32 v3, v1, v6, vcc
	v_lshlrev_b32_e32 v3, 2, v3
	ds_bpermute_b32 v3, v3, v0
	v_xor_b32_e32 v6, 1, v1
	v_cmp_lt_i32_e32 vcc, v6, v2
	s_waitcnt lgkmcnt(0)
	v_add_f32_e32 v0, v0, v3
	v_cndmask_b32_e32 v1, v1, v6, vcc
	v_lshlrev_b32_e32 v1, 2, v1
	ds_bpermute_b32 v1, v1, v0
	v_cmp_eq_u32_e32 vcc, 0, v5
	s_and_b64 exec, exec, vcc
	s_cbranch_execz .LBB257_7
; %bb.6:
	s_waitcnt lgkmcnt(0)
	v_add_f32_e32 v0, v0, v1
	v_cvt_f16_f32_e32 v2, v0
	s_mul_i32 s0, s6, s8
	v_add_u32_e32 v0, s0, v4
	v_mov_b32_e32 v1, 0
	v_lshl_add_u64 v[0:1], v[0:1], 1, s[2:3]
	global_store_short v[0:1], v2, off
.LBB257_7:
	s_endpgm
	.section	.rodata,"a",@progbits
	.p2align	6, 0x0
	.amdhsa_kernel _ZL9moe_vec_qIN3c104HalfELi32ELi4E10block_q4_1Li2EXadL_ZL17vec_dot_q4_1_q8_1PKvPK10block_q8_1RKiEEEvS4_S4_PT_PS8_iiii
		.amdhsa_group_segment_fixed_size 0
		.amdhsa_private_segment_fixed_size 0
		.amdhsa_kernarg_size 304
		.amdhsa_user_sgpr_count 2
		.amdhsa_user_sgpr_dispatch_ptr 0
		.amdhsa_user_sgpr_queue_ptr 0
		.amdhsa_user_sgpr_kernarg_segment_ptr 1
		.amdhsa_user_sgpr_dispatch_id 0
		.amdhsa_user_sgpr_kernarg_preload_length 0
		.amdhsa_user_sgpr_kernarg_preload_offset 0
		.amdhsa_user_sgpr_private_segment_size 0
		.amdhsa_uses_dynamic_stack 0
		.amdhsa_enable_private_segment 0
		.amdhsa_system_sgpr_workgroup_id_x 1
		.amdhsa_system_sgpr_workgroup_id_y 0
		.amdhsa_system_sgpr_workgroup_id_z 1
		.amdhsa_system_sgpr_workgroup_info 0
		.amdhsa_system_vgpr_workitem_id 1
		.amdhsa_next_free_vgpr 22
		.amdhsa_next_free_sgpr 20
		.amdhsa_accum_offset 24
		.amdhsa_reserve_vcc 1
		.amdhsa_float_round_mode_32 0
		.amdhsa_float_round_mode_16_64 0
		.amdhsa_float_denorm_mode_32 3
		.amdhsa_float_denorm_mode_16_64 3
		.amdhsa_dx10_clamp 1
		.amdhsa_ieee_mode 1
		.amdhsa_fp16_overflow 0
		.amdhsa_tg_split 0
		.amdhsa_exception_fp_ieee_invalid_op 0
		.amdhsa_exception_fp_denorm_src 0
		.amdhsa_exception_fp_ieee_div_zero 0
		.amdhsa_exception_fp_ieee_overflow 0
		.amdhsa_exception_fp_ieee_underflow 0
		.amdhsa_exception_fp_ieee_inexact 0
		.amdhsa_exception_int_div_zero 0
	.end_amdhsa_kernel
	.section	.text._ZL9moe_vec_qIN3c104HalfELi32ELi4E10block_q4_1Li2EXadL_ZL17vec_dot_q4_1_q8_1PKvPK10block_q8_1RKiEEEvS4_S4_PT_PS8_iiii,"axG",@progbits,_ZL9moe_vec_qIN3c104HalfELi32ELi4E10block_q4_1Li2EXadL_ZL17vec_dot_q4_1_q8_1PKvPK10block_q8_1RKiEEEvS4_S4_PT_PS8_iiii,comdat
.Lfunc_end257:
	.size	_ZL9moe_vec_qIN3c104HalfELi32ELi4E10block_q4_1Li2EXadL_ZL17vec_dot_q4_1_q8_1PKvPK10block_q8_1RKiEEEvS4_S4_PT_PS8_iiii, .Lfunc_end257-_ZL9moe_vec_qIN3c104HalfELi32ELi4E10block_q4_1Li2EXadL_ZL17vec_dot_q4_1_q8_1PKvPK10block_q8_1RKiEEEvS4_S4_PT_PS8_iiii
                                        ; -- End function
	.set _ZL9moe_vec_qIN3c104HalfELi32ELi4E10block_q4_1Li2EXadL_ZL17vec_dot_q4_1_q8_1PKvPK10block_q8_1RKiEEEvS4_S4_PT_PS8_iiii.num_vgpr, 22
	.set _ZL9moe_vec_qIN3c104HalfELi32ELi4E10block_q4_1Li2EXadL_ZL17vec_dot_q4_1_q8_1PKvPK10block_q8_1RKiEEEvS4_S4_PT_PS8_iiii.num_agpr, 0
	.set _ZL9moe_vec_qIN3c104HalfELi32ELi4E10block_q4_1Li2EXadL_ZL17vec_dot_q4_1_q8_1PKvPK10block_q8_1RKiEEEvS4_S4_PT_PS8_iiii.numbered_sgpr, 20
	.set _ZL9moe_vec_qIN3c104HalfELi32ELi4E10block_q4_1Li2EXadL_ZL17vec_dot_q4_1_q8_1PKvPK10block_q8_1RKiEEEvS4_S4_PT_PS8_iiii.num_named_barrier, 0
	.set _ZL9moe_vec_qIN3c104HalfELi32ELi4E10block_q4_1Li2EXadL_ZL17vec_dot_q4_1_q8_1PKvPK10block_q8_1RKiEEEvS4_S4_PT_PS8_iiii.private_seg_size, 0
	.set _ZL9moe_vec_qIN3c104HalfELi32ELi4E10block_q4_1Li2EXadL_ZL17vec_dot_q4_1_q8_1PKvPK10block_q8_1RKiEEEvS4_S4_PT_PS8_iiii.uses_vcc, 1
	.set _ZL9moe_vec_qIN3c104HalfELi32ELi4E10block_q4_1Li2EXadL_ZL17vec_dot_q4_1_q8_1PKvPK10block_q8_1RKiEEEvS4_S4_PT_PS8_iiii.uses_flat_scratch, 0
	.set _ZL9moe_vec_qIN3c104HalfELi32ELi4E10block_q4_1Li2EXadL_ZL17vec_dot_q4_1_q8_1PKvPK10block_q8_1RKiEEEvS4_S4_PT_PS8_iiii.has_dyn_sized_stack, 0
	.set _ZL9moe_vec_qIN3c104HalfELi32ELi4E10block_q4_1Li2EXadL_ZL17vec_dot_q4_1_q8_1PKvPK10block_q8_1RKiEEEvS4_S4_PT_PS8_iiii.has_recursion, 0
	.set _ZL9moe_vec_qIN3c104HalfELi32ELi4E10block_q4_1Li2EXadL_ZL17vec_dot_q4_1_q8_1PKvPK10block_q8_1RKiEEEvS4_S4_PT_PS8_iiii.has_indirect_call, 0
	.section	.AMDGPU.csdata,"",@progbits
; Kernel info:
; codeLenInByte = 804
; TotalNumSgprs: 26
; NumVgprs: 22
; NumAgprs: 0
; TotalNumVgprs: 22
; ScratchSize: 0
; MemoryBound: 0
; FloatMode: 240
; IeeeMode: 1
; LDSByteSize: 0 bytes/workgroup (compile time only)
; SGPRBlocks: 3
; VGPRBlocks: 2
; NumSGPRsForWavesPerEU: 26
; NumVGPRsForWavesPerEU: 22
; AccumOffset: 24
; Occupancy: 8
; WaveLimiterHint : 1
; COMPUTE_PGM_RSRC2:SCRATCH_EN: 0
; COMPUTE_PGM_RSRC2:USER_SGPR: 2
; COMPUTE_PGM_RSRC2:TRAP_HANDLER: 0
; COMPUTE_PGM_RSRC2:TGID_X_EN: 1
; COMPUTE_PGM_RSRC2:TGID_Y_EN: 0
; COMPUTE_PGM_RSRC2:TGID_Z_EN: 1
; COMPUTE_PGM_RSRC2:TIDIG_COMP_CNT: 1
; COMPUTE_PGM_RSRC3_GFX90A:ACCUM_OFFSET: 5
; COMPUTE_PGM_RSRC3_GFX90A:TG_SPLIT: 0
	.section	.text._ZL9moe_vec_qIN3c104HalfELi32ELi4E10block_q5_0Li2EXadL_ZL17vec_dot_q5_0_q8_1PKvPK10block_q8_1RKiEEEvS4_S4_PT_PS8_iiii,"axG",@progbits,_ZL9moe_vec_qIN3c104HalfELi32ELi4E10block_q5_0Li2EXadL_ZL17vec_dot_q5_0_q8_1PKvPK10block_q8_1RKiEEEvS4_S4_PT_PS8_iiii,comdat
	.globl	_ZL9moe_vec_qIN3c104HalfELi32ELi4E10block_q5_0Li2EXadL_ZL17vec_dot_q5_0_q8_1PKvPK10block_q8_1RKiEEEvS4_S4_PT_PS8_iiii ; -- Begin function _ZL9moe_vec_qIN3c104HalfELi32ELi4E10block_q5_0Li2EXadL_ZL17vec_dot_q5_0_q8_1PKvPK10block_q8_1RKiEEEvS4_S4_PT_PS8_iiii
	.p2align	8
	.type	_ZL9moe_vec_qIN3c104HalfELi32ELi4E10block_q5_0Li2EXadL_ZL17vec_dot_q5_0_q8_1PKvPK10block_q8_1RKiEEEvS4_S4_PT_PS8_iiii,@function
_ZL9moe_vec_qIN3c104HalfELi32ELi4E10block_q5_0Li2EXadL_ZL17vec_dot_q5_0_q8_1PKvPK10block_q8_1RKiEEEvS4_S4_PT_PS8_iiii: ; @_ZL9moe_vec_qIN3c104HalfELi32ELi4E10block_q5_0Li2EXadL_ZL17vec_dot_q5_0_q8_1PKvPK10block_q8_1RKiEEEvS4_S4_PT_PS8_iiii
; %bb.0:
	s_mov_b32 s8, s3
	s_load_dword s3, s[0:1], 0x3c
	s_load_dwordx4 s[4:7], s[0:1], 0x20
	v_bfe_u32 v1, v0, 10, 10
	s_waitcnt lgkmcnt(0)
	s_lshr_b32 s3, s3, 16
	s_mul_i32 s2, s2, s3
	v_add_u32_e32 v4, s2, v1
	v_cmp_gt_u32_e32 vcc, s6, v4
	s_and_saveexec_b64 s[2:3], vcc
	s_cbranch_execz .LBB258_7
; %bb.1:
	v_cvt_f32_u32_e32 v1, s4
	v_and_b32_e32 v5, 0x3ff, v0
	v_bfe_u32 v6, v0, 1, 9
	s_load_dwordx2 s[2:3], s[0:1], 0x10
	v_rcp_iflag_f32_e32 v1, v1
	s_ashr_i32 s9, s5, 31
	s_lshr_b32 s9, s9, 27
	s_add_i32 s5, s5, s9
	v_mul_f32_e32 v0, 0x4f7ffffe, v1
	v_cvt_u32_f32_e32 v0, v0
	s_ashr_i32 s14, s5, 5
	v_cmp_gt_u32_e32 vcc, s14, v6
	v_mov_b32_e32 v7, 0
	v_readfirstlane_b32 s5, v0
	s_and_saveexec_b64 s[10:11], vcc
	s_cbranch_execz .LBB258_5
; %bb.2:
	s_sub_i32 s12, 0, s4
	s_mul_i32 s15, s12, s5
	s_load_dwordx4 s[16:19], s[0:1], 0x0
	s_load_dwordx2 s[12:13], s[0:1], 0x18
	s_mov_b32 s9, 0
	s_mul_hi_u32 s0, s5, s15
	s_add_i32 s5, s5, s0
	s_lshl_b64 s[0:1], s[8:9], 2
	s_waitcnt lgkmcnt(0)
	s_add_u32 s0, s12, s0
	s_mul_hi_u32 s5, s8, s5
	s_addc_u32 s1, s13, s1
	s_load_dword s0, s[0:1], 0x0
	s_mul_i32 s1, s5, s4
	s_sub_i32 s1, s8, s1
	s_add_i32 s12, s5, 1
	s_sub_i32 s13, s1, s4
	s_cmp_ge_u32 s1, s4
	s_cselect_b32 s5, s12, s5
	s_cselect_b32 s1, s13, s1
	s_add_i32 s12, s5, 1
	s_cmp_ge_u32 s1, s4
	s_mul_i32 s1, s14, s6
	s_waitcnt lgkmcnt(0)
	s_mul_i32 s0, s1, s0
	s_cselect_b32 s4, s12, s5
	s_mul_hi_i32 s1, s0, 22
	s_mul_i32 s0, s0, 22
	s_add_u32 s0, s16, s0
	s_mul_i32 s4, s4, s7
	s_mov_b32 s5, s9
	s_addc_u32 s1, s17, s1
	s_lshl_b64 s[4:5], s[4:5], 2
	v_lshlrev_b32_e32 v0, 3, v5
	s_add_u32 s4, s18, s4
	v_and_b32_e32 v0, 8, v0
	v_mov_b32_e32 v1, 0
	s_addc_u32 s5, s19, s5
	v_mul_lo_u32 v8, v4, s14
	v_or_b32_e32 v9, 4, v0
	s_mov_b64 s[12:13], 0
	v_mov_b32_e32 v3, 0x41000000
	v_mov_b32_e32 v7, v1
.LBB258_3:                              ; =>This Inner Loop Header: Depth=1
	v_add_u32_e32 v2, v8, v6
	v_mad_i64_i32 v[12:13], s[16:17], v2, 22, s[0:1]
	global_load_dword v2, v[12:13], off offset:2
	v_mad_i64_i32 v[10:11], s[16:17], v6, 36, s[4:5]
	v_lshl_add_u64 v[14:15], v[10:11], 0, v[0:1]
	v_lshl_add_u64 v[16:17], v[12:13], 0, v[0:1]
	global_load_dwordx2 v[18:19], v[14:15], off offset:4
	global_load_dwordx2 v[20:21], v[14:15], off offset:20
	;; [unrolled: 1-line block ×3, first 2 shown]
	global_load_dword v24, v[10:11], off
	global_load_ushort v25, v[12:13], off
	v_mov_b32_e32 v12, 0
	v_add_u32_e32 v6, 32, v6
	v_cmp_le_u32_e32 vcc, s14, v6
	s_or_b64 s[12:13], vcc, s[12:13]
	s_waitcnt vmcnt(5)
	v_ashrrev_i32_e32 v13, v0, v2
	v_lshlrev_b32_e32 v15, 4, v13
	v_lshlrev_b32_e32 v16, 11, v13
	v_ashrrev_i32_e32 v2, v9, v2
	s_waitcnt vmcnt(1)
	v_cvt_f32_f16_e32 v10, v24
	v_cvt_f32_f16_sdwa v11, v24 dst_sel:DWORD dst_unused:UNUSED_PAD src0_sel:WORD_1
	v_and_b32_e32 v14, 0xf0f0f0f, v22
	v_lshlrev_b32_e32 v17, 18, v13
	v_lshlrev_b32_e32 v24, 25, v13
	v_lshrrev_b32_e32 v26, 12, v13
	v_lshrrev_b32_e32 v27, 5, v13
	v_lshlrev_b32_e32 v28, 2, v13
	v_and_b32_e32 v15, 16, v15
	v_and_b32_e32 v16, 0x1000, v16
	v_lshrrev_b32_e32 v22, 4, v22
	v_lshlrev_b32_e32 v13, 9, v13
	v_lshlrev_b32_e32 v30, 4, v2
	;; [unrolled: 1-line block ×4, first 2 shown]
	v_and_b32_e32 v17, 0x100000, v17
	v_and_b32_e32 v24, 0x10000000, v24
	v_and_b32_e32 v26, 16, v26
	v_and_b32_e32 v27, 0x1000, v27
	v_and_b32_e32 v28, 0x100000, v28
	v_or3_b32 v14, v15, v14, v16
	v_lshlrev_b32_e32 v33, 25, v2
	v_lshrrev_b32_e32 v34, 12, v2
	v_lshrrev_b32_e32 v35, 5, v2
	v_lshlrev_b32_e32 v36, 2, v2
	v_and_b32_e32 v22, 0xf0f0f0f, v22
	v_and_b32_e32 v13, 0x10000000, v13
	;; [unrolled: 1-line block ×5, first 2 shown]
	v_or3_b32 v15, v27, v26, v28
	v_or3_b32 v14, v14, v17, v24
	v_and_b32_e32 v29, 0xf0f0f0f, v23
	v_lshrrev_b32_e32 v23, 4, v23
	v_lshlrev_b32_e32 v2, 9, v2
	v_and_b32_e32 v33, 0x10000000, v33
	v_and_b32_e32 v34, 16, v34
	;; [unrolled: 1-line block ×4, first 2 shown]
	v_or3_b32 v16, v31, v30, v32
	v_or3_b32 v13, v15, v13, v22
	v_dot4c_i32_i8_e32 v12, v14, v18
	v_and_b32_e32 v23, 0xf0f0f0f, v23
	v_and_b32_e32 v2, 0x10000000, v2
	v_or3_b32 v26, v35, v34, v36
	v_or3_b32 v15, v16, v33, v29
	v_dot4c_i32_i8_e32 v12, v13, v20
	v_or3_b32 v2, v26, v2, v23
	v_dot4c_i32_i8_e32 v12, v15, v19
	v_dot4c_i32_i8_e32 v12, v2, v21
	s_nop 2
	v_cvt_f32_i32_e32 v2, v12
	v_pk_mul_f32 v[10:11], v[2:3], v[10:11]
	s_nop 0
	v_sub_f32_e32 v2, v10, v11
	s_waitcnt vmcnt(0)
	v_fma_mix_f32 v7, v2, v25, v7 op_sel_hi:[0,1,0]
	s_andn2_b64 exec, exec, s[12:13]
	s_cbranch_execnz .LBB258_3
; %bb.4:
	s_or_b64 exec, exec, s[12:13]
.LBB258_5:
	s_or_b64 exec, exec, s[10:11]
	v_mbcnt_lo_u32_b32 v0, -1, 0
	v_mbcnt_hi_u32_b32 v1, -1, v0
	v_and_b32_e32 v0, 64, v1
	v_add_u32_e32 v2, 64, v0
	v_xor_b32_e32 v0, 32, v1
	v_cmp_lt_i32_e32 vcc, v0, v2
	v_xor_b32_e32 v3, 16, v1
	v_xor_b32_e32 v6, 8, v1
	v_cndmask_b32_e32 v0, v1, v0, vcc
	v_lshlrev_b32_e32 v0, 2, v0
	ds_bpermute_b32 v0, v0, v7
	v_cmp_lt_i32_e32 vcc, v3, v2
	s_waitcnt lgkmcnt(0)
	v_add_f32_e32 v0, v7, v0
	v_cndmask_b32_e32 v3, v1, v3, vcc
	v_lshlrev_b32_e32 v3, 2, v3
	ds_bpermute_b32 v3, v3, v0
	v_cmp_lt_i32_e32 vcc, v6, v2
	s_waitcnt lgkmcnt(0)
	v_add_f32_e32 v0, v0, v3
	v_cndmask_b32_e32 v3, v1, v6, vcc
	v_lshlrev_b32_e32 v3, 2, v3
	ds_bpermute_b32 v3, v3, v0
	v_xor_b32_e32 v6, 4, v1
	v_cmp_lt_i32_e32 vcc, v6, v2
	s_waitcnt lgkmcnt(0)
	v_add_f32_e32 v0, v0, v3
	v_cndmask_b32_e32 v3, v1, v6, vcc
	v_lshlrev_b32_e32 v3, 2, v3
	ds_bpermute_b32 v3, v3, v0
	v_xor_b32_e32 v6, 2, v1
	;; [unrolled: 7-line block ×3, first 2 shown]
	v_cmp_lt_i32_e32 vcc, v6, v2
	s_waitcnt lgkmcnt(0)
	v_add_f32_e32 v0, v0, v3
	v_cndmask_b32_e32 v1, v1, v6, vcc
	v_lshlrev_b32_e32 v1, 2, v1
	ds_bpermute_b32 v1, v1, v0
	v_cmp_eq_u32_e32 vcc, 0, v5
	s_and_b64 exec, exec, vcc
	s_cbranch_execz .LBB258_7
; %bb.6:
	s_waitcnt lgkmcnt(0)
	v_add_f32_e32 v0, v0, v1
	v_cvt_f16_f32_e32 v2, v0
	s_mul_i32 s0, s6, s8
	v_add_u32_e32 v0, s0, v4
	v_mov_b32_e32 v1, 0
	v_lshl_add_u64 v[0:1], v[0:1], 1, s[2:3]
	global_store_short v[0:1], v2, off
.LBB258_7:
	s_endpgm
	.section	.rodata,"a",@progbits
	.p2align	6, 0x0
	.amdhsa_kernel _ZL9moe_vec_qIN3c104HalfELi32ELi4E10block_q5_0Li2EXadL_ZL17vec_dot_q5_0_q8_1PKvPK10block_q8_1RKiEEEvS4_S4_PT_PS8_iiii
		.amdhsa_group_segment_fixed_size 0
		.amdhsa_private_segment_fixed_size 0
		.amdhsa_kernarg_size 304
		.amdhsa_user_sgpr_count 2
		.amdhsa_user_sgpr_dispatch_ptr 0
		.amdhsa_user_sgpr_queue_ptr 0
		.amdhsa_user_sgpr_kernarg_segment_ptr 1
		.amdhsa_user_sgpr_dispatch_id 0
		.amdhsa_user_sgpr_kernarg_preload_length 0
		.amdhsa_user_sgpr_kernarg_preload_offset 0
		.amdhsa_user_sgpr_private_segment_size 0
		.amdhsa_uses_dynamic_stack 0
		.amdhsa_enable_private_segment 0
		.amdhsa_system_sgpr_workgroup_id_x 1
		.amdhsa_system_sgpr_workgroup_id_y 0
		.amdhsa_system_sgpr_workgroup_id_z 1
		.amdhsa_system_sgpr_workgroup_info 0
		.amdhsa_system_vgpr_workitem_id 1
		.amdhsa_next_free_vgpr 37
		.amdhsa_next_free_sgpr 20
		.amdhsa_accum_offset 40
		.amdhsa_reserve_vcc 1
		.amdhsa_float_round_mode_32 0
		.amdhsa_float_round_mode_16_64 0
		.amdhsa_float_denorm_mode_32 3
		.amdhsa_float_denorm_mode_16_64 3
		.amdhsa_dx10_clamp 1
		.amdhsa_ieee_mode 1
		.amdhsa_fp16_overflow 0
		.amdhsa_tg_split 0
		.amdhsa_exception_fp_ieee_invalid_op 0
		.amdhsa_exception_fp_denorm_src 0
		.amdhsa_exception_fp_ieee_div_zero 0
		.amdhsa_exception_fp_ieee_overflow 0
		.amdhsa_exception_fp_ieee_underflow 0
		.amdhsa_exception_fp_ieee_inexact 0
		.amdhsa_exception_int_div_zero 0
	.end_amdhsa_kernel
	.section	.text._ZL9moe_vec_qIN3c104HalfELi32ELi4E10block_q5_0Li2EXadL_ZL17vec_dot_q5_0_q8_1PKvPK10block_q8_1RKiEEEvS4_S4_PT_PS8_iiii,"axG",@progbits,_ZL9moe_vec_qIN3c104HalfELi32ELi4E10block_q5_0Li2EXadL_ZL17vec_dot_q5_0_q8_1PKvPK10block_q8_1RKiEEEvS4_S4_PT_PS8_iiii,comdat
.Lfunc_end258:
	.size	_ZL9moe_vec_qIN3c104HalfELi32ELi4E10block_q5_0Li2EXadL_ZL17vec_dot_q5_0_q8_1PKvPK10block_q8_1RKiEEEvS4_S4_PT_PS8_iiii, .Lfunc_end258-_ZL9moe_vec_qIN3c104HalfELi32ELi4E10block_q5_0Li2EXadL_ZL17vec_dot_q5_0_q8_1PKvPK10block_q8_1RKiEEEvS4_S4_PT_PS8_iiii
                                        ; -- End function
	.set _ZL9moe_vec_qIN3c104HalfELi32ELi4E10block_q5_0Li2EXadL_ZL17vec_dot_q5_0_q8_1PKvPK10block_q8_1RKiEEEvS4_S4_PT_PS8_iiii.num_vgpr, 37
	.set _ZL9moe_vec_qIN3c104HalfELi32ELi4E10block_q5_0Li2EXadL_ZL17vec_dot_q5_0_q8_1PKvPK10block_q8_1RKiEEEvS4_S4_PT_PS8_iiii.num_agpr, 0
	.set _ZL9moe_vec_qIN3c104HalfELi32ELi4E10block_q5_0Li2EXadL_ZL17vec_dot_q5_0_q8_1PKvPK10block_q8_1RKiEEEvS4_S4_PT_PS8_iiii.numbered_sgpr, 20
	.set _ZL9moe_vec_qIN3c104HalfELi32ELi4E10block_q5_0Li2EXadL_ZL17vec_dot_q5_0_q8_1PKvPK10block_q8_1RKiEEEvS4_S4_PT_PS8_iiii.num_named_barrier, 0
	.set _ZL9moe_vec_qIN3c104HalfELi32ELi4E10block_q5_0Li2EXadL_ZL17vec_dot_q5_0_q8_1PKvPK10block_q8_1RKiEEEvS4_S4_PT_PS8_iiii.private_seg_size, 0
	.set _ZL9moe_vec_qIN3c104HalfELi32ELi4E10block_q5_0Li2EXadL_ZL17vec_dot_q5_0_q8_1PKvPK10block_q8_1RKiEEEvS4_S4_PT_PS8_iiii.uses_vcc, 1
	.set _ZL9moe_vec_qIN3c104HalfELi32ELi4E10block_q5_0Li2EXadL_ZL17vec_dot_q5_0_q8_1PKvPK10block_q8_1RKiEEEvS4_S4_PT_PS8_iiii.uses_flat_scratch, 0
	.set _ZL9moe_vec_qIN3c104HalfELi32ELi4E10block_q5_0Li2EXadL_ZL17vec_dot_q5_0_q8_1PKvPK10block_q8_1RKiEEEvS4_S4_PT_PS8_iiii.has_dyn_sized_stack, 0
	.set _ZL9moe_vec_qIN3c104HalfELi32ELi4E10block_q5_0Li2EXadL_ZL17vec_dot_q5_0_q8_1PKvPK10block_q8_1RKiEEEvS4_S4_PT_PS8_iiii.has_recursion, 0
	.set _ZL9moe_vec_qIN3c104HalfELi32ELi4E10block_q5_0Li2EXadL_ZL17vec_dot_q5_0_q8_1PKvPK10block_q8_1RKiEEEvS4_S4_PT_PS8_iiii.has_indirect_call, 0
	.section	.AMDGPU.csdata,"",@progbits
; Kernel info:
; codeLenInByte = 1068
; TotalNumSgprs: 26
; NumVgprs: 37
; NumAgprs: 0
; TotalNumVgprs: 37
; ScratchSize: 0
; MemoryBound: 0
; FloatMode: 240
; IeeeMode: 1
; LDSByteSize: 0 bytes/workgroup (compile time only)
; SGPRBlocks: 3
; VGPRBlocks: 4
; NumSGPRsForWavesPerEU: 26
; NumVGPRsForWavesPerEU: 37
; AccumOffset: 40
; Occupancy: 8
; WaveLimiterHint : 1
; COMPUTE_PGM_RSRC2:SCRATCH_EN: 0
; COMPUTE_PGM_RSRC2:USER_SGPR: 2
; COMPUTE_PGM_RSRC2:TRAP_HANDLER: 0
; COMPUTE_PGM_RSRC2:TGID_X_EN: 1
; COMPUTE_PGM_RSRC2:TGID_Y_EN: 0
; COMPUTE_PGM_RSRC2:TGID_Z_EN: 1
; COMPUTE_PGM_RSRC2:TIDIG_COMP_CNT: 1
; COMPUTE_PGM_RSRC3_GFX90A:ACCUM_OFFSET: 9
; COMPUTE_PGM_RSRC3_GFX90A:TG_SPLIT: 0
	.section	.text._ZL9moe_vec_qIN3c104HalfELi32ELi4E10block_q5_1Li2EXadL_ZL17vec_dot_q5_1_q8_1PKvPK10block_q8_1RKiEEEvS4_S4_PT_PS8_iiii,"axG",@progbits,_ZL9moe_vec_qIN3c104HalfELi32ELi4E10block_q5_1Li2EXadL_ZL17vec_dot_q5_1_q8_1PKvPK10block_q8_1RKiEEEvS4_S4_PT_PS8_iiii,comdat
	.globl	_ZL9moe_vec_qIN3c104HalfELi32ELi4E10block_q5_1Li2EXadL_ZL17vec_dot_q5_1_q8_1PKvPK10block_q8_1RKiEEEvS4_S4_PT_PS8_iiii ; -- Begin function _ZL9moe_vec_qIN3c104HalfELi32ELi4E10block_q5_1Li2EXadL_ZL17vec_dot_q5_1_q8_1PKvPK10block_q8_1RKiEEEvS4_S4_PT_PS8_iiii
	.p2align	8
	.type	_ZL9moe_vec_qIN3c104HalfELi32ELi4E10block_q5_1Li2EXadL_ZL17vec_dot_q5_1_q8_1PKvPK10block_q8_1RKiEEEvS4_S4_PT_PS8_iiii,@function
_ZL9moe_vec_qIN3c104HalfELi32ELi4E10block_q5_1Li2EXadL_ZL17vec_dot_q5_1_q8_1PKvPK10block_q8_1RKiEEEvS4_S4_PT_PS8_iiii: ; @_ZL9moe_vec_qIN3c104HalfELi32ELi4E10block_q5_1Li2EXadL_ZL17vec_dot_q5_1_q8_1PKvPK10block_q8_1RKiEEEvS4_S4_PT_PS8_iiii
; %bb.0:
	s_mov_b32 s8, s3
	s_load_dword s3, s[0:1], 0x3c
	s_load_dwordx4 s[4:7], s[0:1], 0x20
	v_bfe_u32 v1, v0, 10, 10
	s_waitcnt lgkmcnt(0)
	s_lshr_b32 s3, s3, 16
	s_mul_i32 s2, s2, s3
	v_add_u32_e32 v4, s2, v1
	v_cmp_gt_u32_e32 vcc, s6, v4
	s_and_saveexec_b64 s[2:3], vcc
	s_cbranch_execz .LBB259_7
; %bb.1:
	v_cvt_f32_u32_e32 v1, s4
	v_and_b32_e32 v5, 0x3ff, v0
	v_bfe_u32 v6, v0, 1, 9
	s_load_dwordx2 s[2:3], s[0:1], 0x10
	v_rcp_iflag_f32_e32 v1, v1
	s_ashr_i32 s9, s5, 31
	s_lshr_b32 s9, s9, 27
	s_add_i32 s5, s5, s9
	v_mul_f32_e32 v0, 0x4f7ffffe, v1
	v_cvt_u32_f32_e32 v0, v0
	s_ashr_i32 s14, s5, 5
	v_cmp_gt_u32_e32 vcc, s14, v6
	v_mov_b32_e32 v7, 0
	v_readfirstlane_b32 s5, v0
	s_and_saveexec_b64 s[10:11], vcc
	s_cbranch_execz .LBB259_5
; %bb.2:
	s_sub_i32 s12, 0, s4
	s_mul_i32 s15, s12, s5
	s_load_dwordx4 s[16:19], s[0:1], 0x0
	s_load_dwordx2 s[12:13], s[0:1], 0x18
	s_mov_b32 s9, 0
	s_mul_hi_u32 s0, s5, s15
	s_add_i32 s5, s5, s0
	s_lshl_b64 s[0:1], s[8:9], 2
	s_waitcnt lgkmcnt(0)
	s_add_u32 s0, s12, s0
	s_mul_hi_u32 s5, s8, s5
	s_addc_u32 s1, s13, s1
	s_load_dword s0, s[0:1], 0x0
	s_mul_i32 s1, s5, s4
	s_sub_i32 s1, s8, s1
	s_add_i32 s12, s5, 1
	s_sub_i32 s13, s1, s4
	s_cmp_ge_u32 s1, s4
	s_cselect_b32 s5, s12, s5
	s_cselect_b32 s1, s13, s1
	s_add_i32 s12, s5, 1
	s_cmp_ge_u32 s1, s4
	s_mul_i32 s1, s14, s6
	s_waitcnt lgkmcnt(0)
	s_mul_i32 s0, s1, s0
	s_cselect_b32 s4, s12, s5
	s_mul_hi_i32 s1, s0, 24
	s_mul_i32 s0, s0, 24
	s_add_u32 s0, s16, s0
	s_mul_i32 s4, s4, s7
	s_mov_b32 s5, s9
	s_addc_u32 s1, s17, s1
	s_lshl_b64 s[4:5], s[4:5], 2
	v_lshlrev_b32_e32 v0, 3, v5
	s_add_u32 s4, s18, s4
	v_and_b32_e32 v0, 8, v0
	v_mov_b32_e32 v1, 0
	s_addc_u32 s5, s19, s5
	v_mul_lo_u32 v8, v4, s14
	v_or_b32_e32 v9, 4, v0
	s_mov_b64 s[12:13], 0
	v_mov_b32_e32 v3, 0.5
	v_mov_b32_e32 v7, v1
.LBB259_3:                              ; =>This Inner Loop Header: Depth=1
	v_add_u32_e32 v2, v8, v6
	v_mad_i64_i32 v[10:11], s[16:17], v6, 36, s[4:5]
	v_mad_i64_i32 v[12:13], s[16:17], v2, 24, s[0:1]
	v_lshl_add_u64 v[14:15], v[10:11], 0, v[0:1]
	global_load_dwordx2 v[16:17], v[12:13], off
	v_lshl_add_u64 v[12:13], v[12:13], 0, v[0:1]
	global_load_dwordx2 v[18:19], v[14:15], off offset:4
	global_load_dwordx2 v[20:21], v[14:15], off offset:20
	;; [unrolled: 1-line block ×3, first 2 shown]
	global_load_dword v2, v[10:11], off
	v_mov_b32_e32 v12, 0
	v_add_u32_e32 v6, 32, v6
	v_cmp_le_u32_e32 vcc, s14, v6
	s_or_b64 s[12:13], vcc, s[12:13]
	s_waitcnt vmcnt(4)
	v_ashrrev_i32_e32 v10, v0, v17
	v_ashrrev_i32_e32 v11, v9, v17
	s_waitcnt vmcnt(0)
	v_pk_mul_f16 v2, v16, v2
	v_lshlrev_b32_e32 v14, 4, v10
	v_lshlrev_b32_e32 v15, 11, v10
	v_and_b32_e32 v13, 0xf0f0f0f, v22
	v_lshlrev_b32_e32 v16, 18, v10
	v_lshlrev_b32_e32 v17, 25, v10
	v_lshrrev_b32_e32 v22, 4, v22
	v_lshrrev_b32_e32 v24, 12, v10
	;; [unrolled: 1-line block ×3, first 2 shown]
	v_lshlrev_b32_e32 v26, 2, v10
	v_lshlrev_b32_e32 v27, 9, v10
	;; [unrolled: 1-line block ×6, first 2 shown]
	v_lshrrev_b32_e32 v33, 12, v11
	v_lshrrev_b32_e32 v34, 5, v11
	v_lshlrev_b32_e32 v35, 2, v11
	v_lshlrev_b32_e32 v36, 9, v11
	v_cvt_f32_f16_e32 v10, v2
	v_cvt_f32_f16_sdwa v11, v2 dst_sel:DWORD dst_unused:UNUSED_PAD src0_sel:WORD_1
	v_and_b32_e32 v2, 16, v14
	v_and_b32_e32 v14, 0x1000, v15
	;; [unrolled: 1-line block ×8, first 2 shown]
	v_or3_b32 v2, v2, v13, v14
	v_and_b32_e32 v26, 0x10000000, v27
	v_and_b32_e32 v27, 16, v29
	;; [unrolled: 1-line block ×4, first 2 shown]
	v_or3_b32 v13, v24, v22, v25
	v_or3_b32 v2, v2, v15, v16
	v_and_b32_e32 v28, 0xf0f0f0f, v23
	v_lshrrev_b32_e32 v23, 4, v23
	v_and_b32_e32 v31, 0x10000000, v32
	v_and_b32_e32 v32, 16, v33
	;; [unrolled: 1-line block ×4, first 2 shown]
	v_or3_b32 v14, v29, v27, v30
	v_or3_b32 v13, v13, v26, v17
	v_dot4c_i32_i8_e32 v12, v2, v18
	v_and_b32_e32 v23, 0xf0f0f0f, v23
	v_and_b32_e32 v35, 0x10000000, v36
	v_or3_b32 v22, v33, v32, v34
	v_or3_b32 v14, v14, v31, v28
	v_dot4c_i32_i8_e32 v12, v13, v20
	v_or3_b32 v15, v22, v35, v23
	v_dot4c_i32_i8_e32 v12, v14, v19
	v_dot4c_i32_i8_e32 v12, v15, v21
	s_nop 2
	v_cvt_f32_i32_e32 v2, v12
	v_pk_mul_f32 v[10:11], v[2:3], v[10:11]
	s_nop 0
	v_add_f32_e32 v2, v11, v10
	v_add_f32_e32 v7, v7, v2
	s_andn2_b64 exec, exec, s[12:13]
	s_cbranch_execnz .LBB259_3
; %bb.4:
	s_or_b64 exec, exec, s[12:13]
.LBB259_5:
	s_or_b64 exec, exec, s[10:11]
	v_mbcnt_lo_u32_b32 v0, -1, 0
	v_mbcnt_hi_u32_b32 v1, -1, v0
	v_and_b32_e32 v0, 64, v1
	v_add_u32_e32 v2, 64, v0
	v_xor_b32_e32 v0, 32, v1
	v_cmp_lt_i32_e32 vcc, v0, v2
	v_xor_b32_e32 v3, 16, v1
	v_xor_b32_e32 v6, 8, v1
	v_cndmask_b32_e32 v0, v1, v0, vcc
	v_lshlrev_b32_e32 v0, 2, v0
	ds_bpermute_b32 v0, v0, v7
	v_cmp_lt_i32_e32 vcc, v3, v2
	s_waitcnt lgkmcnt(0)
	v_add_f32_e32 v0, v7, v0
	v_cndmask_b32_e32 v3, v1, v3, vcc
	v_lshlrev_b32_e32 v3, 2, v3
	ds_bpermute_b32 v3, v3, v0
	v_cmp_lt_i32_e32 vcc, v6, v2
	s_waitcnt lgkmcnt(0)
	v_add_f32_e32 v0, v0, v3
	v_cndmask_b32_e32 v3, v1, v6, vcc
	v_lshlrev_b32_e32 v3, 2, v3
	ds_bpermute_b32 v3, v3, v0
	v_xor_b32_e32 v6, 4, v1
	v_cmp_lt_i32_e32 vcc, v6, v2
	s_waitcnt lgkmcnt(0)
	v_add_f32_e32 v0, v0, v3
	v_cndmask_b32_e32 v3, v1, v6, vcc
	v_lshlrev_b32_e32 v3, 2, v3
	ds_bpermute_b32 v3, v3, v0
	v_xor_b32_e32 v6, 2, v1
	;; [unrolled: 7-line block ×3, first 2 shown]
	v_cmp_lt_i32_e32 vcc, v6, v2
	s_waitcnt lgkmcnt(0)
	v_add_f32_e32 v0, v0, v3
	v_cndmask_b32_e32 v1, v1, v6, vcc
	v_lshlrev_b32_e32 v1, 2, v1
	ds_bpermute_b32 v1, v1, v0
	v_cmp_eq_u32_e32 vcc, 0, v5
	s_and_b64 exec, exec, vcc
	s_cbranch_execz .LBB259_7
; %bb.6:
	s_waitcnt lgkmcnt(0)
	v_add_f32_e32 v0, v0, v1
	v_cvt_f16_f32_e32 v2, v0
	s_mul_i32 s0, s6, s8
	v_add_u32_e32 v0, s0, v4
	v_mov_b32_e32 v1, 0
	v_lshl_add_u64 v[0:1], v[0:1], 1, s[2:3]
	global_store_short v[0:1], v2, off
.LBB259_7:
	s_endpgm
	.section	.rodata,"a",@progbits
	.p2align	6, 0x0
	.amdhsa_kernel _ZL9moe_vec_qIN3c104HalfELi32ELi4E10block_q5_1Li2EXadL_ZL17vec_dot_q5_1_q8_1PKvPK10block_q8_1RKiEEEvS4_S4_PT_PS8_iiii
		.amdhsa_group_segment_fixed_size 0
		.amdhsa_private_segment_fixed_size 0
		.amdhsa_kernarg_size 304
		.amdhsa_user_sgpr_count 2
		.amdhsa_user_sgpr_dispatch_ptr 0
		.amdhsa_user_sgpr_queue_ptr 0
		.amdhsa_user_sgpr_kernarg_segment_ptr 1
		.amdhsa_user_sgpr_dispatch_id 0
		.amdhsa_user_sgpr_kernarg_preload_length 0
		.amdhsa_user_sgpr_kernarg_preload_offset 0
		.amdhsa_user_sgpr_private_segment_size 0
		.amdhsa_uses_dynamic_stack 0
		.amdhsa_enable_private_segment 0
		.amdhsa_system_sgpr_workgroup_id_x 1
		.amdhsa_system_sgpr_workgroup_id_y 0
		.amdhsa_system_sgpr_workgroup_id_z 1
		.amdhsa_system_sgpr_workgroup_info 0
		.amdhsa_system_vgpr_workitem_id 1
		.amdhsa_next_free_vgpr 37
		.amdhsa_next_free_sgpr 20
		.amdhsa_accum_offset 40
		.amdhsa_reserve_vcc 1
		.amdhsa_float_round_mode_32 0
		.amdhsa_float_round_mode_16_64 0
		.amdhsa_float_denorm_mode_32 3
		.amdhsa_float_denorm_mode_16_64 3
		.amdhsa_dx10_clamp 1
		.amdhsa_ieee_mode 1
		.amdhsa_fp16_overflow 0
		.amdhsa_tg_split 0
		.amdhsa_exception_fp_ieee_invalid_op 0
		.amdhsa_exception_fp_denorm_src 0
		.amdhsa_exception_fp_ieee_div_zero 0
		.amdhsa_exception_fp_ieee_overflow 0
		.amdhsa_exception_fp_ieee_underflow 0
		.amdhsa_exception_fp_ieee_inexact 0
		.amdhsa_exception_int_div_zero 0
	.end_amdhsa_kernel
	.section	.text._ZL9moe_vec_qIN3c104HalfELi32ELi4E10block_q5_1Li2EXadL_ZL17vec_dot_q5_1_q8_1PKvPK10block_q8_1RKiEEEvS4_S4_PT_PS8_iiii,"axG",@progbits,_ZL9moe_vec_qIN3c104HalfELi32ELi4E10block_q5_1Li2EXadL_ZL17vec_dot_q5_1_q8_1PKvPK10block_q8_1RKiEEEvS4_S4_PT_PS8_iiii,comdat
.Lfunc_end259:
	.size	_ZL9moe_vec_qIN3c104HalfELi32ELi4E10block_q5_1Li2EXadL_ZL17vec_dot_q5_1_q8_1PKvPK10block_q8_1RKiEEEvS4_S4_PT_PS8_iiii, .Lfunc_end259-_ZL9moe_vec_qIN3c104HalfELi32ELi4E10block_q5_1Li2EXadL_ZL17vec_dot_q5_1_q8_1PKvPK10block_q8_1RKiEEEvS4_S4_PT_PS8_iiii
                                        ; -- End function
	.set _ZL9moe_vec_qIN3c104HalfELi32ELi4E10block_q5_1Li2EXadL_ZL17vec_dot_q5_1_q8_1PKvPK10block_q8_1RKiEEEvS4_S4_PT_PS8_iiii.num_vgpr, 37
	.set _ZL9moe_vec_qIN3c104HalfELi32ELi4E10block_q5_1Li2EXadL_ZL17vec_dot_q5_1_q8_1PKvPK10block_q8_1RKiEEEvS4_S4_PT_PS8_iiii.num_agpr, 0
	.set _ZL9moe_vec_qIN3c104HalfELi32ELi4E10block_q5_1Li2EXadL_ZL17vec_dot_q5_1_q8_1PKvPK10block_q8_1RKiEEEvS4_S4_PT_PS8_iiii.numbered_sgpr, 20
	.set _ZL9moe_vec_qIN3c104HalfELi32ELi4E10block_q5_1Li2EXadL_ZL17vec_dot_q5_1_q8_1PKvPK10block_q8_1RKiEEEvS4_S4_PT_PS8_iiii.num_named_barrier, 0
	.set _ZL9moe_vec_qIN3c104HalfELi32ELi4E10block_q5_1Li2EXadL_ZL17vec_dot_q5_1_q8_1PKvPK10block_q8_1RKiEEEvS4_S4_PT_PS8_iiii.private_seg_size, 0
	.set _ZL9moe_vec_qIN3c104HalfELi32ELi4E10block_q5_1Li2EXadL_ZL17vec_dot_q5_1_q8_1PKvPK10block_q8_1RKiEEEvS4_S4_PT_PS8_iiii.uses_vcc, 1
	.set _ZL9moe_vec_qIN3c104HalfELi32ELi4E10block_q5_1Li2EXadL_ZL17vec_dot_q5_1_q8_1PKvPK10block_q8_1RKiEEEvS4_S4_PT_PS8_iiii.uses_flat_scratch, 0
	.set _ZL9moe_vec_qIN3c104HalfELi32ELi4E10block_q5_1Li2EXadL_ZL17vec_dot_q5_1_q8_1PKvPK10block_q8_1RKiEEEvS4_S4_PT_PS8_iiii.has_dyn_sized_stack, 0
	.set _ZL9moe_vec_qIN3c104HalfELi32ELi4E10block_q5_1Li2EXadL_ZL17vec_dot_q5_1_q8_1PKvPK10block_q8_1RKiEEEvS4_S4_PT_PS8_iiii.has_recursion, 0
	.set _ZL9moe_vec_qIN3c104HalfELi32ELi4E10block_q5_1Li2EXadL_ZL17vec_dot_q5_1_q8_1PKvPK10block_q8_1RKiEEEvS4_S4_PT_PS8_iiii.has_indirect_call, 0
	.section	.AMDGPU.csdata,"",@progbits
; Kernel info:
; codeLenInByte = 1056
; TotalNumSgprs: 26
; NumVgprs: 37
; NumAgprs: 0
; TotalNumVgprs: 37
; ScratchSize: 0
; MemoryBound: 0
; FloatMode: 240
; IeeeMode: 1
; LDSByteSize: 0 bytes/workgroup (compile time only)
; SGPRBlocks: 3
; VGPRBlocks: 4
; NumSGPRsForWavesPerEU: 26
; NumVGPRsForWavesPerEU: 37
; AccumOffset: 40
; Occupancy: 8
; WaveLimiterHint : 1
; COMPUTE_PGM_RSRC2:SCRATCH_EN: 0
; COMPUTE_PGM_RSRC2:USER_SGPR: 2
; COMPUTE_PGM_RSRC2:TRAP_HANDLER: 0
; COMPUTE_PGM_RSRC2:TGID_X_EN: 1
; COMPUTE_PGM_RSRC2:TGID_Y_EN: 0
; COMPUTE_PGM_RSRC2:TGID_Z_EN: 1
; COMPUTE_PGM_RSRC2:TIDIG_COMP_CNT: 1
; COMPUTE_PGM_RSRC3_GFX90A:ACCUM_OFFSET: 9
; COMPUTE_PGM_RSRC3_GFX90A:TG_SPLIT: 0
	.section	.text._ZL9moe_vec_qIN3c104HalfELi32ELi8E10block_q8_0Li2EXadL_ZL17vec_dot_q8_0_q8_1PKvPK10block_q8_1RKiEEEvS4_S4_PT_PS8_iiii,"axG",@progbits,_ZL9moe_vec_qIN3c104HalfELi32ELi8E10block_q8_0Li2EXadL_ZL17vec_dot_q8_0_q8_1PKvPK10block_q8_1RKiEEEvS4_S4_PT_PS8_iiii,comdat
	.globl	_ZL9moe_vec_qIN3c104HalfELi32ELi8E10block_q8_0Li2EXadL_ZL17vec_dot_q8_0_q8_1PKvPK10block_q8_1RKiEEEvS4_S4_PT_PS8_iiii ; -- Begin function _ZL9moe_vec_qIN3c104HalfELi32ELi8E10block_q8_0Li2EXadL_ZL17vec_dot_q8_0_q8_1PKvPK10block_q8_1RKiEEEvS4_S4_PT_PS8_iiii
	.p2align	8
	.type	_ZL9moe_vec_qIN3c104HalfELi32ELi8E10block_q8_0Li2EXadL_ZL17vec_dot_q8_0_q8_1PKvPK10block_q8_1RKiEEEvS4_S4_PT_PS8_iiii,@function
_ZL9moe_vec_qIN3c104HalfELi32ELi8E10block_q8_0Li2EXadL_ZL17vec_dot_q8_0_q8_1PKvPK10block_q8_1RKiEEEvS4_S4_PT_PS8_iiii: ; @_ZL9moe_vec_qIN3c104HalfELi32ELi8E10block_q8_0Li2EXadL_ZL17vec_dot_q8_0_q8_1PKvPK10block_q8_1RKiEEEvS4_S4_PT_PS8_iiii
; %bb.0:
	s_mov_b32 s8, s3
	s_load_dword s3, s[0:1], 0x3c
	s_load_dwordx4 s[4:7], s[0:1], 0x20
	v_bfe_u32 v1, v0, 10, 10
	s_waitcnt lgkmcnt(0)
	s_lshr_b32 s3, s3, 16
	s_mul_i32 s2, s2, s3
	v_add_u32_e32 v2, s2, v1
	v_cmp_gt_u32_e32 vcc, s6, v2
	s_and_saveexec_b64 s[2:3], vcc
	s_cbranch_execz .LBB260_7
; %bb.1:
	v_cvt_f32_u32_e32 v1, s4
	v_and_b32_e32 v3, 0x3ff, v0
	v_bfe_u32 v4, v0, 2, 8
	s_load_dwordx2 s[2:3], s[0:1], 0x10
	v_rcp_iflag_f32_e32 v1, v1
	s_ashr_i32 s9, s5, 31
	s_lshr_b32 s9, s9, 27
	s_add_i32 s5, s5, s9
	v_mul_f32_e32 v0, 0x4f7ffffe, v1
	v_cvt_u32_f32_e32 v0, v0
	s_ashr_i32 s14, s5, 5
	v_cmp_gt_u32_e32 vcc, s14, v4
	v_mov_b32_e32 v5, 0
	v_readfirstlane_b32 s5, v0
	s_and_saveexec_b64 s[10:11], vcc
	s_cbranch_execz .LBB260_5
; %bb.2:
	s_sub_i32 s12, 0, s4
	s_mul_i32 s15, s12, s5
	s_load_dwordx4 s[16:19], s[0:1], 0x0
	s_load_dwordx2 s[12:13], s[0:1], 0x18
	s_mov_b32 s9, 0
	s_mul_hi_u32 s0, s5, s15
	s_add_i32 s5, s5, s0
	s_lshl_b64 s[0:1], s[8:9], 2
	s_waitcnt lgkmcnt(0)
	s_add_u32 s0, s12, s0
	s_mul_hi_u32 s5, s8, s5
	s_addc_u32 s1, s13, s1
	s_load_dword s0, s[0:1], 0x0
	s_mul_i32 s1, s5, s4
	s_sub_i32 s1, s8, s1
	s_add_i32 s12, s5, 1
	s_sub_i32 s13, s1, s4
	s_cmp_ge_u32 s1, s4
	s_cselect_b32 s5, s12, s5
	s_cselect_b32 s1, s13, s1
	s_add_i32 s12, s5, 1
	s_cmp_ge_u32 s1, s4
	s_mul_i32 s1, s14, s6
	s_waitcnt lgkmcnt(0)
	s_mul_i32 s0, s1, s0
	s_cselect_b32 s4, s12, s5
	s_mul_hi_i32 s1, s0, 34
	s_mul_i32 s0, s0, 34
	s_add_u32 s0, s16, s0
	s_mul_i32 s4, s4, s7
	s_mov_b32 s5, s9
	s_addc_u32 s1, s17, s1
	s_lshl_b64 s[4:5], s[4:5], 2
	s_add_u32 s4, s18, s4
	v_lshlrev_b32_e32 v0, 3, v3
	v_mov_b32_e32 v1, 0
	s_addc_u32 s5, s19, s5
	v_mul_lo_u32 v6, v2, s14
	v_and_b32_e32 v0, 24, v0
	s_mov_b64 s[12:13], 0
	v_mov_b32_e32 v5, v1
.LBB260_3:                              ; =>This Inner Loop Header: Depth=1
	v_add_u32_e32 v7, v6, v4
	v_mad_i64_i32 v[8:9], s[16:17], v4, 36, s[4:5]
	v_mad_i64_i32 v[10:11], s[16:17], v7, 34, s[0:1]
	v_lshl_add_u64 v[12:13], v[8:9], 0, v[0:1]
	global_load_dword v7, v[8:9], off
	v_lshl_add_u64 v[8:9], v[10:11], 0, v[0:1]
	global_load_dwordx2 v[14:15], v[12:13], off offset:4
	global_load_dwordx2 v[16:17], v[8:9], off offset:2
	global_load_ushort v18, v[10:11], off
	v_mov_b32_e32 v8, 0
	v_add_u32_e32 v4, 16, v4
	v_cmp_le_u32_e32 vcc, s14, v4
	s_or_b64 s[12:13], vcc, s[12:13]
	s_waitcnt vmcnt(3)
	v_cvt_f32_f16_e32 v7, v7
	s_waitcnt vmcnt(1)
	v_dot4c_i32_i8_e32 v8, v16, v14
	s_waitcnt vmcnt(0)
	v_cvt_f32_f16_e32 v9, v18
	v_dot4c_i32_i8_e32 v8, v17, v15
	v_mul_f32_e32 v7, v9, v7
	s_nop 1
	v_cvt_f32_i32_e32 v8, v8
	v_fmac_f32_e32 v5, v7, v8
	s_andn2_b64 exec, exec, s[12:13]
	s_cbranch_execnz .LBB260_3
; %bb.4:
	s_or_b64 exec, exec, s[12:13]
.LBB260_5:
	s_or_b64 exec, exec, s[10:11]
	v_mbcnt_lo_u32_b32 v0, -1, 0
	v_mbcnt_hi_u32_b32 v1, -1, v0
	v_and_b32_e32 v0, 64, v1
	v_add_u32_e32 v4, 64, v0
	v_xor_b32_e32 v0, 32, v1
	v_cmp_lt_i32_e32 vcc, v0, v4
	v_xor_b32_e32 v6, 16, v1
	s_nop 0
	v_cndmask_b32_e32 v0, v1, v0, vcc
	v_lshlrev_b32_e32 v0, 2, v0
	ds_bpermute_b32 v0, v0, v5
	v_cmp_lt_i32_e32 vcc, v6, v4
	s_waitcnt lgkmcnt(0)
	v_add_f32_e32 v0, v5, v0
	v_cndmask_b32_e32 v5, v1, v6, vcc
	v_lshlrev_b32_e32 v5, 2, v5
	ds_bpermute_b32 v5, v5, v0
	v_xor_b32_e32 v6, 8, v1
	v_cmp_lt_i32_e32 vcc, v6, v4
	s_waitcnt lgkmcnt(0)
	v_add_f32_e32 v0, v0, v5
	v_cndmask_b32_e32 v5, v1, v6, vcc
	v_lshlrev_b32_e32 v5, 2, v5
	ds_bpermute_b32 v5, v5, v0
	v_xor_b32_e32 v6, 4, v1
	;; [unrolled: 7-line block ×4, first 2 shown]
	v_cmp_lt_i32_e32 vcc, v6, v4
	s_waitcnt lgkmcnt(0)
	v_add_f32_e32 v0, v0, v5
	v_cndmask_b32_e32 v1, v1, v6, vcc
	v_lshlrev_b32_e32 v1, 2, v1
	ds_bpermute_b32 v1, v1, v0
	v_cmp_eq_u32_e32 vcc, 0, v3
	s_and_b64 exec, exec, vcc
	s_cbranch_execz .LBB260_7
; %bb.6:
	s_waitcnt lgkmcnt(0)
	v_add_f32_e32 v0, v0, v1
	v_cvt_f16_f32_e32 v3, v0
	s_mul_i32 s0, s6, s8
	v_add_u32_e32 v0, s0, v2
	v_mov_b32_e32 v1, 0
	v_lshl_add_u64 v[0:1], v[0:1], 1, s[2:3]
	global_store_short v[0:1], v3, off
.LBB260_7:
	s_endpgm
	.section	.rodata,"a",@progbits
	.p2align	6, 0x0
	.amdhsa_kernel _ZL9moe_vec_qIN3c104HalfELi32ELi8E10block_q8_0Li2EXadL_ZL17vec_dot_q8_0_q8_1PKvPK10block_q8_1RKiEEEvS4_S4_PT_PS8_iiii
		.amdhsa_group_segment_fixed_size 0
		.amdhsa_private_segment_fixed_size 0
		.amdhsa_kernarg_size 304
		.amdhsa_user_sgpr_count 2
		.amdhsa_user_sgpr_dispatch_ptr 0
		.amdhsa_user_sgpr_queue_ptr 0
		.amdhsa_user_sgpr_kernarg_segment_ptr 1
		.amdhsa_user_sgpr_dispatch_id 0
		.amdhsa_user_sgpr_kernarg_preload_length 0
		.amdhsa_user_sgpr_kernarg_preload_offset 0
		.amdhsa_user_sgpr_private_segment_size 0
		.amdhsa_uses_dynamic_stack 0
		.amdhsa_enable_private_segment 0
		.amdhsa_system_sgpr_workgroup_id_x 1
		.amdhsa_system_sgpr_workgroup_id_y 0
		.amdhsa_system_sgpr_workgroup_id_z 1
		.amdhsa_system_sgpr_workgroup_info 0
		.amdhsa_system_vgpr_workitem_id 1
		.amdhsa_next_free_vgpr 19
		.amdhsa_next_free_sgpr 20
		.amdhsa_accum_offset 20
		.amdhsa_reserve_vcc 1
		.amdhsa_float_round_mode_32 0
		.amdhsa_float_round_mode_16_64 0
		.amdhsa_float_denorm_mode_32 3
		.amdhsa_float_denorm_mode_16_64 3
		.amdhsa_dx10_clamp 1
		.amdhsa_ieee_mode 1
		.amdhsa_fp16_overflow 0
		.amdhsa_tg_split 0
		.amdhsa_exception_fp_ieee_invalid_op 0
		.amdhsa_exception_fp_denorm_src 0
		.amdhsa_exception_fp_ieee_div_zero 0
		.amdhsa_exception_fp_ieee_overflow 0
		.amdhsa_exception_fp_ieee_underflow 0
		.amdhsa_exception_fp_ieee_inexact 0
		.amdhsa_exception_int_div_zero 0
	.end_amdhsa_kernel
	.section	.text._ZL9moe_vec_qIN3c104HalfELi32ELi8E10block_q8_0Li2EXadL_ZL17vec_dot_q8_0_q8_1PKvPK10block_q8_1RKiEEEvS4_S4_PT_PS8_iiii,"axG",@progbits,_ZL9moe_vec_qIN3c104HalfELi32ELi8E10block_q8_0Li2EXadL_ZL17vec_dot_q8_0_q8_1PKvPK10block_q8_1RKiEEEvS4_S4_PT_PS8_iiii,comdat
.Lfunc_end260:
	.size	_ZL9moe_vec_qIN3c104HalfELi32ELi8E10block_q8_0Li2EXadL_ZL17vec_dot_q8_0_q8_1PKvPK10block_q8_1RKiEEEvS4_S4_PT_PS8_iiii, .Lfunc_end260-_ZL9moe_vec_qIN3c104HalfELi32ELi8E10block_q8_0Li2EXadL_ZL17vec_dot_q8_0_q8_1PKvPK10block_q8_1RKiEEEvS4_S4_PT_PS8_iiii
                                        ; -- End function
	.set _ZL9moe_vec_qIN3c104HalfELi32ELi8E10block_q8_0Li2EXadL_ZL17vec_dot_q8_0_q8_1PKvPK10block_q8_1RKiEEEvS4_S4_PT_PS8_iiii.num_vgpr, 19
	.set _ZL9moe_vec_qIN3c104HalfELi32ELi8E10block_q8_0Li2EXadL_ZL17vec_dot_q8_0_q8_1PKvPK10block_q8_1RKiEEEvS4_S4_PT_PS8_iiii.num_agpr, 0
	.set _ZL9moe_vec_qIN3c104HalfELi32ELi8E10block_q8_0Li2EXadL_ZL17vec_dot_q8_0_q8_1PKvPK10block_q8_1RKiEEEvS4_S4_PT_PS8_iiii.numbered_sgpr, 20
	.set _ZL9moe_vec_qIN3c104HalfELi32ELi8E10block_q8_0Li2EXadL_ZL17vec_dot_q8_0_q8_1PKvPK10block_q8_1RKiEEEvS4_S4_PT_PS8_iiii.num_named_barrier, 0
	.set _ZL9moe_vec_qIN3c104HalfELi32ELi8E10block_q8_0Li2EXadL_ZL17vec_dot_q8_0_q8_1PKvPK10block_q8_1RKiEEEvS4_S4_PT_PS8_iiii.private_seg_size, 0
	.set _ZL9moe_vec_qIN3c104HalfELi32ELi8E10block_q8_0Li2EXadL_ZL17vec_dot_q8_0_q8_1PKvPK10block_q8_1RKiEEEvS4_S4_PT_PS8_iiii.uses_vcc, 1
	.set _ZL9moe_vec_qIN3c104HalfELi32ELi8E10block_q8_0Li2EXadL_ZL17vec_dot_q8_0_q8_1PKvPK10block_q8_1RKiEEEvS4_S4_PT_PS8_iiii.uses_flat_scratch, 0
	.set _ZL9moe_vec_qIN3c104HalfELi32ELi8E10block_q8_0Li2EXadL_ZL17vec_dot_q8_0_q8_1PKvPK10block_q8_1RKiEEEvS4_S4_PT_PS8_iiii.has_dyn_sized_stack, 0
	.set _ZL9moe_vec_qIN3c104HalfELi32ELi8E10block_q8_0Li2EXadL_ZL17vec_dot_q8_0_q8_1PKvPK10block_q8_1RKiEEEvS4_S4_PT_PS8_iiii.has_recursion, 0
	.set _ZL9moe_vec_qIN3c104HalfELi32ELi8E10block_q8_0Li2EXadL_ZL17vec_dot_q8_0_q8_1PKvPK10block_q8_1RKiEEEvS4_S4_PT_PS8_iiii.has_indirect_call, 0
	.section	.AMDGPU.csdata,"",@progbits
; Kernel info:
; codeLenInByte = 728
; TotalNumSgprs: 26
; NumVgprs: 19
; NumAgprs: 0
; TotalNumVgprs: 19
; ScratchSize: 0
; MemoryBound: 0
; FloatMode: 240
; IeeeMode: 1
; LDSByteSize: 0 bytes/workgroup (compile time only)
; SGPRBlocks: 3
; VGPRBlocks: 2
; NumSGPRsForWavesPerEU: 26
; NumVGPRsForWavesPerEU: 19
; AccumOffset: 20
; Occupancy: 8
; WaveLimiterHint : 1
; COMPUTE_PGM_RSRC2:SCRATCH_EN: 0
; COMPUTE_PGM_RSRC2:USER_SGPR: 2
; COMPUTE_PGM_RSRC2:TRAP_HANDLER: 0
; COMPUTE_PGM_RSRC2:TGID_X_EN: 1
; COMPUTE_PGM_RSRC2:TGID_Y_EN: 0
; COMPUTE_PGM_RSRC2:TGID_Z_EN: 1
; COMPUTE_PGM_RSRC2:TIDIG_COMP_CNT: 1
; COMPUTE_PGM_RSRC3_GFX90A:ACCUM_OFFSET: 4
; COMPUTE_PGM_RSRC3_GFX90A:TG_SPLIT: 0
	.section	.text._ZL9moe_vec_qIN3c104HalfELi256ELi16E10block_q2_KLi1EXadL_ZL17vec_dot_q2_K_q8_1PKvPK10block_q8_1RKiEEEvS4_S4_PT_PS8_iiii,"axG",@progbits,_ZL9moe_vec_qIN3c104HalfELi256ELi16E10block_q2_KLi1EXadL_ZL17vec_dot_q2_K_q8_1PKvPK10block_q8_1RKiEEEvS4_S4_PT_PS8_iiii,comdat
	.globl	_ZL9moe_vec_qIN3c104HalfELi256ELi16E10block_q2_KLi1EXadL_ZL17vec_dot_q2_K_q8_1PKvPK10block_q8_1RKiEEEvS4_S4_PT_PS8_iiii ; -- Begin function _ZL9moe_vec_qIN3c104HalfELi256ELi16E10block_q2_KLi1EXadL_ZL17vec_dot_q2_K_q8_1PKvPK10block_q8_1RKiEEEvS4_S4_PT_PS8_iiii
	.p2align	8
	.type	_ZL9moe_vec_qIN3c104HalfELi256ELi16E10block_q2_KLi1EXadL_ZL17vec_dot_q2_K_q8_1PKvPK10block_q8_1RKiEEEvS4_S4_PT_PS8_iiii,@function
_ZL9moe_vec_qIN3c104HalfELi256ELi16E10block_q2_KLi1EXadL_ZL17vec_dot_q2_K_q8_1PKvPK10block_q8_1RKiEEEvS4_S4_PT_PS8_iiii: ; @_ZL9moe_vec_qIN3c104HalfELi256ELi16E10block_q2_KLi1EXadL_ZL17vec_dot_q2_K_q8_1PKvPK10block_q8_1RKiEEEvS4_S4_PT_PS8_iiii
; %bb.0:
	s_mov_b32 s8, s3
	s_load_dword s3, s[0:1], 0x3c
	s_load_dwordx4 s[4:7], s[0:1], 0x20
	v_bfe_u32 v1, v0, 10, 10
	s_waitcnt lgkmcnt(0)
	s_lshr_b32 s3, s3, 16
	s_mul_i32 s2, s2, s3
	v_add_u32_e32 v10, s2, v1
	v_cmp_gt_u32_e32 vcc, s6, v10
	s_and_saveexec_b64 s[2:3], vcc
	s_cbranch_execz .LBB261_7
; %bb.1:
	s_load_dwordx2 s[2:3], s[0:1], 0x10
	s_ashr_i32 s9, s5, 31
	s_lshr_b32 s9, s9, 24
	s_add_i32 s5, s5, s9
	s_ashr_i32 s5, s5, 8
	v_bfe_u32 v12, v0, 4, 6
	v_and_b32_e32 v11, 0x3ff, v0
	v_cmp_gt_u32_e32 vcc, s5, v12
	v_mov_b32_e32 v13, 0
	s_and_saveexec_b64 s[10:11], vcc
	s_cbranch_execz .LBB261_5
; %bb.2:
	s_load_dwordx2 s[12:13], s[0:1], 0x18
	v_cvt_f32_u32_e32 v0, s4
	s_mov_b32 s9, 0
	s_lshl_b64 s[14:15], s[8:9], 2
	v_and_b32_e32 v8, 15, v11
	s_waitcnt lgkmcnt(0)
	s_add_u32 s12, s12, s14
	v_rcp_iflag_f32_e32 v0, v0
	s_addc_u32 s13, s13, s15
	s_load_dword s14, s[12:13], 0x0
	s_load_dwordx4 s[16:19], s[0:1], 0x0
	s_mul_i32 s0, s5, s6
	v_mul_f32_e32 v0, 0x4f7ffffe, v0
	v_cvt_u32_f32_e32 v0, v0
	s_waitcnt lgkmcnt(0)
	s_mul_i32 s0, s0, s14
	s_mul_hi_i32 s1, s0, 0x54
	s_mulk_i32 s0, 0x54
	s_add_u32 s14, s16, s0
	s_addc_u32 s15, s17, s1
	s_sub_i32 s0, 0, s4
	v_readfirstlane_b32 s1, v0
	s_mul_i32 s0, s0, s1
	s_mul_hi_u32 s0, s1, s0
	s_add_i32 s1, s1, s0
	s_mul_hi_u32 s0, s8, s1
	s_mul_i32 s1, s0, s4
	s_sub_i32 s1, s8, s1
	s_add_i32 s13, s0, 1
	s_sub_i32 s16, s1, s4
	s_cmp_ge_u32 s1, s4
	s_cselect_b32 s0, s13, s0
	s_cselect_b32 s1, s16, s1
	s_add_i32 s13, s0, 1
	s_cmp_ge_u32 s1, s4
	s_cselect_b32 s0, s13, s0
	s_mul_i32 s0, s0, s7
	s_mov_b32 s1, s9
	s_lshl_b64 s[0:1], s[0:1], 2
	v_mov_b32_e32 v1, 0
	v_subrev_co_u32_e32 v2, vcc, 8, v8
	s_add_u32 s0, s18, s0
	v_lshrrev_b32_e32 v0, 1, v11
	v_cndmask_b32_e32 v6, v2, v8, vcc
	v_mov_b32_e32 v7, v1
	s_addc_u32 s1, s19, s1
	v_and_b32_e32 v4, 4, v0
	v_lshlrev_b64 v[2:3], 2, v[6:7]
	v_sub_u32_e32 v7, v8, v6
	v_cmp_lt_u32_e32 vcc, 3, v6
	v_mad_u64_u32 v[4:5], s[0:1], v4, 36, s[0:1]
	s_nop 0
	v_addc_co_u32_e32 v6, vcc, 0, v7, vcc
	s_movk_i32 s12, 0x54
	v_mul_lo_u32 v14, v10, s5
	v_lshlrev_b32_e32 v0, 2, v8
	v_ashrrev_i32_e32 v7, 31, v6
	v_lshlrev_b32_e32 v15, 3, v12
	s_mov_b64 s[0:1], 0
	v_mov_b64_e32 v[8:9], s[14:15]
	s_mov_b32 s4, 0x1010101
	v_mov_b32_e32 v13, v1
.LBB261_3:                              ; =>This Inner Loop Header: Depth=1
	v_mad_i64_i32 v[16:17], s[14:15], v15, 36, v[4:5]
	v_add_u32_e32 v18, v14, v12
	v_lshl_add_u64 v[20:21], v[16:17], 0, v[2:3]
	v_mad_i64_i32 v[18:19], s[14:15], v18, s12, v[8:9]
	global_load_dword v24, v[16:17], off
	global_load_dword v25, v[16:17], off offset:36
	global_load_dword v26, v[16:17], off offset:72
	;; [unrolled: 1-line block ×7, first 2 shown]
	v_lshl_add_u64 v[22:23], v[18:19], 0, v[0:1]
	v_lshl_add_u64 v[16:17], v[18:19], 0, v[6:7]
	global_load_dword v21, v[22:23], off offset:16
	global_load_ubyte v32, v[16:17], off
	global_load_ubyte v33, v[16:17], off offset:2
	global_load_ubyte v34, v[16:17], off offset:4
	;; [unrolled: 1-line block ×3, first 2 shown]
	global_load_dword v36, v[18:19], off offset:80
	v_mov_b32_e32 v17, 0
	v_mov_b32_e32 v19, 0
	v_mov_b32_e32 v23, 0
	v_mov_b32_e32 v37, 0
	v_mov_b32_e32 v38, 0
	v_mov_b32_e32 v40, 0
	v_mov_b32_e32 v39, 0
	v_mov_b32_e32 v41, 0
	v_add_u32_e32 v12, 4, v12
	v_cmp_le_u32_e32 vcc, s5, v12
	v_add_u32_e32 v15, 32, v15
	s_or_b64 s[0:1], vcc, s[0:1]
	s_waitcnt vmcnt(13)
	v_cvt_f32_f16_e32 v16, v24
	s_waitcnt vmcnt(5)
	v_lshrrev_b32_e32 v42, 2, v21
	v_cvt_f32_f16_e32 v20, v26
	v_cvt_f32_f16_e32 v22, v31
	v_and_b32_e32 v26, 0x3030303, v21
	s_waitcnt vmcnt(4)
	v_and_b32_e32 v31, 15, v32
	v_lshrrev_b32_e32 v32, 4, v32
	s_waitcnt vmcnt(3)
	v_and_b32_e32 v43, 15, v33
	v_lshrrev_b32_e32 v33, 4, v33
	v_lshrrev_b32_e32 v44, 4, v21
	;; [unrolled: 1-line block ×3, first 2 shown]
	v_dot4c_i32_i8_e32 v17, v26, v27
	v_mul_lo_u32 v26, v32, s4
	v_and_b32_e32 v32, 0x3030303, v42
	v_cvt_f32_f16_e32 v18, v25
	s_waitcnt vmcnt(2)
	v_and_b32_e32 v45, 15, v34
	v_lshrrev_b32_e32 v34, 4, v34
	s_waitcnt vmcnt(0)
	v_cvt_f32_f16_e32 v24, v36
	v_cvt_f32_f16_sdwa v25, v36 dst_sel:DWORD dst_unused:UNUSED_PAD src0_sel:WORD_1
	v_mul_lo_u32 v33, v33, s4
	v_and_b32_e32 v36, 0x3030303, v44
	v_and_b32_e32 v21, 0x3030303, v21
	v_mul_lo_u32 v17, v31, v17
	v_dot4c_i32_i8_e32 v19, v26, v27
	v_dot4c_i32_i8_e32 v23, v32, v28
	v_and_b32_e32 v46, 15, v35
	v_lshrrev_b32_e32 v35, 4, v35
	v_mul_lo_u32 v34, v34, s4
	v_dot4c_i32_i8_e32 v37, v33, v28
	v_dot4c_i32_i8_e32 v38, v36, v29
	;; [unrolled: 1-line block ×3, first 2 shown]
	v_mul_lo_u32 v21, v43, v23
	v_cvt_f32_i32_e32 v27, v19
	v_cvt_f32_i32_e32 v26, v17
	v_mul_lo_u32 v35, v35, s4
	v_dot4c_i32_i8_e32 v39, v34, v29
	v_mul_lo_u32 v23, v45, v38
	v_cvt_f32_i32_e32 v29, v37
	v_cvt_f32_i32_e32 v28, v21
	v_dot4c_i32_i8_e32 v41, v35, v30
	v_mul_lo_u32 v32, v46, v40
	v_cvt_f32_i32_e32 v31, v39
	v_cvt_f32_i32_e32 v30, v23
	v_cvt_f32_i32_e32 v33, v41
	v_cvt_f32_i32_e32 v32, v32
	v_pk_fma_f32 v[16:17], v[16:17], v[26:27], 0 op_sel_hi:[0,1,0]
	v_pk_fma_f32 v[16:17], v[18:19], v[28:29], v[16:17] op_sel_hi:[0,1,1]
	;; [unrolled: 1-line block ×4, first 2 shown]
	v_pk_mul_f32 v[16:17], v[16:17], v[24:25]
	s_nop 0
	v_sub_f32_e32 v16, v16, v17
	v_add_f32_e32 v13, v13, v16
	s_andn2_b64 exec, exec, s[0:1]
	s_cbranch_execnz .LBB261_3
; %bb.4:
	s_or_b64 exec, exec, s[0:1]
.LBB261_5:
	s_or_b64 exec, exec, s[10:11]
	v_mbcnt_lo_u32_b32 v0, -1, 0
	v_mbcnt_hi_u32_b32 v1, -1, v0
	v_and_b32_e32 v0, 64, v1
	v_add_u32_e32 v2, 64, v0
	v_xor_b32_e32 v0, 32, v1
	v_cmp_lt_i32_e32 vcc, v0, v2
	v_xor_b32_e32 v3, 16, v1
	v_xor_b32_e32 v4, 8, v1
	v_cndmask_b32_e32 v0, v1, v0, vcc
	v_lshlrev_b32_e32 v0, 2, v0
	ds_bpermute_b32 v0, v0, v13
	v_cmp_lt_i32_e32 vcc, v3, v2
	s_waitcnt lgkmcnt(0)
	v_add_f32_e32 v0, v13, v0
	v_cndmask_b32_e32 v3, v1, v3, vcc
	v_lshlrev_b32_e32 v3, 2, v3
	ds_bpermute_b32 v3, v3, v0
	v_cmp_lt_i32_e32 vcc, v4, v2
	s_waitcnt lgkmcnt(0)
	v_add_f32_e32 v0, v0, v3
	v_cndmask_b32_e32 v3, v1, v4, vcc
	v_lshlrev_b32_e32 v3, 2, v3
	ds_bpermute_b32 v3, v3, v0
	v_xor_b32_e32 v4, 4, v1
	v_cmp_lt_i32_e32 vcc, v4, v2
	s_waitcnt lgkmcnt(0)
	v_add_f32_e32 v0, v0, v3
	v_cndmask_b32_e32 v3, v1, v4, vcc
	v_lshlrev_b32_e32 v3, 2, v3
	ds_bpermute_b32 v3, v3, v0
	v_xor_b32_e32 v4, 2, v1
	;; [unrolled: 7-line block ×3, first 2 shown]
	v_cmp_lt_i32_e32 vcc, v4, v2
	s_waitcnt lgkmcnt(0)
	v_add_f32_e32 v0, v0, v3
	v_cndmask_b32_e32 v1, v1, v4, vcc
	v_lshlrev_b32_e32 v1, 2, v1
	ds_bpermute_b32 v1, v1, v0
	v_cmp_eq_u32_e32 vcc, 0, v11
	s_and_b64 exec, exec, vcc
	s_cbranch_execz .LBB261_7
; %bb.6:
	s_waitcnt lgkmcnt(0)
	v_add_f32_e32 v0, v0, v1
	v_cvt_f16_f32_e32 v2, v0
	s_mul_i32 s0, s6, s8
	v_add_u32_e32 v0, s0, v10
	v_mov_b32_e32 v1, 0
	v_lshl_add_u64 v[0:1], v[0:1], 1, s[2:3]
	global_store_short v[0:1], v2, off
.LBB261_7:
	s_endpgm
	.section	.rodata,"a",@progbits
	.p2align	6, 0x0
	.amdhsa_kernel _ZL9moe_vec_qIN3c104HalfELi256ELi16E10block_q2_KLi1EXadL_ZL17vec_dot_q2_K_q8_1PKvPK10block_q8_1RKiEEEvS4_S4_PT_PS8_iiii
		.amdhsa_group_segment_fixed_size 0
		.amdhsa_private_segment_fixed_size 0
		.amdhsa_kernarg_size 304
		.amdhsa_user_sgpr_count 2
		.amdhsa_user_sgpr_dispatch_ptr 0
		.amdhsa_user_sgpr_queue_ptr 0
		.amdhsa_user_sgpr_kernarg_segment_ptr 1
		.amdhsa_user_sgpr_dispatch_id 0
		.amdhsa_user_sgpr_kernarg_preload_length 0
		.amdhsa_user_sgpr_kernarg_preload_offset 0
		.amdhsa_user_sgpr_private_segment_size 0
		.amdhsa_uses_dynamic_stack 0
		.amdhsa_enable_private_segment 0
		.amdhsa_system_sgpr_workgroup_id_x 1
		.amdhsa_system_sgpr_workgroup_id_y 0
		.amdhsa_system_sgpr_workgroup_id_z 1
		.amdhsa_system_sgpr_workgroup_info 0
		.amdhsa_system_vgpr_workitem_id 1
		.amdhsa_next_free_vgpr 47
		.amdhsa_next_free_sgpr 20
		.amdhsa_accum_offset 48
		.amdhsa_reserve_vcc 1
		.amdhsa_float_round_mode_32 0
		.amdhsa_float_round_mode_16_64 0
		.amdhsa_float_denorm_mode_32 3
		.amdhsa_float_denorm_mode_16_64 3
		.amdhsa_dx10_clamp 1
		.amdhsa_ieee_mode 1
		.amdhsa_fp16_overflow 0
		.amdhsa_tg_split 0
		.amdhsa_exception_fp_ieee_invalid_op 0
		.amdhsa_exception_fp_denorm_src 0
		.amdhsa_exception_fp_ieee_div_zero 0
		.amdhsa_exception_fp_ieee_overflow 0
		.amdhsa_exception_fp_ieee_underflow 0
		.amdhsa_exception_fp_ieee_inexact 0
		.amdhsa_exception_int_div_zero 0
	.end_amdhsa_kernel
	.section	.text._ZL9moe_vec_qIN3c104HalfELi256ELi16E10block_q2_KLi1EXadL_ZL17vec_dot_q2_K_q8_1PKvPK10block_q8_1RKiEEEvS4_S4_PT_PS8_iiii,"axG",@progbits,_ZL9moe_vec_qIN3c104HalfELi256ELi16E10block_q2_KLi1EXadL_ZL17vec_dot_q2_K_q8_1PKvPK10block_q8_1RKiEEEvS4_S4_PT_PS8_iiii,comdat
.Lfunc_end261:
	.size	_ZL9moe_vec_qIN3c104HalfELi256ELi16E10block_q2_KLi1EXadL_ZL17vec_dot_q2_K_q8_1PKvPK10block_q8_1RKiEEEvS4_S4_PT_PS8_iiii, .Lfunc_end261-_ZL9moe_vec_qIN3c104HalfELi256ELi16E10block_q2_KLi1EXadL_ZL17vec_dot_q2_K_q8_1PKvPK10block_q8_1RKiEEEvS4_S4_PT_PS8_iiii
                                        ; -- End function
	.set _ZL9moe_vec_qIN3c104HalfELi256ELi16E10block_q2_KLi1EXadL_ZL17vec_dot_q2_K_q8_1PKvPK10block_q8_1RKiEEEvS4_S4_PT_PS8_iiii.num_vgpr, 47
	.set _ZL9moe_vec_qIN3c104HalfELi256ELi16E10block_q2_KLi1EXadL_ZL17vec_dot_q2_K_q8_1PKvPK10block_q8_1RKiEEEvS4_S4_PT_PS8_iiii.num_agpr, 0
	.set _ZL9moe_vec_qIN3c104HalfELi256ELi16E10block_q2_KLi1EXadL_ZL17vec_dot_q2_K_q8_1PKvPK10block_q8_1RKiEEEvS4_S4_PT_PS8_iiii.numbered_sgpr, 20
	.set _ZL9moe_vec_qIN3c104HalfELi256ELi16E10block_q2_KLi1EXadL_ZL17vec_dot_q2_K_q8_1PKvPK10block_q8_1RKiEEEvS4_S4_PT_PS8_iiii.num_named_barrier, 0
	.set _ZL9moe_vec_qIN3c104HalfELi256ELi16E10block_q2_KLi1EXadL_ZL17vec_dot_q2_K_q8_1PKvPK10block_q8_1RKiEEEvS4_S4_PT_PS8_iiii.private_seg_size, 0
	.set _ZL9moe_vec_qIN3c104HalfELi256ELi16E10block_q2_KLi1EXadL_ZL17vec_dot_q2_K_q8_1PKvPK10block_q8_1RKiEEEvS4_S4_PT_PS8_iiii.uses_vcc, 1
	.set _ZL9moe_vec_qIN3c104HalfELi256ELi16E10block_q2_KLi1EXadL_ZL17vec_dot_q2_K_q8_1PKvPK10block_q8_1RKiEEEvS4_S4_PT_PS8_iiii.uses_flat_scratch, 0
	.set _ZL9moe_vec_qIN3c104HalfELi256ELi16E10block_q2_KLi1EXadL_ZL17vec_dot_q2_K_q8_1PKvPK10block_q8_1RKiEEEvS4_S4_PT_PS8_iiii.has_dyn_sized_stack, 0
	.set _ZL9moe_vec_qIN3c104HalfELi256ELi16E10block_q2_KLi1EXadL_ZL17vec_dot_q2_K_q8_1PKvPK10block_q8_1RKiEEEvS4_S4_PT_PS8_iiii.has_recursion, 0
	.set _ZL9moe_vec_qIN3c104HalfELi256ELi16E10block_q2_KLi1EXadL_ZL17vec_dot_q2_K_q8_1PKvPK10block_q8_1RKiEEEvS4_S4_PT_PS8_iiii.has_indirect_call, 0
	.section	.AMDGPU.csdata,"",@progbits
; Kernel info:
; codeLenInByte = 1188
; TotalNumSgprs: 26
; NumVgprs: 47
; NumAgprs: 0
; TotalNumVgprs: 47
; ScratchSize: 0
; MemoryBound: 0
; FloatMode: 240
; IeeeMode: 1
; LDSByteSize: 0 bytes/workgroup (compile time only)
; SGPRBlocks: 3
; VGPRBlocks: 5
; NumSGPRsForWavesPerEU: 26
; NumVGPRsForWavesPerEU: 47
; AccumOffset: 48
; Occupancy: 8
; WaveLimiterHint : 1
; COMPUTE_PGM_RSRC2:SCRATCH_EN: 0
; COMPUTE_PGM_RSRC2:USER_SGPR: 2
; COMPUTE_PGM_RSRC2:TRAP_HANDLER: 0
; COMPUTE_PGM_RSRC2:TGID_X_EN: 1
; COMPUTE_PGM_RSRC2:TGID_Y_EN: 0
; COMPUTE_PGM_RSRC2:TGID_Z_EN: 1
; COMPUTE_PGM_RSRC2:TIDIG_COMP_CNT: 1
; COMPUTE_PGM_RSRC3_GFX90A:ACCUM_OFFSET: 11
; COMPUTE_PGM_RSRC3_GFX90A:TG_SPLIT: 0
	.section	.text._ZL9moe_vec_qIN3c104HalfELi256ELi16E10block_q3_KLi1EXadL_ZL17vec_dot_q3_K_q8_1PKvPK10block_q8_1RKiEEEvS4_S4_PT_PS8_iiii,"axG",@progbits,_ZL9moe_vec_qIN3c104HalfELi256ELi16E10block_q3_KLi1EXadL_ZL17vec_dot_q3_K_q8_1PKvPK10block_q8_1RKiEEEvS4_S4_PT_PS8_iiii,comdat
	.globl	_ZL9moe_vec_qIN3c104HalfELi256ELi16E10block_q3_KLi1EXadL_ZL17vec_dot_q3_K_q8_1PKvPK10block_q8_1RKiEEEvS4_S4_PT_PS8_iiii ; -- Begin function _ZL9moe_vec_qIN3c104HalfELi256ELi16E10block_q3_KLi1EXadL_ZL17vec_dot_q3_K_q8_1PKvPK10block_q8_1RKiEEEvS4_S4_PT_PS8_iiii
	.p2align	8
	.type	_ZL9moe_vec_qIN3c104HalfELi256ELi16E10block_q3_KLi1EXadL_ZL17vec_dot_q3_K_q8_1PKvPK10block_q8_1RKiEEEvS4_S4_PT_PS8_iiii,@function
_ZL9moe_vec_qIN3c104HalfELi256ELi16E10block_q3_KLi1EXadL_ZL17vec_dot_q3_K_q8_1PKvPK10block_q8_1RKiEEEvS4_S4_PT_PS8_iiii: ; @_ZL9moe_vec_qIN3c104HalfELi256ELi16E10block_q3_KLi1EXadL_ZL17vec_dot_q3_K_q8_1PKvPK10block_q8_1RKiEEEvS4_S4_PT_PS8_iiii
; %bb.0:
	s_mov_b32 s8, s3
	s_load_dword s3, s[0:1], 0x3c
	s_load_dwordx4 s[4:7], s[0:1], 0x20
	v_bfe_u32 v1, v0, 10, 10
	s_waitcnt lgkmcnt(0)
	s_lshr_b32 s3, s3, 16
	s_mul_i32 s2, s2, s3
	v_add_u32_e32 v22, s2, v1
	v_cmp_gt_u32_e32 vcc, s6, v22
	s_and_saveexec_b64 s[2:3], vcc
	s_cbranch_execz .LBB262_7
; %bb.1:
	s_load_dwordx2 s[2:3], s[0:1], 0x10
	s_ashr_i32 s9, s5, 31
	s_lshr_b32 s9, s9, 24
	s_add_i32 s5, s5, s9
	s_ashr_i32 s12, s5, 8
	v_bfe_u32 v24, v0, 4, 6
	v_and_b32_e32 v23, 0x3ff, v0
	v_cmp_gt_u32_e32 vcc, s12, v24
	v_mov_b32_e32 v33, 0
	s_and_saveexec_b64 s[10:11], vcc
	s_cbranch_execz .LBB262_5
; %bb.2:
	s_load_dwordx2 s[14:15], s[0:1], 0x18
	v_cvt_f32_u32_e32 v0, s4
	s_mov_b32 s9, 0
	s_lshl_b64 s[16:17], s[8:9], 2
	v_and_b32_e32 v8, 15, v23
	s_waitcnt lgkmcnt(0)
	s_add_u32 s14, s14, s16
	v_rcp_iflag_f32_e32 v0, v0
	s_addc_u32 s15, s15, s17
	s_load_dword s5, s[14:15], 0x0
	s_load_dwordx4 s[16:19], s[0:1], 0x0
	s_mul_i32 s0, s12, s6
	v_mul_f32_e32 v0, 0x4f7ffffe, v0
	v_cvt_u32_f32_e32 v0, v0
	s_waitcnt lgkmcnt(0)
	s_mul_i32 s0, s0, s5
	s_mul_hi_i32 s1, s0, 0x6e
	s_mulk_i32 s0, 0x6e
	s_add_u32 s0, s16, s0
	s_addc_u32 s1, s17, s1
	s_sub_i32 s5, 0, s4
	v_readfirstlane_b32 s14, v0
	s_mul_i32 s5, s5, s14
	s_mul_hi_u32 s5, s14, s5
	s_add_i32 s14, s14, s5
	v_lshrrev_b32_e32 v0, 1, v23
	s_mul_hi_u32 s5, s8, s14
	v_and_b32_e32 v26, 4, v0
	v_subrev_co_u32_e32 v0, vcc, 8, v8
	v_mov_b32_e32 v1, 0
	s_mul_i32 s14, s5, s4
	v_cndmask_b32_e32 v6, v0, v8, vcc
	v_mov_b32_e32 v7, v1
	s_sub_i32 s14, s8, s14
	v_lshlrev_b64 v[2:3], 2, v[6:7]
	v_sub_u32_e32 v7, v8, v6
	v_cmp_lt_u32_e32 vcc, 3, v6
	s_add_i32 s15, s5, 1
	s_sub_i32 s16, s14, s4
	v_addc_co_u32_e32 v18, vcc, 0, v7, vcc
	s_cmp_ge_u32 s14, s4
	v_mov_b32_e32 v19, 7
	v_add_u16_e32 v12, 2, v18
	s_cselect_b32 s5, s15, s5
	v_lshlrev_b32_e32 v0, 2, v8
	v_lshrrev_b16_sdwa v8, v19, sext(v18) dst_sel:DWORD dst_unused:UNUSED_PAD src0_sel:DWORD src1_sel:BYTE_0
	v_mov_b32_e32 v20, 5
	v_mov_b32_e32 v35, 6
	v_lshrrev_b16_sdwa v13, v19, sext(v12) dst_sel:DWORD dst_unused:UNUSED_PAD src0_sel:DWORD src1_sel:BYTE_0
	s_cselect_b32 s14, s16, s14
	s_add_i32 s15, s5, 1
	v_lshrrev_b16_sdwa v6, v20, v8 dst_sel:DWORD dst_unused:UNUSED_PAD src0_sel:DWORD src1_sel:BYTE_0
	v_lshrrev_b16_sdwa v8, v35, v8 dst_sel:DWORD dst_unused:UNUSED_PAD src0_sel:DWORD src1_sel:BYTE_0
	v_lshrrev_b16_sdwa v10, v20, v13 dst_sel:DWORD dst_unused:UNUSED_PAD src0_sel:DWORD src1_sel:BYTE_0
	v_lshrrev_b16_sdwa v13, v35, v13 dst_sel:DWORD dst_unused:UNUSED_PAD src0_sel:DWORD src1_sel:BYTE_0
	s_cmp_ge_u32 s14, s4
	v_add_u16_e32 v6, v18, v6
	v_mov_b32_e32 v21, 3
	v_mov_b32_e32 v33, 2
	v_add_u16_e32 v8, v18, v8
	v_add_u16_e32 v13, v12, v13
	;; [unrolled: 1-line block ×4, first 2 shown]
	s_cselect_b32 s4, s15, s5
	v_lshrrev_b16_sdwa v7, v21, sext(v6) dst_sel:DWORD dst_unused:UNUSED_PAD src0_sel:DWORD src1_sel:BYTE_0
	v_and_b32_e32 v6, 0xf8, v6
	v_ashrrev_i16_sdwa v9, v33, sext(v8) dst_sel:DWORD dst_unused:UNUSED_PAD src0_sel:DWORD src1_sel:BYTE_0
	v_and_b32_e32 v8, 0xfc, v8
	v_mov_b32_e32 v36, 1
	v_ashrrev_i16_sdwa v14, v33, sext(v13) dst_sel:DWORD dst_unused:UNUSED_PAD src0_sel:DWORD src1_sel:BYTE_0
	v_lshrrev_b16_sdwa v17, v19, sext(v16) dst_sel:DWORD dst_unused:UNUSED_PAD src0_sel:DWORD src1_sel:BYTE_0
	v_lshrrev_b16_sdwa v38, v19, sext(v37) dst_sel:DWORD dst_unused:UNUSED_PAD src0_sel:DWORD src1_sel:BYTE_0
	s_mul_i32 s4, s4, s7
	s_mov_b32 s5, s9
	v_sub_u16_e32 v6, v18, v6
	v_sub_u16_e32 v8, v18, v8
	v_lshlrev_b32_sdwa v30, v36, sext(v14) dst_sel:DWORD dst_unused:UNUSED_PAD src0_sel:DWORD src1_sel:WORD_0
	v_lshrrev_b16_sdwa v14, v20, v17 dst_sel:DWORD dst_unused:UNUSED_PAD src0_sel:DWORD src1_sel:BYTE_0
	v_lshrrev_b16_sdwa v17, v35, v17 dst_sel:DWORD dst_unused:UNUSED_PAD src0_sel:DWORD src1_sel:BYTE_0
	v_lshrrev_b16_sdwa v18, v20, v38 dst_sel:DWORD dst_unused:UNUSED_PAD src0_sel:DWORD src1_sel:BYTE_0
	v_lshrrev_b16_sdwa v20, v35, v38 dst_sel:DWORD dst_unused:UNUSED_PAD src0_sel:DWORD src1_sel:BYTE_0
	s_lshl_b64 s[4:5], s[4:5], 2
	v_add_u16_e32 v10, v12, v10
	v_add_u16_e32 v14, v16, v14
	v_add_u16_e32 v17, v16, v17
	v_add_u16_e32 v18, v37, v18
	v_add_u16_e32 v20, v37, v20
	s_add_u32 s4, s18, s4
	v_lshrrev_b16_sdwa v11, v21, sext(v10) dst_sel:DWORD dst_unused:UNUSED_PAD src0_sel:DWORD src1_sel:BYTE_0
	v_and_b32_e32 v10, 0xf8, v10
	v_and_b32_e32 v13, 0xfc, v13
	v_lshrrev_b16_sdwa v15, v21, sext(v14) dst_sel:DWORD dst_unused:UNUSED_PAD src0_sel:DWORD src1_sel:BYTE_0
	v_and_b32_e32 v14, 0xf8, v14
	v_lshrrev_b16_sdwa v32, v33, sext(v17) dst_sel:DWORD dst_unused:UNUSED_PAD src0_sel:DWORD src1_sel:BYTE_0
	;; [unrolled: 2-line block ×4, first 2 shown]
	v_and_b32_e32 v20, 0xfc, v20
	s_addc_u32 s5, s19, s5
	v_sub_u16_e32 v10, v12, v10
	v_sub_u16_e32 v12, v12, v13
	;; [unrolled: 1-line block ×6, first 2 shown]
	v_mad_u64_u32 v[4:5], s[4:5], v26, 36, s[4:5]
	v_bfe_i32 v6, v6, 0, 8
	v_bfe_i32 v8, v8, 0, 8
	v_bfe_i32 v10, v10, 0, 8
	v_bfe_i32 v12, v12, 0, 8
	v_bfe_i32 v14, v14, 0, 8
	v_bfe_i32 v16, v16, 0, 8
	v_bfe_i32 v18, v18, 0, 8
	v_bfe_i32 v20, v20, 0, 8
	s_movk_i32 s13, 0x6e
	v_mul_lo_u32 v25, v22, s12
	s_movk_i32 s7, 0xff
	v_lshlrev_b32_sdwa v27, v33, v7 dst_sel:DWORD dst_unused:UNUSED_PAD src0_sel:DWORD src1_sel:BYTE_0
	v_ashrrev_i32_e32 v7, 31, v6
	v_lshlrev_b32_sdwa v28, v36, sext(v9) dst_sel:DWORD dst_unused:UNUSED_PAD src0_sel:DWORD src1_sel:WORD_0
	v_ashrrev_i32_e32 v9, 31, v8
	v_lshlrev_b32_sdwa v29, v33, v11 dst_sel:DWORD dst_unused:UNUSED_PAD src0_sel:DWORD src1_sel:BYTE_0
	v_ashrrev_i32_e32 v11, 31, v10
	v_ashrrev_i32_e32 v13, 31, v12
	v_lshlrev_b32_sdwa v31, v33, v15 dst_sel:DWORD dst_unused:UNUSED_PAD src0_sel:DWORD src1_sel:BYTE_0
	v_ashrrev_i32_e32 v15, 31, v14
	v_lshlrev_b32_sdwa v32, v36, v32 dst_sel:DWORD dst_unused:UNUSED_PAD src0_sel:DWORD src1_sel:BYTE_0
	;; [unrolled: 2-line block ×4, first 2 shown]
	v_ashrrev_i32_e32 v21, 31, v20
	v_lshlrev_b32_e32 v36, 3, v24
	s_mov_b64 s[4:5], 0
	s_mov_b32 s9, 0x4040404
	v_mov_b32_e32 v33, v1
.LBB262_3:                              ; =>This Inner Loop Header: Depth=1
	v_add_u32_e32 v37, v25, v24
	v_mov_b64_e32 v[38:39], s[0:1]
	v_mad_i64_i32 v[46:47], s[14:15], v36, 36, v[4:5]
	v_mad_i64_i32 v[48:49], s[14:15], v37, s13, v[38:39]
	v_lshl_add_u64 v[50:51], v[46:47], 0, v[2:3]
	global_load_dword v37, v[46:47], off
	global_load_dword v38, v[46:47], off offset:36
	global_load_dword v39, v[46:47], off offset:72
	v_lshl_add_u64 v[54:55], v[48:49], 0, v[2:3]
	global_load_dword v41, v[50:51], off offset:4
	global_load_dword v42, v[50:51], off offset:40
	;; [unrolled: 1-line block ×5, first 2 shown]
	v_lshl_add_u64 v[46:47], v[48:49], 0, v[6:7]
	v_lshl_add_u64 v[52:53], v[48:49], 0, v[0:1]
	;; [unrolled: 1-line block ×5, first 2 shown]
	global_load_ushort v44, v[48:49], off offset:108
	global_load_dword v62, v[52:53], off offset:32
	global_load_dword v63, v[54:55], off
	s_nop 0
	global_load_ubyte v54, v[46:47], off offset:96
	global_load_ubyte v55, v[50:51], off offset:104
	v_lshl_add_u64 v[60:61], v[48:49], 0, v[14:15]
	v_lshl_add_u64 v[52:53], v[48:49], 0, v[16:17]
	;; [unrolled: 1-line block ×4, first 2 shown]
	global_load_ubyte v50, v[56:57], off offset:96
	global_load_ubyte v51, v[58:59], off offset:104
                                        ; kill: killed $vgpr56_vgpr57
                                        ; kill: killed $vgpr58_vgpr59
	s_nop 0
	global_load_ubyte v56, v[60:61], off offset:96
	global_load_ubyte v57, v[52:53], off offset:104
	;; [unrolled: 1-line block ×4, first 2 shown]
	v_add_u32_e32 v24, 4, v24
	v_cmp_le_u32_e32 vcc, s12, v24
	v_add_u32_e32 v36, 32, v36
	s_or_b64 s[4:5], vcc, s[4:5]
	s_waitcnt vmcnt(5)
	v_bfe_u32 v50, v50, v29, 4
	v_ashrrev_i32_e32 v46, v26, v63
	v_lshrrev_b32_e32 v48, v28, v55
	v_bfe_u32 v47, v54, v27, 4
	s_waitcnt vmcnt(4)
	v_lshrrev_b32_e32 v51, v30, v51
	s_waitcnt vmcnt(3)
	v_bfe_u32 v54, v56, v31, 4
	s_waitcnt vmcnt(2)
	v_lshrrev_b32_e32 v55, v32, v57
	v_lshrrev_b32_e32 v56, 4, v62
	s_waitcnt vmcnt(1)
	v_bfe_u32 v57, v58, v34, 4
	s_waitcnt vmcnt(0)
	v_lshrrev_b32_e32 v58, v35, v59
	v_lshlrev_b32_e32 v48, 4, v48
	v_not_b32_e32 v59, v46
	v_lshlrev_b32_e32 v51, 4, v51
	v_lshlrev_b32_e32 v55, 4, v55
	v_and_or_b32 v47, v48, 48, v47
	v_bfe_u32 v48, v56, 24, 2
	v_and_b32_e32 v56, 0x3030303, v56
	v_bitop3_b32 v46, v46, s9, v46 bitop3:0xc
	v_lshlrev_b32_e32 v58, 4, v58
	v_lshrrev_b32_e32 v53, 2, v62
	v_and_or_b32 v50, v51, 48, v50
	v_and_or_b32 v51, v55, 48, v54
	v_sub_u16_e32 v54, v56, v46
	v_sub_u16_sdwa v55, v56, v46 dst_sel:BYTE_1 dst_unused:UNUSED_PAD src0_sel:BYTE_1 src1_sel:BYTE_1
	v_sub_u16_sdwa v56, v56, v46 dst_sel:DWORD dst_unused:UNUSED_PAD src0_sel:WORD_1 src1_sel:WORD_1
	v_sub_u16_sdwa v46, v48, v46 dst_sel:BYTE_1 dst_unused:UNUSED_PAD src0_sel:DWORD src1_sel:BYTE_3
	v_lshlrev_b32_e32 v48, 2, v59
	v_and_or_b32 v57, v58, 48, v57
	v_lshlrev_b32_e32 v58, 1, v59
	v_bfe_u32 v49, v62, 24, 2
	v_and_b32_e32 v52, 0x3030303, v62
	v_bfe_u32 v60, v53, 24, 2
	v_and_b32_e32 v53, 0x3030303, v53
	v_and_b32_e32 v48, 0x4040404, v48
	v_and_b32_e32 v58, 0x4040404, v58
	v_bitop3_b16 v54, v54, v55, s7 bitop3:0xec
	v_bitop3_b16 v46, v56, v46, s7 bitop3:0xec
	v_sub_u16_e32 v55, v52, v48
	v_sub_u16_sdwa v56, v52, v48 dst_sel:BYTE_1 dst_unused:UNUSED_PAD src0_sel:BYTE_1 src1_sel:BYTE_1
	v_sub_u16_sdwa v52, v52, v48 dst_sel:DWORD dst_unused:UNUSED_PAD src0_sel:WORD_1 src1_sel:WORD_1
	v_sub_u16_sdwa v48, v49, v48 dst_sel:BYTE_1 dst_unused:UNUSED_PAD src0_sel:DWORD src1_sel:BYTE_3
	v_sub_u16_e32 v49, v53, v58
	v_sub_u16_sdwa v61, v53, v58 dst_sel:BYTE_1 dst_unused:UNUSED_PAD src0_sel:BYTE_1 src1_sel:BYTE_1
	v_sub_u16_sdwa v53, v53, v58 dst_sel:DWORD dst_unused:UNUSED_PAD src0_sel:WORD_1 src1_sel:WORD_1
	v_sub_u16_sdwa v58, v60, v58 dst_sel:BYTE_1 dst_unused:UNUSED_PAD src0_sel:DWORD src1_sel:BYTE_3
	v_lshrrev_b32_e32 v60, 6, v62
	v_lshrrev_b32_e32 v59, 1, v59
	;; [unrolled: 1-line block ×3, first 2 shown]
	v_and_b32_e32 v60, 0x3030303, v60
	v_and_b32_e32 v59, 0x4040404, v59
	v_bitop3_b16 v48, v52, v48, s7 bitop3:0xec
	v_lshlrev_b32_e32 v46, 16, v46
	v_sub_u16_e32 v63, v60, v59
	v_sub_u16_sdwa v64, v60, v59 dst_sel:BYTE_1 dst_unused:UNUSED_PAD src0_sel:BYTE_1 src1_sel:BYTE_1
	v_sub_u16_sdwa v60, v60, v59 dst_sel:DWORD dst_unused:UNUSED_PAD src0_sel:WORD_1 src1_sel:WORD_1
	v_sub_u16_sdwa v59, v62, v59 dst_sel:BYTE_1 dst_unused:UNUSED_PAD src0_sel:DWORD src1_sel:BYTE_3
	v_bitop3_b16 v55, v55, v56, s7 bitop3:0xec
	v_bitop3_b16 v53, v53, v58, s7 bitop3:0xec
	v_or_b32_sdwa v46, v54, v46 dst_sel:DWORD dst_unused:UNUSED_PAD src0_sel:WORD_0 src1_sel:DWORD
	v_mov_b32_e32 v54, 0
	v_lshlrev_b32_e32 v48, 16, v48
	v_bitop3_b16 v49, v49, v61, s7 bitop3:0xec
	v_mov_b32_e32 v52, 0
	v_bitop3_b16 v59, v60, v59, s7 bitop3:0xec
	v_lshlrev_b32_e32 v53, 16, v53
	v_dot4c_i32_i8_e32 v54, v46, v45
	v_or_b32_sdwa v46, v55, v48 dst_sel:DWORD dst_unused:UNUSED_PAD src0_sel:WORD_0 src1_sel:DWORD
	v_mov_b32_e32 v56, 0
	v_bitop3_b16 v58, v63, v64, s7 bitop3:0xec
	v_subrev_u32_e32 v47, 32, v47
	v_lshlrev_b32_e32 v45, 16, v59
	v_or_b32_sdwa v48, v49, v53 dst_sel:DWORD dst_unused:UNUSED_PAD src0_sel:WORD_0 src1_sel:DWORD
	v_dot4c_i32_i8_e32 v52, v46, v41
	v_mov_b32_e32 v61, 0
	v_subrev_u32_e32 v50, 32, v50
	v_or_b32_sdwa v45, v58, v45 dst_sel:DWORD dst_unused:UNUSED_PAD src0_sel:WORD_0 src1_sel:DWORD
	v_dot4c_i32_i8_e32 v56, v48, v42
	v_mul_lo_u32 v42, v47, v52
	v_subrev_u32_e32 v51, 32, v51
	v_dot4c_i32_i8_e32 v61, v45, v43
	v_mul_lo_u32 v43, v50, v56
	v_cvt_f32_i32_e32 v42, v42
	v_subrev_u32_e32 v57, 32, v57
	v_mul_lo_u32 v49, v51, v54
	v_cvt_f32_i32_e32 v43, v43
	v_cvt_f32_i32_e32 v41, v49
	v_mul_lo_u32 v45, v57, v61
	v_cvt_f32_i32_e32 v45, v45
	v_fma_mix_f32 v37, v37, v42, 0 op_sel_hi:[1,0,0]
	s_nop 0
	v_fma_mix_f32 v37, v38, v43, v37 op_sel_hi:[1,0,0]
	s_nop 0
	;; [unrolled: 2-line block ×4, first 2 shown]
	v_fma_mix_f32 v33, v37, v44, v33 op_sel_hi:[0,1,0]
	s_andn2_b64 exec, exec, s[4:5]
	s_cbranch_execnz .LBB262_3
; %bb.4:
	s_or_b64 exec, exec, s[4:5]
.LBB262_5:
	s_or_b64 exec, exec, s[10:11]
	v_mbcnt_lo_u32_b32 v0, -1, 0
	v_mbcnt_hi_u32_b32 v1, -1, v0
	v_and_b32_e32 v0, 64, v1
	v_add_u32_e32 v2, 64, v0
	v_xor_b32_e32 v0, 32, v1
	v_cmp_lt_i32_e32 vcc, v0, v2
	v_xor_b32_e32 v3, 16, v1
	v_xor_b32_e32 v4, 8, v1
	v_cndmask_b32_e32 v0, v1, v0, vcc
	v_lshlrev_b32_e32 v0, 2, v0
	ds_bpermute_b32 v0, v0, v33
	v_cmp_lt_i32_e32 vcc, v3, v2
	s_waitcnt lgkmcnt(0)
	v_add_f32_e32 v0, v33, v0
	v_cndmask_b32_e32 v3, v1, v3, vcc
	v_lshlrev_b32_e32 v3, 2, v3
	ds_bpermute_b32 v3, v3, v0
	v_cmp_lt_i32_e32 vcc, v4, v2
	s_waitcnt lgkmcnt(0)
	v_add_f32_e32 v0, v0, v3
	v_cndmask_b32_e32 v3, v1, v4, vcc
	v_lshlrev_b32_e32 v3, 2, v3
	ds_bpermute_b32 v3, v3, v0
	v_xor_b32_e32 v4, 4, v1
	v_cmp_lt_i32_e32 vcc, v4, v2
	s_waitcnt lgkmcnt(0)
	v_add_f32_e32 v0, v0, v3
	v_cndmask_b32_e32 v3, v1, v4, vcc
	v_lshlrev_b32_e32 v3, 2, v3
	ds_bpermute_b32 v3, v3, v0
	v_xor_b32_e32 v4, 2, v1
	;; [unrolled: 7-line block ×3, first 2 shown]
	v_cmp_lt_i32_e32 vcc, v4, v2
	s_waitcnt lgkmcnt(0)
	v_add_f32_e32 v0, v0, v3
	v_cndmask_b32_e32 v1, v1, v4, vcc
	v_lshlrev_b32_e32 v1, 2, v1
	ds_bpermute_b32 v1, v1, v0
	v_cmp_eq_u32_e32 vcc, 0, v23
	s_and_b64 exec, exec, vcc
	s_cbranch_execz .LBB262_7
; %bb.6:
	s_waitcnt lgkmcnt(0)
	v_add_f32_e32 v0, v0, v1
	v_cvt_f16_f32_e32 v2, v0
	s_mul_i32 s0, s6, s8
	v_add_u32_e32 v0, s0, v22
	v_mov_b32_e32 v1, 0
	v_lshl_add_u64 v[0:1], v[0:1], 1, s[2:3]
	global_store_short v[0:1], v2, off
.LBB262_7:
	s_endpgm
	.section	.rodata,"a",@progbits
	.p2align	6, 0x0
	.amdhsa_kernel _ZL9moe_vec_qIN3c104HalfELi256ELi16E10block_q3_KLi1EXadL_ZL17vec_dot_q3_K_q8_1PKvPK10block_q8_1RKiEEEvS4_S4_PT_PS8_iiii
		.amdhsa_group_segment_fixed_size 0
		.amdhsa_private_segment_fixed_size 0
		.amdhsa_kernarg_size 304
		.amdhsa_user_sgpr_count 2
		.amdhsa_user_sgpr_dispatch_ptr 0
		.amdhsa_user_sgpr_queue_ptr 0
		.amdhsa_user_sgpr_kernarg_segment_ptr 1
		.amdhsa_user_sgpr_dispatch_id 0
		.amdhsa_user_sgpr_kernarg_preload_length 0
		.amdhsa_user_sgpr_kernarg_preload_offset 0
		.amdhsa_user_sgpr_private_segment_size 0
		.amdhsa_uses_dynamic_stack 0
		.amdhsa_enable_private_segment 0
		.amdhsa_system_sgpr_workgroup_id_x 1
		.amdhsa_system_sgpr_workgroup_id_y 0
		.amdhsa_system_sgpr_workgroup_id_z 1
		.amdhsa_system_sgpr_workgroup_info 0
		.amdhsa_system_vgpr_workitem_id 1
		.amdhsa_next_free_vgpr 65
		.amdhsa_next_free_sgpr 20
		.amdhsa_accum_offset 68
		.amdhsa_reserve_vcc 1
		.amdhsa_float_round_mode_32 0
		.amdhsa_float_round_mode_16_64 0
		.amdhsa_float_denorm_mode_32 3
		.amdhsa_float_denorm_mode_16_64 3
		.amdhsa_dx10_clamp 1
		.amdhsa_ieee_mode 1
		.amdhsa_fp16_overflow 0
		.amdhsa_tg_split 0
		.amdhsa_exception_fp_ieee_invalid_op 0
		.amdhsa_exception_fp_denorm_src 0
		.amdhsa_exception_fp_ieee_div_zero 0
		.amdhsa_exception_fp_ieee_overflow 0
		.amdhsa_exception_fp_ieee_underflow 0
		.amdhsa_exception_fp_ieee_inexact 0
		.amdhsa_exception_int_div_zero 0
	.end_amdhsa_kernel
	.section	.text._ZL9moe_vec_qIN3c104HalfELi256ELi16E10block_q3_KLi1EXadL_ZL17vec_dot_q3_K_q8_1PKvPK10block_q8_1RKiEEEvS4_S4_PT_PS8_iiii,"axG",@progbits,_ZL9moe_vec_qIN3c104HalfELi256ELi16E10block_q3_KLi1EXadL_ZL17vec_dot_q3_K_q8_1PKvPK10block_q8_1RKiEEEvS4_S4_PT_PS8_iiii,comdat
.Lfunc_end262:
	.size	_ZL9moe_vec_qIN3c104HalfELi256ELi16E10block_q3_KLi1EXadL_ZL17vec_dot_q3_K_q8_1PKvPK10block_q8_1RKiEEEvS4_S4_PT_PS8_iiii, .Lfunc_end262-_ZL9moe_vec_qIN3c104HalfELi256ELi16E10block_q3_KLi1EXadL_ZL17vec_dot_q3_K_q8_1PKvPK10block_q8_1RKiEEEvS4_S4_PT_PS8_iiii
                                        ; -- End function
	.set _ZL9moe_vec_qIN3c104HalfELi256ELi16E10block_q3_KLi1EXadL_ZL17vec_dot_q3_K_q8_1PKvPK10block_q8_1RKiEEEvS4_S4_PT_PS8_iiii.num_vgpr, 65
	.set _ZL9moe_vec_qIN3c104HalfELi256ELi16E10block_q3_KLi1EXadL_ZL17vec_dot_q3_K_q8_1PKvPK10block_q8_1RKiEEEvS4_S4_PT_PS8_iiii.num_agpr, 0
	.set _ZL9moe_vec_qIN3c104HalfELi256ELi16E10block_q3_KLi1EXadL_ZL17vec_dot_q3_K_q8_1PKvPK10block_q8_1RKiEEEvS4_S4_PT_PS8_iiii.numbered_sgpr, 20
	.set _ZL9moe_vec_qIN3c104HalfELi256ELi16E10block_q3_KLi1EXadL_ZL17vec_dot_q3_K_q8_1PKvPK10block_q8_1RKiEEEvS4_S4_PT_PS8_iiii.num_named_barrier, 0
	.set _ZL9moe_vec_qIN3c104HalfELi256ELi16E10block_q3_KLi1EXadL_ZL17vec_dot_q3_K_q8_1PKvPK10block_q8_1RKiEEEvS4_S4_PT_PS8_iiii.private_seg_size, 0
	.set _ZL9moe_vec_qIN3c104HalfELi256ELi16E10block_q3_KLi1EXadL_ZL17vec_dot_q3_K_q8_1PKvPK10block_q8_1RKiEEEvS4_S4_PT_PS8_iiii.uses_vcc, 1
	.set _ZL9moe_vec_qIN3c104HalfELi256ELi16E10block_q3_KLi1EXadL_ZL17vec_dot_q3_K_q8_1PKvPK10block_q8_1RKiEEEvS4_S4_PT_PS8_iiii.uses_flat_scratch, 0
	.set _ZL9moe_vec_qIN3c104HalfELi256ELi16E10block_q3_KLi1EXadL_ZL17vec_dot_q3_K_q8_1PKvPK10block_q8_1RKiEEEvS4_S4_PT_PS8_iiii.has_dyn_sized_stack, 0
	.set _ZL9moe_vec_qIN3c104HalfELi256ELi16E10block_q3_KLi1EXadL_ZL17vec_dot_q3_K_q8_1PKvPK10block_q8_1RKiEEEvS4_S4_PT_PS8_iiii.has_recursion, 0
	.set _ZL9moe_vec_qIN3c104HalfELi256ELi16E10block_q3_KLi1EXadL_ZL17vec_dot_q3_K_q8_1PKvPK10block_q8_1RKiEEEvS4_S4_PT_PS8_iiii.has_indirect_call, 0
	.section	.AMDGPU.csdata,"",@progbits
; Kernel info:
; codeLenInByte = 2060
; TotalNumSgprs: 26
; NumVgprs: 65
; NumAgprs: 0
; TotalNumVgprs: 65
; ScratchSize: 0
; MemoryBound: 0
; FloatMode: 240
; IeeeMode: 1
; LDSByteSize: 0 bytes/workgroup (compile time only)
; SGPRBlocks: 3
; VGPRBlocks: 8
; NumSGPRsForWavesPerEU: 26
; NumVGPRsForWavesPerEU: 65
; AccumOffset: 68
; Occupancy: 7
; WaveLimiterHint : 1
; COMPUTE_PGM_RSRC2:SCRATCH_EN: 0
; COMPUTE_PGM_RSRC2:USER_SGPR: 2
; COMPUTE_PGM_RSRC2:TRAP_HANDLER: 0
; COMPUTE_PGM_RSRC2:TGID_X_EN: 1
; COMPUTE_PGM_RSRC2:TGID_Y_EN: 0
; COMPUTE_PGM_RSRC2:TGID_Z_EN: 1
; COMPUTE_PGM_RSRC2:TIDIG_COMP_CNT: 1
; COMPUTE_PGM_RSRC3_GFX90A:ACCUM_OFFSET: 16
; COMPUTE_PGM_RSRC3_GFX90A:TG_SPLIT: 0
	.section	.text._ZL9moe_vec_qIN3c104HalfELi256ELi32E10block_q4_KLi2EXadL_ZL17vec_dot_q4_K_q8_1PKvPK10block_q8_1RKiEEEvS4_S4_PT_PS8_iiii,"axG",@progbits,_ZL9moe_vec_qIN3c104HalfELi256ELi32E10block_q4_KLi2EXadL_ZL17vec_dot_q4_K_q8_1PKvPK10block_q8_1RKiEEEvS4_S4_PT_PS8_iiii,comdat
	.globl	_ZL9moe_vec_qIN3c104HalfELi256ELi32E10block_q4_KLi2EXadL_ZL17vec_dot_q4_K_q8_1PKvPK10block_q8_1RKiEEEvS4_S4_PT_PS8_iiii ; -- Begin function _ZL9moe_vec_qIN3c104HalfELi256ELi32E10block_q4_KLi2EXadL_ZL17vec_dot_q4_K_q8_1PKvPK10block_q8_1RKiEEEvS4_S4_PT_PS8_iiii
	.p2align	8
	.type	_ZL9moe_vec_qIN3c104HalfELi256ELi32E10block_q4_KLi2EXadL_ZL17vec_dot_q4_K_q8_1PKvPK10block_q8_1RKiEEEvS4_S4_PT_PS8_iiii,@function
_ZL9moe_vec_qIN3c104HalfELi256ELi32E10block_q4_KLi2EXadL_ZL17vec_dot_q4_K_q8_1PKvPK10block_q8_1RKiEEEvS4_S4_PT_PS8_iiii: ; @_ZL9moe_vec_qIN3c104HalfELi256ELi32E10block_q4_KLi2EXadL_ZL17vec_dot_q4_K_q8_1PKvPK10block_q8_1RKiEEEvS4_S4_PT_PS8_iiii
; %bb.0:
	s_mov_b32 s8, s3
	s_load_dword s3, s[0:1], 0x3c
	s_load_dwordx4 s[4:7], s[0:1], 0x20
	v_bfe_u32 v1, v0, 10, 10
	s_waitcnt lgkmcnt(0)
	s_lshr_b32 s3, s3, 16
	s_mul_i32 s2, s2, s3
	v_add_u32_e32 v16, s2, v1
	v_cmp_gt_u32_e32 vcc, s6, v16
	s_and_saveexec_b64 s[2:3], vcc
	s_cbranch_execz .LBB263_11
; %bb.1:
	s_load_dwordx2 s[2:3], s[0:1], 0x10
	s_ashr_i32 s9, s5, 31
	s_lshr_b32 s9, s9, 24
	s_add_i32 s5, s5, s9
	s_ashr_i32 s12, s5, 8
	v_bfe_u32 v18, v0, 4, 6
	v_and_b32_e32 v17, 0x3ff, v0
	v_cmp_gt_u32_e32 vcc, s12, v18
	v_mov_b32_e32 v20, 0
	s_and_saveexec_b64 s[10:11], vcc
	s_cbranch_execz .LBB263_9
; %bb.2:
	s_load_dwordx2 s[14:15], s[0:1], 0x18
	v_cvt_f32_u32_e32 v0, s4
	s_mov_b32 s9, 0
	s_lshl_b64 s[16:17], s[8:9], 2
	v_mov_b32_e32 v1, 0
	s_waitcnt lgkmcnt(0)
	s_add_u32 s14, s14, s16
	v_rcp_iflag_f32_e32 v0, v0
	s_addc_u32 s15, s15, s17
	s_load_dword s5, s[14:15], 0x0
	s_load_dwordx4 s[16:19], s[0:1], 0x0
	s_mul_i32 s0, s12, s6
	v_mul_f32_e32 v0, 0x4f7ffffe, v0
	v_cvt_u32_f32_e32 v0, v0
	s_waitcnt lgkmcnt(0)
	s_mul_i32 s0, s0, s5
	s_mul_hi_i32 s1, s0, 0x90
	s_mulk_i32 s0, 0x90
	s_add_u32 s0, s16, s0
	s_addc_u32 s1, s17, s1
	s_sub_i32 s5, 0, s4
	v_readfirstlane_b32 s14, v0
	s_mul_i32 s5, s5, s14
	s_mul_hi_u32 s5, s14, s5
	s_add_i32 s14, s14, s5
	s_mul_hi_u32 s5, s8, s14
	s_mul_i32 s14, s5, s4
	s_sub_i32 s14, s8, s14
	s_add_i32 s15, s5, 1
	s_sub_i32 s16, s14, s4
	s_cmp_ge_u32 s14, s4
	s_cselect_b32 s5, s15, s5
	s_cselect_b32 s14, s16, s14
	s_add_i32 s15, s5, 1
	s_cmp_ge_u32 s14, s4
	s_cselect_b32 s4, s15, s5
	s_mul_i32 s4, s4, s7
	s_mov_b32 s5, s9
	s_lshl_b64 s[4:5], s[4:5], 2
	v_lshlrev_b32_e32 v0, 1, v17
	s_add_u32 s4, s18, s4
	v_and_b32_e32 v4, 30, v0
	v_bfe_u32 v8, v0, 3, 2
	s_addc_u32 s5, s19, s5
	v_cmp_lt_u32_e32 vcc, 15, v4
	v_lshlrev_b32_e32 v4, 1, v8
	v_and_b32_e32 v10, 3, v17
	v_mad_u64_u32 v[4:5], s[4:5], v4, 36, s[4:5]
	s_movk_i32 s13, 0x90
	v_mul_lo_u32 v19, v16, s12
	v_lshlrev_b32_e32 v0, 5, v8
	v_lshlrev_b32_e32 v2, 2, v10
	v_mov_b32_e32 v3, v1
	v_lshlrev_b32_e32 v21, 3, v18
	s_mov_b64 s[4:5], 0
	v_mov_b64_e32 v[6:7], s[0:1]
	v_lshlrev_b32_e32 v8, 1, v8
	v_mov_b32_e32 v9, v1
	s_mov_b32 s7, 0x5040100
	s_mov_b32 s9, 0x30303030
	v_lshlrev_b32_e32 v10, 2, v10
	v_mov_b32_e32 v11, v1
	s_movk_i32 s14, 0xff
	v_mov_b32_e32 v22, 0xff00ff
	v_mov_b32_e32 v20, v1
	s_branch .LBB263_4
.LBB263_3:                              ;   in Loop: Header=BB263_4 Depth=1
	s_or_b64 exec, exec, s[0:1]
	v_mad_i64_i32 v[14:15], s[0:1], v21, 36, v[4:5]
	v_lshl_add_u64 v[26:27], v[14:15], 0, v[10:11]
	global_load_dword v30, v[12:13], off
	global_load_dword v28, v[14:15], off
	global_load_dword v29, v[26:27], off offset:20
	global_load_dword v31, v[26:27], off offset:40
	;; [unrolled: 1-line block ×5, first 2 shown]
	s_waitcnt vmcnt(8)
	v_and_b32_e32 v15, 0xf0f0f0f, v24
	v_mov_b32_e32 v27, 0
	v_mov_b32_e32 v35, 0
	v_lshrrev_b32_e32 v14, 4, v24
	s_waitcnt vmcnt(7)
	v_and_b32_e32 v26, 0xf0f0f0f, v23
	v_and_b32_e32 v13, 0xff00ff, v25
	v_lshrrev_b32_e32 v23, 4, v23
	v_mov_b32_e32 v36, 0
	v_mov_b32_e32 v37, 0
	v_and_b32_e32 v38, 0xf0f0f0f, v14
	v_pk_lshrrev_b16 v12, 8, v25 op_sel_hi:[0,1]
	v_bitop3_b32 v25, v25, s14, v22 bitop3:0x80
	v_and_b32_e32 v23, 0xf0f0f0f, v23
	v_lshrrev_b32_e32 v40, 16, v13
	v_lshrrev_b32_e32 v39, 16, v12
	v_and_b32_e32 v12, 0xff, v12
	v_add_u32_e32 v18, 4, v18
	v_cmp_le_u32_e64 s[0:1], s12, v18
	s_or_b64 s[4:5], s[0:1], s[4:5]
	v_add_u32_e32 v21, 32, v21
	s_waitcnt vmcnt(6)
	v_cvt_f32_f16_sdwa v13, v30 dst_sel:DWORD dst_unused:UNUSED_PAD src0_sel:WORD_1
	s_waitcnt vmcnt(5)
	v_cvt_f32_f16_e32 v14, v28
	s_waitcnt vmcnt(3)
	v_dot4c_i32_i8_e32 v36, v38, v31
	v_dot4c_i32_i8_e32 v37, 0x1010101, v31
	s_waitcnt vmcnt(2)
	v_dot4c_i32_i8_e32 v36, v23, v32
	s_waitcnt vmcnt(0)
	v_dot4c_i32_i8_e32 v27, v15, v34
	v_dot4c_i32_i8_e32 v35, 0x1010101, v34
	;; [unrolled: 1-line block ×5, first 2 shown]
	v_mul_lo_u32 v12, v36, v12
	v_mul_lo_u32 v15, v27, v25
	;; [unrolled: 1-line block ×4, first 2 shown]
	v_cvt_f32_i32_e32 v27, v23
	v_cvt_f32_i32_e32 v26, v15
	v_cvt_f32_f16_e32 v24, v33
	v_cvt_f32_i32_e32 v29, v25
	v_cvt_f32_i32_e32 v28, v12
	v_cvt_f32_f16_e32 v12, v30
	v_pk_fma_f32 v[14:15], v[14:15], v[26:27], 0 op_sel_hi:[0,1,0]
	v_pk_fma_f32 v[14:15], v[24:25], v[28:29], v[14:15] op_sel_hi:[0,1,1]
	v_pk_mul_f32 v[12:13], v[14:15], v[12:13]
	s_nop 0
	v_sub_f32_e32 v12, v12, v13
	v_add_f32_e32 v20, v20, v12
	s_andn2_b64 exec, exec, s[4:5]
	s_cbranch_execz .LBB263_8
.LBB263_4:                              ; =>This Inner Loop Header: Depth=1
	v_add_u32_e32 v12, v19, v18
	v_mad_i64_i32 v[12:13], s[0:1], v12, s13, v[6:7]
	v_lshl_add_u64 v[14:15], v[12:13], 0, v[0:1]
	v_lshl_add_u64 v[14:15], v[14:15], 0, v[2:3]
	global_load_dword v24, v[14:15], off offset:16
	global_load_dword v23, v[14:15], off offset:32
	v_lshl_add_u64 v[14:15], v[12:13], 0, v[8:9]
                                        ; implicit-def: $vgpr25
	s_and_saveexec_b64 s[0:1], vcc
	s_xor_b64 s[0:1], exec, s[0:1]
	s_cbranch_execz .LBB263_6
; %bb.5:                                ;   in Loop: Header=BB263_4 Depth=1
	global_load_ushort v25, v[14:15], off
	global_load_ushort v26, v[14:15], off offset:8
	global_load_ushort v27, v[14:15], off offset:4
	s_waitcnt vmcnt(1)
	v_pk_lshrrev_b16 v14, 4, v26 op_sel:[1,0] op_sel_hi:[0,0]
	s_waitcnt vmcnt(0)
	v_perm_b32 v15, v27, v25, s7
	v_and_b32_e32 v14, 0xf0f0f0f, v14
	v_pk_lshrrev_b16 v15, 2, v15 op_sel_hi:[0,1]
	v_and_or_b32 v25, v15, s9, v14
                                        ; implicit-def: $vgpr14_vgpr15
.LBB263_6:                              ;   in Loop: Header=BB263_4 Depth=1
	s_andn2_saveexec_b64 s[0:1], s[0:1]
	s_cbranch_execz .LBB263_3
; %bb.7:                                ;   in Loop: Header=BB263_4 Depth=1
	global_load_ushort v25, v[14:15], off offset:4
	global_load_ushort v26, v[14:15], off offset:8
	s_waitcnt vmcnt(0)
	v_perm_b32 v14, v26, v25, s7
	v_and_b32_e32 v25, 0x3f3f3f3f, v14
	s_branch .LBB263_3
.LBB263_8:
	s_or_b64 exec, exec, s[4:5]
.LBB263_9:
	s_or_b64 exec, exec, s[10:11]
	v_mbcnt_lo_u32_b32 v0, -1, 0
	v_mbcnt_hi_u32_b32 v1, -1, v0
	v_and_b32_e32 v0, 64, v1
	v_add_u32_e32 v2, 64, v0
	v_xor_b32_e32 v0, 32, v1
	v_cmp_lt_i32_e32 vcc, v0, v2
	v_xor_b32_e32 v3, 16, v1
	v_xor_b32_e32 v4, 8, v1
	v_cndmask_b32_e32 v0, v1, v0, vcc
	v_lshlrev_b32_e32 v0, 2, v0
	ds_bpermute_b32 v0, v0, v20
	v_cmp_lt_i32_e32 vcc, v3, v2
	s_waitcnt lgkmcnt(0)
	v_add_f32_e32 v0, v20, v0
	v_cndmask_b32_e32 v3, v1, v3, vcc
	v_lshlrev_b32_e32 v3, 2, v3
	ds_bpermute_b32 v3, v3, v0
	v_cmp_lt_i32_e32 vcc, v4, v2
	s_waitcnt lgkmcnt(0)
	v_add_f32_e32 v0, v0, v3
	v_cndmask_b32_e32 v3, v1, v4, vcc
	v_lshlrev_b32_e32 v3, 2, v3
	ds_bpermute_b32 v3, v3, v0
	v_xor_b32_e32 v4, 4, v1
	v_cmp_lt_i32_e32 vcc, v4, v2
	s_waitcnt lgkmcnt(0)
	v_add_f32_e32 v0, v0, v3
	v_cndmask_b32_e32 v3, v1, v4, vcc
	v_lshlrev_b32_e32 v3, 2, v3
	ds_bpermute_b32 v3, v3, v0
	v_xor_b32_e32 v4, 2, v1
	;; [unrolled: 7-line block ×3, first 2 shown]
	v_cmp_lt_i32_e32 vcc, v4, v2
	s_waitcnt lgkmcnt(0)
	v_add_f32_e32 v0, v0, v3
	v_cndmask_b32_e32 v1, v1, v4, vcc
	v_lshlrev_b32_e32 v1, 2, v1
	ds_bpermute_b32 v1, v1, v0
	v_cmp_eq_u32_e32 vcc, 0, v17
	s_and_b64 exec, exec, vcc
	s_cbranch_execz .LBB263_11
; %bb.10:
	s_waitcnt lgkmcnt(0)
	v_add_f32_e32 v0, v0, v1
	v_cvt_f16_f32_e32 v2, v0
	s_mul_i32 s0, s6, s8
	v_add_u32_e32 v0, s0, v16
	v_mov_b32_e32 v1, 0
	v_lshl_add_u64 v[0:1], v[0:1], 1, s[2:3]
	global_store_short v[0:1], v2, off
.LBB263_11:
	s_endpgm
	.section	.rodata,"a",@progbits
	.p2align	6, 0x0
	.amdhsa_kernel _ZL9moe_vec_qIN3c104HalfELi256ELi32E10block_q4_KLi2EXadL_ZL17vec_dot_q4_K_q8_1PKvPK10block_q8_1RKiEEEvS4_S4_PT_PS8_iiii
		.amdhsa_group_segment_fixed_size 0
		.amdhsa_private_segment_fixed_size 0
		.amdhsa_kernarg_size 304
		.amdhsa_user_sgpr_count 2
		.amdhsa_user_sgpr_dispatch_ptr 0
		.amdhsa_user_sgpr_queue_ptr 0
		.amdhsa_user_sgpr_kernarg_segment_ptr 1
		.amdhsa_user_sgpr_dispatch_id 0
		.amdhsa_user_sgpr_kernarg_preload_length 0
		.amdhsa_user_sgpr_kernarg_preload_offset 0
		.amdhsa_user_sgpr_private_segment_size 0
		.amdhsa_uses_dynamic_stack 0
		.amdhsa_enable_private_segment 0
		.amdhsa_system_sgpr_workgroup_id_x 1
		.amdhsa_system_sgpr_workgroup_id_y 0
		.amdhsa_system_sgpr_workgroup_id_z 1
		.amdhsa_system_sgpr_workgroup_info 0
		.amdhsa_system_vgpr_workitem_id 1
		.amdhsa_next_free_vgpr 41
		.amdhsa_next_free_sgpr 20
		.amdhsa_accum_offset 44
		.amdhsa_reserve_vcc 1
		.amdhsa_float_round_mode_32 0
		.amdhsa_float_round_mode_16_64 0
		.amdhsa_float_denorm_mode_32 3
		.amdhsa_float_denorm_mode_16_64 3
		.amdhsa_dx10_clamp 1
		.amdhsa_ieee_mode 1
		.amdhsa_fp16_overflow 0
		.amdhsa_tg_split 0
		.amdhsa_exception_fp_ieee_invalid_op 0
		.amdhsa_exception_fp_denorm_src 0
		.amdhsa_exception_fp_ieee_div_zero 0
		.amdhsa_exception_fp_ieee_overflow 0
		.amdhsa_exception_fp_ieee_underflow 0
		.amdhsa_exception_fp_ieee_inexact 0
		.amdhsa_exception_int_div_zero 0
	.end_amdhsa_kernel
	.section	.text._ZL9moe_vec_qIN3c104HalfELi256ELi32E10block_q4_KLi2EXadL_ZL17vec_dot_q4_K_q8_1PKvPK10block_q8_1RKiEEEvS4_S4_PT_PS8_iiii,"axG",@progbits,_ZL9moe_vec_qIN3c104HalfELi256ELi32E10block_q4_KLi2EXadL_ZL17vec_dot_q4_K_q8_1PKvPK10block_q8_1RKiEEEvS4_S4_PT_PS8_iiii,comdat
.Lfunc_end263:
	.size	_ZL9moe_vec_qIN3c104HalfELi256ELi32E10block_q4_KLi2EXadL_ZL17vec_dot_q4_K_q8_1PKvPK10block_q8_1RKiEEEvS4_S4_PT_PS8_iiii, .Lfunc_end263-_ZL9moe_vec_qIN3c104HalfELi256ELi32E10block_q4_KLi2EXadL_ZL17vec_dot_q4_K_q8_1PKvPK10block_q8_1RKiEEEvS4_S4_PT_PS8_iiii
                                        ; -- End function
	.set _ZL9moe_vec_qIN3c104HalfELi256ELi32E10block_q4_KLi2EXadL_ZL17vec_dot_q4_K_q8_1PKvPK10block_q8_1RKiEEEvS4_S4_PT_PS8_iiii.num_vgpr, 41
	.set _ZL9moe_vec_qIN3c104HalfELi256ELi32E10block_q4_KLi2EXadL_ZL17vec_dot_q4_K_q8_1PKvPK10block_q8_1RKiEEEvS4_S4_PT_PS8_iiii.num_agpr, 0
	.set _ZL9moe_vec_qIN3c104HalfELi256ELi32E10block_q4_KLi2EXadL_ZL17vec_dot_q4_K_q8_1PKvPK10block_q8_1RKiEEEvS4_S4_PT_PS8_iiii.numbered_sgpr, 20
	.set _ZL9moe_vec_qIN3c104HalfELi256ELi32E10block_q4_KLi2EXadL_ZL17vec_dot_q4_K_q8_1PKvPK10block_q8_1RKiEEEvS4_S4_PT_PS8_iiii.num_named_barrier, 0
	.set _ZL9moe_vec_qIN3c104HalfELi256ELi32E10block_q4_KLi2EXadL_ZL17vec_dot_q4_K_q8_1PKvPK10block_q8_1RKiEEEvS4_S4_PT_PS8_iiii.private_seg_size, 0
	.set _ZL9moe_vec_qIN3c104HalfELi256ELi32E10block_q4_KLi2EXadL_ZL17vec_dot_q4_K_q8_1PKvPK10block_q8_1RKiEEEvS4_S4_PT_PS8_iiii.uses_vcc, 1
	.set _ZL9moe_vec_qIN3c104HalfELi256ELi32E10block_q4_KLi2EXadL_ZL17vec_dot_q4_K_q8_1PKvPK10block_q8_1RKiEEEvS4_S4_PT_PS8_iiii.uses_flat_scratch, 0
	.set _ZL9moe_vec_qIN3c104HalfELi256ELi32E10block_q4_KLi2EXadL_ZL17vec_dot_q4_K_q8_1PKvPK10block_q8_1RKiEEEvS4_S4_PT_PS8_iiii.has_dyn_sized_stack, 0
	.set _ZL9moe_vec_qIN3c104HalfELi256ELi32E10block_q4_KLi2EXadL_ZL17vec_dot_q4_K_q8_1PKvPK10block_q8_1RKiEEEvS4_S4_PT_PS8_iiii.has_recursion, 0
	.set _ZL9moe_vec_qIN3c104HalfELi256ELi32E10block_q4_KLi2EXadL_ZL17vec_dot_q4_K_q8_1PKvPK10block_q8_1RKiEEEvS4_S4_PT_PS8_iiii.has_indirect_call, 0
	.section	.AMDGPU.csdata,"",@progbits
; Kernel info:
; codeLenInByte = 1256
; TotalNumSgprs: 26
; NumVgprs: 41
; NumAgprs: 0
; TotalNumVgprs: 41
; ScratchSize: 0
; MemoryBound: 0
; FloatMode: 240
; IeeeMode: 1
; LDSByteSize: 0 bytes/workgroup (compile time only)
; SGPRBlocks: 3
; VGPRBlocks: 5
; NumSGPRsForWavesPerEU: 26
; NumVGPRsForWavesPerEU: 41
; AccumOffset: 44
; Occupancy: 8
; WaveLimiterHint : 1
; COMPUTE_PGM_RSRC2:SCRATCH_EN: 0
; COMPUTE_PGM_RSRC2:USER_SGPR: 2
; COMPUTE_PGM_RSRC2:TRAP_HANDLER: 0
; COMPUTE_PGM_RSRC2:TGID_X_EN: 1
; COMPUTE_PGM_RSRC2:TGID_Y_EN: 0
; COMPUTE_PGM_RSRC2:TGID_Z_EN: 1
; COMPUTE_PGM_RSRC2:TIDIG_COMP_CNT: 1
; COMPUTE_PGM_RSRC3_GFX90A:ACCUM_OFFSET: 10
; COMPUTE_PGM_RSRC3_GFX90A:TG_SPLIT: 0
	.section	.text._ZL9moe_vec_qIN3c104HalfELi256ELi32E10block_q5_KLi2EXadL_ZL17vec_dot_q5_K_q8_1PKvPK10block_q8_1RKiEEEvS4_S4_PT_PS8_iiii,"axG",@progbits,_ZL9moe_vec_qIN3c104HalfELi256ELi32E10block_q5_KLi2EXadL_ZL17vec_dot_q5_K_q8_1PKvPK10block_q8_1RKiEEEvS4_S4_PT_PS8_iiii,comdat
	.globl	_ZL9moe_vec_qIN3c104HalfELi256ELi32E10block_q5_KLi2EXadL_ZL17vec_dot_q5_K_q8_1PKvPK10block_q8_1RKiEEEvS4_S4_PT_PS8_iiii ; -- Begin function _ZL9moe_vec_qIN3c104HalfELi256ELi32E10block_q5_KLi2EXadL_ZL17vec_dot_q5_K_q8_1PKvPK10block_q8_1RKiEEEvS4_S4_PT_PS8_iiii
	.p2align	8
	.type	_ZL9moe_vec_qIN3c104HalfELi256ELi32E10block_q5_KLi2EXadL_ZL17vec_dot_q5_K_q8_1PKvPK10block_q8_1RKiEEEvS4_S4_PT_PS8_iiii,@function
_ZL9moe_vec_qIN3c104HalfELi256ELi32E10block_q5_KLi2EXadL_ZL17vec_dot_q5_K_q8_1PKvPK10block_q8_1RKiEEEvS4_S4_PT_PS8_iiii: ; @_ZL9moe_vec_qIN3c104HalfELi256ELi32E10block_q5_KLi2EXadL_ZL17vec_dot_q5_K_q8_1PKvPK10block_q8_1RKiEEEvS4_S4_PT_PS8_iiii
; %bb.0:
	s_mov_b32 s8, s3
	s_load_dword s3, s[0:1], 0x3c
	s_load_dwordx4 s[4:7], s[0:1], 0x20
	v_bfe_u32 v1, v0, 10, 10
	s_waitcnt lgkmcnt(0)
	s_lshr_b32 s3, s3, 16
	s_mul_i32 s2, s2, s3
	v_add_u32_e32 v16, s2, v1
	v_cmp_gt_u32_e32 vcc, s6, v16
	s_and_saveexec_b64 s[2:3], vcc
	s_cbranch_execz .LBB264_11
; %bb.1:
	s_load_dwordx2 s[2:3], s[0:1], 0x10
	s_ashr_i32 s9, s5, 31
	s_lshr_b32 s9, s9, 24
	s_add_i32 s5, s5, s9
	s_ashr_i32 s12, s5, 8
	v_bfe_u32 v18, v0, 4, 6
	v_and_b32_e32 v17, 0x3ff, v0
	v_cmp_gt_u32_e32 vcc, s12, v18
	v_mov_b32_e32 v20, 0
	s_and_saveexec_b64 s[10:11], vcc
	s_cbranch_execz .LBB264_9
; %bb.2:
	s_load_dwordx2 s[14:15], s[0:1], 0x18
	v_cvt_f32_u32_e32 v0, s4
	s_mov_b32 s9, 0
	s_lshl_b64 s[16:17], s[8:9], 2
	v_mov_b32_e32 v1, 0
	s_waitcnt lgkmcnt(0)
	s_add_u32 s14, s14, s16
	v_rcp_iflag_f32_e32 v0, v0
	s_addc_u32 s15, s15, s17
	s_load_dword s5, s[14:15], 0x0
	s_load_dwordx4 s[16:19], s[0:1], 0x0
	s_mul_i32 s0, s12, s6
	v_mul_f32_e32 v0, 0x4f7ffffe, v0
	v_cvt_u32_f32_e32 v0, v0
	s_waitcnt lgkmcnt(0)
	s_mul_i32 s0, s0, s5
	s_mul_hi_i32 s1, s0, 0xb0
	s_mulk_i32 s0, 0xb0
	s_add_u32 s0, s16, s0
	s_addc_u32 s1, s17, s1
	s_sub_i32 s5, 0, s4
	v_readfirstlane_b32 s14, v0
	s_mul_i32 s5, s5, s14
	s_mul_hi_u32 s5, s14, s5
	s_add_i32 s14, s14, s5
	s_mul_hi_u32 s5, s8, s14
	s_mul_i32 s14, s5, s4
	s_sub_i32 s14, s8, s14
	s_add_i32 s15, s5, 1
	s_sub_i32 s16, s14, s4
	s_cmp_ge_u32 s14, s4
	s_cselect_b32 s5, s15, s5
	s_cselect_b32 s14, s16, s14
	s_add_i32 s15, s5, 1
	s_cmp_ge_u32 s14, s4
	s_cselect_b32 s4, s15, s5
	s_mul_i32 s4, s4, s7
	s_mov_b32 s5, s9
	s_lshl_b64 s[4:5], s[4:5], 2
	v_lshlrev_b32_e32 v0, 1, v17
	s_add_u32 s4, s18, s4
	v_bfe_u32 v8, v0, 3, 2
	s_addc_u32 s5, s19, s5
	v_and_b32_e32 v4, 30, v0
	v_lshlrev_b32_e32 v21, 1, v8
	v_and_b32_e32 v10, 3, v17
	v_cmp_lt_u32_e32 vcc, 15, v4
	v_mad_u64_u32 v[4:5], s[4:5], v21, 36, s[4:5]
	s_movk_i32 s13, 0xb0
	v_mul_lo_u32 v19, v16, s12
	v_lshlrev_b32_e32 v0, 5, v8
	v_lshlrev_b32_e32 v2, 2, v10
	v_mov_b32_e32 v3, v1
	v_lshlrev_b32_e32 v22, 3, v18
	s_mov_b64 s[4:5], 0
	v_mov_b64_e32 v[6:7], s[0:1]
	v_lshlrev_b32_e32 v8, 1, v8
	v_mov_b32_e32 v9, v1
	s_mov_b32 s7, 0x5040100
	s_mov_b32 s9, 0x30303030
	v_lshlrev_b32_e32 v10, 2, v10
	v_mov_b32_e32 v11, v1
	s_mov_b32 s14, 0x10101010
	s_movk_i32 s15, 0xff
	v_mov_b32_e32 v23, 0xff00ff
	v_mov_b32_e32 v20, v1
	s_branch .LBB264_4
.LBB264_3:                              ;   in Loop: Header=BB264_4 Depth=1
	s_or_b64 exec, exec, s[0:1]
	v_mad_i64_i32 v[14:15], s[0:1], v22, 36, v[4:5]
	v_lshl_add_u64 v[30:31], v[14:15], 0, v[10:11]
	global_load_dword v32, v[12:13], off
	global_load_dword v29, v[14:15], off
	global_load_dword v33, v[30:31], off offset:20
	global_load_dword v34, v[30:31], off offset:40
	;; [unrolled: 1-line block ×5, first 2 shown]
	s_waitcnt vmcnt(7)
	v_ashrrev_i32_e32 v13, v21, v28
	v_ashrrev_i32_e32 v14, v21, v27
	v_and_b32_e32 v27, 0xf0f0f0f, v24
	v_lshrrev_b32_e32 v24, 4, v24
	v_lshlrev_b32_e32 v41, 4, v13
	v_and_b32_e32 v15, 0xf0f0f0f, v25
	v_mov_b32_e32 v28, 0
	v_mov_b32_e32 v30, 0
	v_lshrrev_b32_e32 v25, 4, v25
	v_lshlrev_b32_e32 v40, 4, v14
	v_and_b32_e32 v24, 0xf0f0f0f, v24
	v_lshlrev_b32_e32 v13, 3, v13
	v_and_or_b32 v27, v41, s14, v27
	v_and_b32_e32 v31, 0xff00ff, v26
	v_mov_b32_e32 v38, 0
	v_mov_b32_e32 v39, 0
	v_and_b32_e32 v25, 0xf0f0f0f, v25
	v_lshlrev_b32_e32 v14, 3, v14
	v_and_or_b32 v15, v40, s14, v15
	v_and_or_b32 v40, v13, s14, v24
	v_pk_lshrrev_b16 v12, 8, v26 op_sel_hi:[0,1]
	v_bitop3_b32 v26, v26, s15, v23 bitop3:0x80
	v_lshrrev_b32_e32 v31, 16, v31
	v_and_or_b32 v25, v14, s14, v25
	v_lshrrev_b32_e32 v42, 16, v12
	v_and_b32_e32 v12, 0xff, v12
	v_add_u32_e32 v18, 4, v18
	v_cmp_le_u32_e64 s[0:1], s12, v18
	s_or_b64 s[4:5], s[0:1], s[4:5]
	v_add_u32_e32 v22, 32, v22
	s_waitcnt vmcnt(6)
	v_cvt_f32_f16_sdwa v13, v32 dst_sel:DWORD dst_unused:UNUSED_PAD src0_sel:WORD_1
	s_waitcnt vmcnt(5)
	v_cvt_f32_f16_e32 v14, v29
	s_waitcnt vmcnt(4)
	v_dot4c_i32_i8_e32 v28, v27, v33
	v_dot4c_i32_i8_e32 v30, 0x1010101, v33
	s_waitcnt vmcnt(2)
	v_dot4c_i32_i8_e32 v38, v40, v35
	v_dot4c_i32_i8_e32 v39, 0x1010101, v35
	;; [unrolled: 3-line block ×3, first 2 shown]
	v_dot4c_i32_i8_e32 v38, v25, v34
	v_dot4c_i32_i8_e32 v39, 0x1010101, v34
	v_mul_lo_u32 v15, v28, v26
	v_mul_lo_u32 v25, v30, v31
	;; [unrolled: 1-line block ×4, first 2 shown]
	v_cvt_f32_i32_e32 v27, v25
	v_cvt_f32_i32_e32 v26, v15
	v_cvt_f32_f16_e32 v24, v36
	v_cvt_f32_i32_e32 v29, v28
	v_cvt_f32_i32_e32 v28, v12
	v_cvt_f32_f16_e32 v12, v32
	v_pk_fma_f32 v[14:15], v[14:15], v[26:27], 0 op_sel_hi:[0,1,0]
	v_pk_fma_f32 v[14:15], v[24:25], v[28:29], v[14:15] op_sel_hi:[0,1,1]
	v_pk_mul_f32 v[12:13], v[14:15], v[12:13]
	s_nop 0
	v_sub_f32_e32 v12, v12, v13
	v_add_f32_e32 v20, v20, v12
	s_andn2_b64 exec, exec, s[4:5]
	s_cbranch_execz .LBB264_8
.LBB264_4:                              ; =>This Inner Loop Header: Depth=1
	v_add_u32_e32 v12, v19, v18
	v_mad_i64_i32 v[12:13], s[0:1], v12, s13, v[6:7]
	v_lshl_add_u64 v[14:15], v[12:13], 0, v[0:1]
	v_lshl_add_u64 v[14:15], v[14:15], 0, v[2:3]
	;; [unrolled: 1-line block ×3, first 2 shown]
	global_load_dword v25, v[14:15], off offset:48
	global_load_dword v24, v[14:15], off offset:64
	;; [unrolled: 1-line block ×4, first 2 shown]
	v_lshl_add_u64 v[14:15], v[12:13], 0, v[8:9]
                                        ; implicit-def: $vgpr26
	s_and_saveexec_b64 s[0:1], vcc
	s_xor_b64 s[0:1], exec, s[0:1]
	s_cbranch_execz .LBB264_6
; %bb.5:                                ;   in Loop: Header=BB264_4 Depth=1
	global_load_ushort v26, v[14:15], off
	global_load_ushort v29, v[14:15], off offset:8
	global_load_ushort v30, v[14:15], off offset:4
	s_waitcnt vmcnt(1)
	v_pk_lshrrev_b16 v14, 4, v29 op_sel:[1,0] op_sel_hi:[0,0]
	s_waitcnt vmcnt(0)
	v_perm_b32 v15, v30, v26, s7
	v_and_b32_e32 v14, 0xf0f0f0f, v14
	v_pk_lshrrev_b16 v15, 2, v15 op_sel_hi:[0,1]
	v_and_or_b32 v26, v15, s9, v14
                                        ; implicit-def: $vgpr14_vgpr15
.LBB264_6:                              ;   in Loop: Header=BB264_4 Depth=1
	s_andn2_saveexec_b64 s[0:1], s[0:1]
	s_cbranch_execz .LBB264_3
; %bb.7:                                ;   in Loop: Header=BB264_4 Depth=1
	global_load_ushort v26, v[14:15], off offset:4
	global_load_ushort v29, v[14:15], off offset:8
	s_waitcnt vmcnt(0)
	v_perm_b32 v14, v29, v26, s7
	v_and_b32_e32 v26, 0x3f3f3f3f, v14
	s_branch .LBB264_3
.LBB264_8:
	s_or_b64 exec, exec, s[4:5]
.LBB264_9:
	s_or_b64 exec, exec, s[10:11]
	v_mbcnt_lo_u32_b32 v0, -1, 0
	v_mbcnt_hi_u32_b32 v1, -1, v0
	v_and_b32_e32 v0, 64, v1
	v_add_u32_e32 v2, 64, v0
	v_xor_b32_e32 v0, 32, v1
	v_cmp_lt_i32_e32 vcc, v0, v2
	v_xor_b32_e32 v3, 16, v1
	v_xor_b32_e32 v4, 8, v1
	v_cndmask_b32_e32 v0, v1, v0, vcc
	v_lshlrev_b32_e32 v0, 2, v0
	ds_bpermute_b32 v0, v0, v20
	v_cmp_lt_i32_e32 vcc, v3, v2
	s_waitcnt lgkmcnt(0)
	v_add_f32_e32 v0, v20, v0
	v_cndmask_b32_e32 v3, v1, v3, vcc
	v_lshlrev_b32_e32 v3, 2, v3
	ds_bpermute_b32 v3, v3, v0
	v_cmp_lt_i32_e32 vcc, v4, v2
	s_waitcnt lgkmcnt(0)
	v_add_f32_e32 v0, v0, v3
	v_cndmask_b32_e32 v3, v1, v4, vcc
	v_lshlrev_b32_e32 v3, 2, v3
	ds_bpermute_b32 v3, v3, v0
	v_xor_b32_e32 v4, 4, v1
	v_cmp_lt_i32_e32 vcc, v4, v2
	s_waitcnt lgkmcnt(0)
	v_add_f32_e32 v0, v0, v3
	v_cndmask_b32_e32 v3, v1, v4, vcc
	v_lshlrev_b32_e32 v3, 2, v3
	ds_bpermute_b32 v3, v3, v0
	v_xor_b32_e32 v4, 2, v1
	;; [unrolled: 7-line block ×3, first 2 shown]
	v_cmp_lt_i32_e32 vcc, v4, v2
	s_waitcnt lgkmcnt(0)
	v_add_f32_e32 v0, v0, v3
	v_cndmask_b32_e32 v1, v1, v4, vcc
	v_lshlrev_b32_e32 v1, 2, v1
	ds_bpermute_b32 v1, v1, v0
	v_cmp_eq_u32_e32 vcc, 0, v17
	s_and_b64 exec, exec, vcc
	s_cbranch_execz .LBB264_11
; %bb.10:
	s_waitcnt lgkmcnt(0)
	v_add_f32_e32 v0, v0, v1
	v_cvt_f16_f32_e32 v2, v0
	s_mul_i32 s0, s6, s8
	v_add_u32_e32 v0, s0, v16
	v_mov_b32_e32 v1, 0
	v_lshl_add_u64 v[0:1], v[0:1], 1, s[2:3]
	global_store_short v[0:1], v2, off
.LBB264_11:
	s_endpgm
	.section	.rodata,"a",@progbits
	.p2align	6, 0x0
	.amdhsa_kernel _ZL9moe_vec_qIN3c104HalfELi256ELi32E10block_q5_KLi2EXadL_ZL17vec_dot_q5_K_q8_1PKvPK10block_q8_1RKiEEEvS4_S4_PT_PS8_iiii
		.amdhsa_group_segment_fixed_size 0
		.amdhsa_private_segment_fixed_size 0
		.amdhsa_kernarg_size 304
		.amdhsa_user_sgpr_count 2
		.amdhsa_user_sgpr_dispatch_ptr 0
		.amdhsa_user_sgpr_queue_ptr 0
		.amdhsa_user_sgpr_kernarg_segment_ptr 1
		.amdhsa_user_sgpr_dispatch_id 0
		.amdhsa_user_sgpr_kernarg_preload_length 0
		.amdhsa_user_sgpr_kernarg_preload_offset 0
		.amdhsa_user_sgpr_private_segment_size 0
		.amdhsa_uses_dynamic_stack 0
		.amdhsa_enable_private_segment 0
		.amdhsa_system_sgpr_workgroup_id_x 1
		.amdhsa_system_sgpr_workgroup_id_y 0
		.amdhsa_system_sgpr_workgroup_id_z 1
		.amdhsa_system_sgpr_workgroup_info 0
		.amdhsa_system_vgpr_workitem_id 1
		.amdhsa_next_free_vgpr 43
		.amdhsa_next_free_sgpr 20
		.amdhsa_accum_offset 44
		.amdhsa_reserve_vcc 1
		.amdhsa_float_round_mode_32 0
		.amdhsa_float_round_mode_16_64 0
		.amdhsa_float_denorm_mode_32 3
		.amdhsa_float_denorm_mode_16_64 3
		.amdhsa_dx10_clamp 1
		.amdhsa_ieee_mode 1
		.amdhsa_fp16_overflow 0
		.amdhsa_tg_split 0
		.amdhsa_exception_fp_ieee_invalid_op 0
		.amdhsa_exception_fp_denorm_src 0
		.amdhsa_exception_fp_ieee_div_zero 0
		.amdhsa_exception_fp_ieee_overflow 0
		.amdhsa_exception_fp_ieee_underflow 0
		.amdhsa_exception_fp_ieee_inexact 0
		.amdhsa_exception_int_div_zero 0
	.end_amdhsa_kernel
	.section	.text._ZL9moe_vec_qIN3c104HalfELi256ELi32E10block_q5_KLi2EXadL_ZL17vec_dot_q5_K_q8_1PKvPK10block_q8_1RKiEEEvS4_S4_PT_PS8_iiii,"axG",@progbits,_ZL9moe_vec_qIN3c104HalfELi256ELi32E10block_q5_KLi2EXadL_ZL17vec_dot_q5_K_q8_1PKvPK10block_q8_1RKiEEEvS4_S4_PT_PS8_iiii,comdat
.Lfunc_end264:
	.size	_ZL9moe_vec_qIN3c104HalfELi256ELi32E10block_q5_KLi2EXadL_ZL17vec_dot_q5_K_q8_1PKvPK10block_q8_1RKiEEEvS4_S4_PT_PS8_iiii, .Lfunc_end264-_ZL9moe_vec_qIN3c104HalfELi256ELi32E10block_q5_KLi2EXadL_ZL17vec_dot_q5_K_q8_1PKvPK10block_q8_1RKiEEEvS4_S4_PT_PS8_iiii
                                        ; -- End function
	.set _ZL9moe_vec_qIN3c104HalfELi256ELi32E10block_q5_KLi2EXadL_ZL17vec_dot_q5_K_q8_1PKvPK10block_q8_1RKiEEEvS4_S4_PT_PS8_iiii.num_vgpr, 43
	.set _ZL9moe_vec_qIN3c104HalfELi256ELi32E10block_q5_KLi2EXadL_ZL17vec_dot_q5_K_q8_1PKvPK10block_q8_1RKiEEEvS4_S4_PT_PS8_iiii.num_agpr, 0
	.set _ZL9moe_vec_qIN3c104HalfELi256ELi32E10block_q5_KLi2EXadL_ZL17vec_dot_q5_K_q8_1PKvPK10block_q8_1RKiEEEvS4_S4_PT_PS8_iiii.numbered_sgpr, 20
	.set _ZL9moe_vec_qIN3c104HalfELi256ELi32E10block_q5_KLi2EXadL_ZL17vec_dot_q5_K_q8_1PKvPK10block_q8_1RKiEEEvS4_S4_PT_PS8_iiii.num_named_barrier, 0
	.set _ZL9moe_vec_qIN3c104HalfELi256ELi32E10block_q5_KLi2EXadL_ZL17vec_dot_q5_K_q8_1PKvPK10block_q8_1RKiEEEvS4_S4_PT_PS8_iiii.private_seg_size, 0
	.set _ZL9moe_vec_qIN3c104HalfELi256ELi32E10block_q5_KLi2EXadL_ZL17vec_dot_q5_K_q8_1PKvPK10block_q8_1RKiEEEvS4_S4_PT_PS8_iiii.uses_vcc, 1
	.set _ZL9moe_vec_qIN3c104HalfELi256ELi32E10block_q5_KLi2EXadL_ZL17vec_dot_q5_K_q8_1PKvPK10block_q8_1RKiEEEvS4_S4_PT_PS8_iiii.uses_flat_scratch, 0
	.set _ZL9moe_vec_qIN3c104HalfELi256ELi32E10block_q5_KLi2EXadL_ZL17vec_dot_q5_K_q8_1PKvPK10block_q8_1RKiEEEvS4_S4_PT_PS8_iiii.has_dyn_sized_stack, 0
	.set _ZL9moe_vec_qIN3c104HalfELi256ELi32E10block_q5_KLi2EXadL_ZL17vec_dot_q5_K_q8_1PKvPK10block_q8_1RKiEEEvS4_S4_PT_PS8_iiii.has_recursion, 0
	.set _ZL9moe_vec_qIN3c104HalfELi256ELi32E10block_q5_KLi2EXadL_ZL17vec_dot_q5_K_q8_1PKvPK10block_q8_1RKiEEEvS4_S4_PT_PS8_iiii.has_indirect_call, 0
	.section	.AMDGPU.csdata,"",@progbits
; Kernel info:
; codeLenInByte = 1340
; TotalNumSgprs: 26
; NumVgprs: 43
; NumAgprs: 0
; TotalNumVgprs: 43
; ScratchSize: 0
; MemoryBound: 0
; FloatMode: 240
; IeeeMode: 1
; LDSByteSize: 0 bytes/workgroup (compile time only)
; SGPRBlocks: 3
; VGPRBlocks: 5
; NumSGPRsForWavesPerEU: 26
; NumVGPRsForWavesPerEU: 43
; AccumOffset: 44
; Occupancy: 8
; WaveLimiterHint : 1
; COMPUTE_PGM_RSRC2:SCRATCH_EN: 0
; COMPUTE_PGM_RSRC2:USER_SGPR: 2
; COMPUTE_PGM_RSRC2:TRAP_HANDLER: 0
; COMPUTE_PGM_RSRC2:TGID_X_EN: 1
; COMPUTE_PGM_RSRC2:TGID_Y_EN: 0
; COMPUTE_PGM_RSRC2:TGID_Z_EN: 1
; COMPUTE_PGM_RSRC2:TIDIG_COMP_CNT: 1
; COMPUTE_PGM_RSRC3_GFX90A:ACCUM_OFFSET: 10
; COMPUTE_PGM_RSRC3_GFX90A:TG_SPLIT: 0
	.section	.text._ZL9moe_vec_qIN3c104HalfELi256ELi32E10block_q6_KLi1EXadL_ZL17vec_dot_q6_K_q8_1PKvPK10block_q8_1RKiEEEvS4_S4_PT_PS8_iiii,"axG",@progbits,_ZL9moe_vec_qIN3c104HalfELi256ELi32E10block_q6_KLi1EXadL_ZL17vec_dot_q6_K_q8_1PKvPK10block_q8_1RKiEEEvS4_S4_PT_PS8_iiii,comdat
	.globl	_ZL9moe_vec_qIN3c104HalfELi256ELi32E10block_q6_KLi1EXadL_ZL17vec_dot_q6_K_q8_1PKvPK10block_q8_1RKiEEEvS4_S4_PT_PS8_iiii ; -- Begin function _ZL9moe_vec_qIN3c104HalfELi256ELi32E10block_q6_KLi1EXadL_ZL17vec_dot_q6_K_q8_1PKvPK10block_q8_1RKiEEEvS4_S4_PT_PS8_iiii
	.p2align	8
	.type	_ZL9moe_vec_qIN3c104HalfELi256ELi32E10block_q6_KLi1EXadL_ZL17vec_dot_q6_K_q8_1PKvPK10block_q8_1RKiEEEvS4_S4_PT_PS8_iiii,@function
_ZL9moe_vec_qIN3c104HalfELi256ELi32E10block_q6_KLi1EXadL_ZL17vec_dot_q6_K_q8_1PKvPK10block_q8_1RKiEEEvS4_S4_PT_PS8_iiii: ; @_ZL9moe_vec_qIN3c104HalfELi256ELi32E10block_q6_KLi1EXadL_ZL17vec_dot_q6_K_q8_1PKvPK10block_q8_1RKiEEEvS4_S4_PT_PS8_iiii
; %bb.0:
	s_mov_b32 s8, s3
	s_load_dword s3, s[0:1], 0x3c
	s_load_dwordx4 s[4:7], s[0:1], 0x20
	v_bfe_u32 v1, v0, 10, 10
	s_waitcnt lgkmcnt(0)
	s_lshr_b32 s3, s3, 16
	s_mul_i32 s2, s2, s3
	v_add_u32_e32 v12, s2, v1
	v_cmp_gt_u32_e32 vcc, s6, v12
	s_and_saveexec_b64 s[2:3], vcc
	s_cbranch_execz .LBB265_7
; %bb.1:
	s_load_dwordx2 s[2:3], s[0:1], 0x10
	s_ashr_i32 s9, s5, 31
	s_lshr_b32 s9, s9, 24
	s_add_i32 s5, s5, s9
	s_ashr_i32 s5, s5, 8
	v_bfe_u32 v14, v0, 5, 5
	v_and_b32_e32 v13, 0x3ff, v0
	v_cmp_gt_u32_e32 vcc, s5, v14
	v_mov_b32_e32 v16, 0
	s_and_saveexec_b64 s[10:11], vcc
	s_cbranch_execz .LBB265_5
; %bb.2:
	s_load_dwordx2 s[12:13], s[0:1], 0x18
	v_cvt_f32_u32_e32 v0, s4
	s_mov_b32 s9, 0
	s_lshl_b64 s[14:15], s[8:9], 2
	v_and_b32_e32 v2, 31, v13
	s_waitcnt lgkmcnt(0)
	s_add_u32 s12, s12, s14
	v_rcp_iflag_f32_e32 v0, v0
	s_addc_u32 s13, s13, s15
	s_load_dword s14, s[12:13], 0x0
	s_load_dwordx4 s[16:19], s[0:1], 0x0
	s_mul_i32 s0, s5, s6
	v_mul_f32_e32 v0, 0x4f7ffffe, v0
	v_cvt_u32_f32_e32 v0, v0
	s_waitcnt lgkmcnt(0)
	s_mul_i32 s0, s0, s14
	s_mul_hi_i32 s1, s0, 0xd2
	s_mulk_i32 s0, 0xd2
	s_add_u32 s14, s16, s0
	s_addc_u32 s15, s17, s1
	s_sub_i32 s0, 0, s4
	v_readfirstlane_b32 s1, v0
	s_mul_i32 s0, s0, s1
	s_mul_hi_u32 s0, s1, s0
	s_add_i32 s1, s1, s0
	s_mul_hi_u32 s0, s8, s1
	s_mul_i32 s1, s0, s4
	s_sub_i32 s1, s8, s1
	s_add_i32 s13, s0, 1
	s_sub_i32 s16, s1, s4
	s_cmp_ge_u32 s1, s4
	s_cselect_b32 s0, s13, s0
	s_cselect_b32 s1, s16, s1
	s_add_i32 s13, s0, 1
	s_cmp_ge_u32 s1, s4
	s_cselect_b32 s0, s13, s0
	s_mul_i32 s0, s0, s7
	s_mov_b32 s1, s9
	v_add_u32_e32 v0, 0xf0, v2
	v_cmp_gt_u32_e32 vcc, 16, v2
	s_lshl_b64 s[0:1], s[0:1], 2
	s_add_u32 s0, s18, s0
	v_cndmask_b32_e32 v8, v0, v2, vcc
	v_and_b32_e32 v9, 0xf8, v8
	v_cmp_lt_u32_e32 vcc, 15, v2
	s_addc_u32 s1, s19, s1
	v_and_b32_e32 v4, 7, v13
	v_cndmask_b32_e64 v10, 0, 8, vcc
	v_cndmask_b32_e64 v6, 0, 4, vcc
	v_cmp_ne_u32_e32 vcc, 0, v9
	v_mad_u64_u32 v[6:7], s[0:1], v6, 36, s[0:1]
	s_nop 0
	v_cndmask_b32_e64 v9, 0, 1, vcc
	v_lshlrev_b32_e32 v0, 2, v2
	v_mov_b32_e32 v1, 0
	v_or_b32_e32 v2, v10, v4
	v_mad_u64_u32 v[6:7], s[0:1], v9, 36, v[6:7]
	v_bfe_u32 v8, v8, 2, 6
	s_movk_i32 s12, 0xd2
	v_mul_lo_u32 v15, v12, s5
	v_lshlrev_b32_e32 v2, 2, v2
	v_mov_b32_e32 v3, v1
	v_lshlrev_b32_e32 v4, 2, v4
	v_mov_b32_e32 v5, v1
	v_cndmask_b32_e64 v17, 0, 2, vcc
	v_add_u32_e32 v8, v8, v10
	v_mov_b32_e32 v9, v1
	v_lshlrev_b32_e32 v18, 3, v14
	s_mov_b64 s[0:1], 0
	v_mov_b64_e32 v[10:11], s[14:15]
	s_mov_b32 s4, 0x30303030
	s_movk_i32 s7, 0xe000
	s_movk_i32 s9, 0x3f00
	v_mov_b32_e32 v16, v1
.LBB265_3:                              ; =>This Inner Loop Header: Depth=1
	v_add_u32_e32 v19, v15, v14
	v_mad_i64_i32 v[20:21], s[14:15], v19, s12, v[10:11]
	v_lshl_add_u64 v[24:25], v[20:21], 0, v[2:3]
	v_lshl_add_u64 v[22:23], v[20:21], 0, v[0:1]
	global_load_dword v19, v[24:25], off offset:128
	global_load_dword v26, v[22:23], off
	v_mad_i64_i32 v[22:23], s[14:15], v18, 36, v[6:7]
	v_lshl_add_u64 v[24:25], v[22:23], 0, v[4:5]
	global_load_dword v27, v[24:25], off offset:4
	global_load_dword v28, v[24:25], off offset:76
	v_lshl_add_u64 v[24:25], v[20:21], 0, v[8:9]
	global_load_sbyte v29, v[24:25], off offset:192
	global_load_sbyte v30, v[24:25], off offset:196
	global_load_dword v31, v[22:23], off
	global_load_dword v32, v[22:23], off offset:72
	global_load_ushort v33, v[20:21], off offset:208
	v_mov_b32_e32 v20, 0
	v_mov_b32_e32 v21, 0
	v_add_u32_e32 v14, 2, v14
	v_cmp_le_u32_e32 vcc, s5, v14
	v_add_u32_e32 v18, 16, v18
	s_or_b64 s[0:1], vcc, s[0:1]
	s_waitcnt vmcnt(8)
	v_ashrrev_i32_e32 v19, v17, v19
	s_waitcnt vmcnt(7)
	v_and_b32_e32 v22, 0xf0f0f0f, v26
	v_lshrrev_b32_e32 v23, 4, v26
	v_lshlrev_b32_e32 v24, 4, v19
	v_and_b32_e32 v23, 0xf0f0f0f, v23
	v_and_or_b32 v22, v24, s4, v22
	v_and_or_b32 v19, v19, s4, v23
	v_lshrrev_b32_e32 v23, 16, v22
	v_lshlrev_b16_e32 v24, 8, v22
	v_lshrrev_b32_e32 v25, 16, v19
	v_lshlrev_b16_e32 v26, 8, v19
	v_add_u16_e32 v24, 0xe000, v24
	v_lshlrev_b16_e32 v34, 8, v23
	v_add_u16_e32 v26, 0xe000, v26
	v_lshlrev_b16_e32 v35, 8, v25
	v_lshrrev_b16_e32 v24, 8, v24
	v_add_u16_e32 v34, 0xe000, v34
	v_lshrrev_b16_e32 v26, 8, v26
	v_add_u16_e32 v35, 0xe000, v35
	v_bitop3_b16 v22, v22, v24, s9 bitop3:0xec
	v_lshrrev_b16_e32 v24, 8, v34
	v_bitop3_b16 v19, v19, v26, s9 bitop3:0xec
	v_lshrrev_b16_e32 v26, 8, v35
	v_bitop3_b16 v23, v23, v24, s9 bitop3:0xec
	v_add_u16_e32 v22, 0xe000, v22
	v_bitop3_b16 v24, v25, v26, s9 bitop3:0xec
	v_add_u16_sdwa v23, v23, s7 dst_sel:WORD_1 dst_unused:UNUSED_PAD src0_sel:DWORD src1_sel:DWORD
	v_add_u16_e32 v19, 0xe000, v19
	v_add_u16_sdwa v24, v24, s7 dst_sel:WORD_1 dst_unused:UNUSED_PAD src0_sel:DWORD src1_sel:DWORD
	v_or_b32_e32 v22, v22, v23
	v_or_b32_e32 v19, v19, v24
	s_waitcnt vmcnt(6)
	v_dot4c_i32_i8_e32 v20, v22, v27
	s_waitcnt vmcnt(5)
	v_dot4c_i32_i8_e32 v21, v19, v28
	s_waitcnt vmcnt(4)
	v_mul_lo_u32 v19, v20, v29
	s_waitcnt vmcnt(3)
	v_mul_lo_u32 v20, v21, v30
	v_cvt_f32_i32_e32 v19, v19
	v_cvt_f32_i32_e32 v20, v20
	s_waitcnt vmcnt(2)
	v_fma_mix_f32 v19, v31, v19, 0 op_sel_hi:[1,0,0]
	s_waitcnt vmcnt(1)
	v_fma_mix_f32 v19, v32, v20, v19 op_sel_hi:[1,0,0]
	;; [unrolled: 2-line block ×3, first 2 shown]
	s_andn2_b64 exec, exec, s[0:1]
	s_cbranch_execnz .LBB265_3
; %bb.4:
	s_or_b64 exec, exec, s[0:1]
.LBB265_5:
	s_or_b64 exec, exec, s[10:11]
	v_mbcnt_lo_u32_b32 v0, -1, 0
	v_mbcnt_hi_u32_b32 v1, -1, v0
	v_and_b32_e32 v0, 64, v1
	v_add_u32_e32 v2, 64, v0
	v_xor_b32_e32 v0, 32, v1
	v_cmp_lt_i32_e32 vcc, v0, v2
	v_xor_b32_e32 v3, 16, v1
	v_xor_b32_e32 v4, 8, v1
	v_cndmask_b32_e32 v0, v1, v0, vcc
	v_lshlrev_b32_e32 v0, 2, v0
	ds_bpermute_b32 v0, v0, v16
	v_cmp_lt_i32_e32 vcc, v3, v2
	s_waitcnt lgkmcnt(0)
	v_add_f32_e32 v0, v16, v0
	v_cndmask_b32_e32 v3, v1, v3, vcc
	v_lshlrev_b32_e32 v3, 2, v3
	ds_bpermute_b32 v3, v3, v0
	v_cmp_lt_i32_e32 vcc, v4, v2
	s_waitcnt lgkmcnt(0)
	v_add_f32_e32 v0, v0, v3
	v_cndmask_b32_e32 v3, v1, v4, vcc
	v_lshlrev_b32_e32 v3, 2, v3
	ds_bpermute_b32 v3, v3, v0
	v_xor_b32_e32 v4, 4, v1
	v_cmp_lt_i32_e32 vcc, v4, v2
	s_waitcnt lgkmcnt(0)
	v_add_f32_e32 v0, v0, v3
	v_cndmask_b32_e32 v3, v1, v4, vcc
	v_lshlrev_b32_e32 v3, 2, v3
	ds_bpermute_b32 v3, v3, v0
	v_xor_b32_e32 v4, 2, v1
	;; [unrolled: 7-line block ×3, first 2 shown]
	v_cmp_lt_i32_e32 vcc, v4, v2
	s_waitcnt lgkmcnt(0)
	v_add_f32_e32 v0, v0, v3
	v_cndmask_b32_e32 v1, v1, v4, vcc
	v_lshlrev_b32_e32 v1, 2, v1
	ds_bpermute_b32 v1, v1, v0
	v_cmp_eq_u32_e32 vcc, 0, v13
	s_and_b64 exec, exec, vcc
	s_cbranch_execz .LBB265_7
; %bb.6:
	s_waitcnt lgkmcnt(0)
	v_add_f32_e32 v0, v0, v1
	v_cvt_f16_f32_e32 v2, v0
	s_mul_i32 s0, s6, s8
	v_add_u32_e32 v0, s0, v12
	v_mov_b32_e32 v1, 0
	v_lshl_add_u64 v[0:1], v[0:1], 1, s[2:3]
	global_store_short v[0:1], v2, off
.LBB265_7:
	s_endpgm
	.section	.rodata,"a",@progbits
	.p2align	6, 0x0
	.amdhsa_kernel _ZL9moe_vec_qIN3c104HalfELi256ELi32E10block_q6_KLi1EXadL_ZL17vec_dot_q6_K_q8_1PKvPK10block_q8_1RKiEEEvS4_S4_PT_PS8_iiii
		.amdhsa_group_segment_fixed_size 0
		.amdhsa_private_segment_fixed_size 0
		.amdhsa_kernarg_size 304
		.amdhsa_user_sgpr_count 2
		.amdhsa_user_sgpr_dispatch_ptr 0
		.amdhsa_user_sgpr_queue_ptr 0
		.amdhsa_user_sgpr_kernarg_segment_ptr 1
		.amdhsa_user_sgpr_dispatch_id 0
		.amdhsa_user_sgpr_kernarg_preload_length 0
		.amdhsa_user_sgpr_kernarg_preload_offset 0
		.amdhsa_user_sgpr_private_segment_size 0
		.amdhsa_uses_dynamic_stack 0
		.amdhsa_enable_private_segment 0
		.amdhsa_system_sgpr_workgroup_id_x 1
		.amdhsa_system_sgpr_workgroup_id_y 0
		.amdhsa_system_sgpr_workgroup_id_z 1
		.amdhsa_system_sgpr_workgroup_info 0
		.amdhsa_system_vgpr_workitem_id 1
		.amdhsa_next_free_vgpr 36
		.amdhsa_next_free_sgpr 20
		.amdhsa_accum_offset 36
		.amdhsa_reserve_vcc 1
		.amdhsa_float_round_mode_32 0
		.amdhsa_float_round_mode_16_64 0
		.amdhsa_float_denorm_mode_32 3
		.amdhsa_float_denorm_mode_16_64 3
		.amdhsa_dx10_clamp 1
		.amdhsa_ieee_mode 1
		.amdhsa_fp16_overflow 0
		.amdhsa_tg_split 0
		.amdhsa_exception_fp_ieee_invalid_op 0
		.amdhsa_exception_fp_denorm_src 0
		.amdhsa_exception_fp_ieee_div_zero 0
		.amdhsa_exception_fp_ieee_overflow 0
		.amdhsa_exception_fp_ieee_underflow 0
		.amdhsa_exception_fp_ieee_inexact 0
		.amdhsa_exception_int_div_zero 0
	.end_amdhsa_kernel
	.section	.text._ZL9moe_vec_qIN3c104HalfELi256ELi32E10block_q6_KLi1EXadL_ZL17vec_dot_q6_K_q8_1PKvPK10block_q8_1RKiEEEvS4_S4_PT_PS8_iiii,"axG",@progbits,_ZL9moe_vec_qIN3c104HalfELi256ELi32E10block_q6_KLi1EXadL_ZL17vec_dot_q6_K_q8_1PKvPK10block_q8_1RKiEEEvS4_S4_PT_PS8_iiii,comdat
.Lfunc_end265:
	.size	_ZL9moe_vec_qIN3c104HalfELi256ELi32E10block_q6_KLi1EXadL_ZL17vec_dot_q6_K_q8_1PKvPK10block_q8_1RKiEEEvS4_S4_PT_PS8_iiii, .Lfunc_end265-_ZL9moe_vec_qIN3c104HalfELi256ELi32E10block_q6_KLi1EXadL_ZL17vec_dot_q6_K_q8_1PKvPK10block_q8_1RKiEEEvS4_S4_PT_PS8_iiii
                                        ; -- End function
	.set _ZL9moe_vec_qIN3c104HalfELi256ELi32E10block_q6_KLi1EXadL_ZL17vec_dot_q6_K_q8_1PKvPK10block_q8_1RKiEEEvS4_S4_PT_PS8_iiii.num_vgpr, 36
	.set _ZL9moe_vec_qIN3c104HalfELi256ELi32E10block_q6_KLi1EXadL_ZL17vec_dot_q6_K_q8_1PKvPK10block_q8_1RKiEEEvS4_S4_PT_PS8_iiii.num_agpr, 0
	.set _ZL9moe_vec_qIN3c104HalfELi256ELi32E10block_q6_KLi1EXadL_ZL17vec_dot_q6_K_q8_1PKvPK10block_q8_1RKiEEEvS4_S4_PT_PS8_iiii.numbered_sgpr, 20
	.set _ZL9moe_vec_qIN3c104HalfELi256ELi32E10block_q6_KLi1EXadL_ZL17vec_dot_q6_K_q8_1PKvPK10block_q8_1RKiEEEvS4_S4_PT_PS8_iiii.num_named_barrier, 0
	.set _ZL9moe_vec_qIN3c104HalfELi256ELi32E10block_q6_KLi1EXadL_ZL17vec_dot_q6_K_q8_1PKvPK10block_q8_1RKiEEEvS4_S4_PT_PS8_iiii.private_seg_size, 0
	.set _ZL9moe_vec_qIN3c104HalfELi256ELi32E10block_q6_KLi1EXadL_ZL17vec_dot_q6_K_q8_1PKvPK10block_q8_1RKiEEEvS4_S4_PT_PS8_iiii.uses_vcc, 1
	.set _ZL9moe_vec_qIN3c104HalfELi256ELi32E10block_q6_KLi1EXadL_ZL17vec_dot_q6_K_q8_1PKvPK10block_q8_1RKiEEEvS4_S4_PT_PS8_iiii.uses_flat_scratch, 0
	.set _ZL9moe_vec_qIN3c104HalfELi256ELi32E10block_q6_KLi1EXadL_ZL17vec_dot_q6_K_q8_1PKvPK10block_q8_1RKiEEEvS4_S4_PT_PS8_iiii.has_dyn_sized_stack, 0
	.set _ZL9moe_vec_qIN3c104HalfELi256ELi32E10block_q6_KLi1EXadL_ZL17vec_dot_q6_K_q8_1PKvPK10block_q8_1RKiEEEvS4_S4_PT_PS8_iiii.has_recursion, 0
	.set _ZL9moe_vec_qIN3c104HalfELi256ELi32E10block_q6_KLi1EXadL_ZL17vec_dot_q6_K_q8_1PKvPK10block_q8_1RKiEEEvS4_S4_PT_PS8_iiii.has_indirect_call, 0
	.section	.AMDGPU.csdata,"",@progbits
; Kernel info:
; codeLenInByte = 1180
; TotalNumSgprs: 26
; NumVgprs: 36
; NumAgprs: 0
; TotalNumVgprs: 36
; ScratchSize: 0
; MemoryBound: 0
; FloatMode: 240
; IeeeMode: 1
; LDSByteSize: 0 bytes/workgroup (compile time only)
; SGPRBlocks: 3
; VGPRBlocks: 4
; NumSGPRsForWavesPerEU: 26
; NumVGPRsForWavesPerEU: 36
; AccumOffset: 36
; Occupancy: 8
; WaveLimiterHint : 1
; COMPUTE_PGM_RSRC2:SCRATCH_EN: 0
; COMPUTE_PGM_RSRC2:USER_SGPR: 2
; COMPUTE_PGM_RSRC2:TRAP_HANDLER: 0
; COMPUTE_PGM_RSRC2:TGID_X_EN: 1
; COMPUTE_PGM_RSRC2:TGID_Y_EN: 0
; COMPUTE_PGM_RSRC2:TGID_Z_EN: 1
; COMPUTE_PGM_RSRC2:TIDIG_COMP_CNT: 1
; COMPUTE_PGM_RSRC3_GFX90A:ACCUM_OFFSET: 8
; COMPUTE_PGM_RSRC3_GFX90A:TG_SPLIT: 0
	.section	.text._ZL9moe_vec_qIN3c104HalfELi256ELi8E13block_iq2_xxsLi1EXadL_ZL20vec_dot_iq2_xxs_q8_1PKvPK10block_q8_1RKiEEEvS4_S4_PT_PS8_iiii,"axG",@progbits,_ZL9moe_vec_qIN3c104HalfELi256ELi8E13block_iq2_xxsLi1EXadL_ZL20vec_dot_iq2_xxs_q8_1PKvPK10block_q8_1RKiEEEvS4_S4_PT_PS8_iiii,comdat
	.globl	_ZL9moe_vec_qIN3c104HalfELi256ELi8E13block_iq2_xxsLi1EXadL_ZL20vec_dot_iq2_xxs_q8_1PKvPK10block_q8_1RKiEEEvS4_S4_PT_PS8_iiii ; -- Begin function _ZL9moe_vec_qIN3c104HalfELi256ELi8E13block_iq2_xxsLi1EXadL_ZL20vec_dot_iq2_xxs_q8_1PKvPK10block_q8_1RKiEEEvS4_S4_PT_PS8_iiii
	.p2align	8
	.type	_ZL9moe_vec_qIN3c104HalfELi256ELi8E13block_iq2_xxsLi1EXadL_ZL20vec_dot_iq2_xxs_q8_1PKvPK10block_q8_1RKiEEEvS4_S4_PT_PS8_iiii,@function
_ZL9moe_vec_qIN3c104HalfELi256ELi8E13block_iq2_xxsLi1EXadL_ZL20vec_dot_iq2_xxs_q8_1PKvPK10block_q8_1RKiEEEvS4_S4_PT_PS8_iiii: ; @_ZL9moe_vec_qIN3c104HalfELi256ELi8E13block_iq2_xxsLi1EXadL_ZL20vec_dot_iq2_xxs_q8_1PKvPK10block_q8_1RKiEEEvS4_S4_PT_PS8_iiii
; %bb.0:
	s_mov_b32 s68, s3
	s_load_dword s3, s[0:1], 0x3c
	s_load_dwordx4 s[64:67], s[0:1], 0x20
	v_bfe_u32 v1, v0, 10, 10
	s_waitcnt lgkmcnt(0)
	s_lshr_b32 s3, s3, 16
	s_mul_i32 s2, s2, s3
	v_add_u32_e32 v8, s2, v1
	v_cmp_gt_u32_e32 vcc, s66, v8
	s_and_saveexec_b64 s[2:3], vcc
	s_cbranch_execz .LBB266_7
; %bb.1:
	s_load_dwordx2 s[70:71], s[0:1], 0x10
	s_ashr_i32 s2, s65, 31
	s_lshr_b32 s2, s2, 24
	s_add_i32 s2, s65, s2
	s_ashr_i32 s33, s2, 8
	v_bfe_u32 v10, v0, 3, 7
	v_and_b32_e32 v9, 0x3ff, v0
	v_cmp_gt_u32_e32 vcc, s33, v10
	v_mov_b32_e32 v11, 0
	s_and_saveexec_b64 s[72:73], vcc
	s_cbranch_execz .LBB266_5
; %bb.2:
	s_load_dwordx2 s[4:5], s[0:1], 0x18
	v_cvt_f32_u32_e32 v0, s64
	s_mov_b32 s69, 0
	s_lshl_b64 s[6:7], s[68:69], 2
	s_load_dwordx4 s[0:3], s[0:1], 0x0
	s_waitcnt lgkmcnt(0)
	s_add_u32 s4, s4, s6
	s_addc_u32 s5, s5, s7
	v_rcp_iflag_f32_e32 v0, v0
	s_load_dword s4, s[4:5], 0x0
	s_mul_i32 s5, s33, s66
	v_and_b32_e32 v2, 7, v9
	v_mul_f32_e32 v0, 0x4f7ffffe, v0
	v_cvt_u32_f32_e32 v0, v0
	s_waitcnt lgkmcnt(0)
	s_mul_i32 s4, s5, s4
	s_mul_hi_i32 s5, s4, 0x42
	s_mulk_i32 s4, 0x42
	s_add_u32 s0, s0, s4
	s_addc_u32 s1, s1, s5
	s_sub_i32 s4, 0, s64
	v_readfirstlane_b32 s5, v0
	s_mul_i32 s4, s4, s5
	s_mul_hi_u32 s4, s5, s4
	s_add_i32 s5, s5, s4
	s_mul_hi_u32 s4, s68, s5
	s_mul_i32 s5, s4, s64
	s_sub_i32 s5, s68, s5
	s_add_i32 s6, s4, 1
	s_sub_i32 s7, s5, s64
	s_cmp_ge_u32 s5, s64
	s_cselect_b32 s4, s6, s4
	s_cselect_b32 s5, s7, s5
	s_add_i32 s6, s4, 1
	s_cmp_ge_u32 s5, s64
	s_cselect_b32 s4, s6, s4
	s_mul_i32 s4, s4, s67
	s_mov_b32 s5, s69
	s_lshl_b64 s[4:5], s[4:5], 2
	s_add_u32 s2, s2, s4
	s_addc_u32 s3, s3, s5
	v_lshlrev_b32_e32 v0, 2, v2
	v_mov_b32_e32 v1, 0
	s_movk_i32 s74, 0x42
	v_mad_u64_u32 v[2:3], s[2:3], v2, 36, s[2:3]
	v_lshlrev_b32_e32 v12, 3, v10
	s_mov_b64 s[64:65], 0
	v_mov_b64_e32 v[4:5], s[0:1]
	v_lshlrev_b32_e32 v0, 1, v0
	v_mov_b32_e32 v13, 3
	v_mov_b32_e32 v11, v1
.LBB266_3:                              ; =>This Inner Loop Header: Depth=1
	v_mul_lo_u32 v14, v8, s33
	v_mad_i64_i32 v[6:7], s[0:1], v12, 36, v[2:3]
	v_add_u32_e32 v14, v14, v10
	global_load_dwordx4 v[16:19], v[6:7], off offset:20
	global_load_dwordx4 v[20:23], v[6:7], off offset:4
	global_load_ushort v28, v[6:7], off
	v_mad_i64_i32 v[6:7], s[4:5], v14, s74, v[4:5]
	v_lshl_add_u64 v[14:15], v[6:7], 0, v[0:1]
	global_load_ushort v29, v[6:7], off
	global_load_dword v24, v[14:15], off offset:2
	global_load_dword v30, v[14:15], off offset:6
	s_getpc_b64 s[0:1]
	s_add_u32 s0, s0, _ZL11iq2xxs_grid@rel32@lo+4
	s_addc_u32 s1, s1, _ZL11iq2xxs_grid@rel32@hi+12
	s_getpc_b64 s[2:3]
	s_add_u32 s2, s2, _ZL12ksigns_iq2xs@rel32@lo+4
	s_addc_u32 s3, s3, _ZL12ksigns_iq2xs@rel32@hi+12
	v_add_u32_e32 v10, 8, v10
	v_add_u32_e32 v12, 64, v12
	s_waitcnt vmcnt(3)
	v_cvt_f32_f16_e32 v28, v28
	s_waitcnt vmcnt(2)
	v_cvt_f32_f16_e32 v29, v29
	s_waitcnt vmcnt(1)
	v_lshlrev_b32_sdwa v31, v13, v24 dst_sel:DWORD dst_unused:UNUSED_PAD src0_sel:DWORD src1_sel:BYTE_0
	s_waitcnt vmcnt(0)
	v_and_b32_e32 v32, 0x7f, v30
	v_lshlrev_b32_sdwa v33, v13, v24 dst_sel:DWORD dst_unused:UNUSED_PAD src0_sel:DWORD src1_sel:BYTE_1
	v_bfe_u32 v34, v30, 7, 7
	v_lshlrev_b32_sdwa v35, v13, v24 dst_sel:DWORD dst_unused:UNUSED_PAD src0_sel:DWORD src1_sel:BYTE_2
	v_lshlrev_b32_sdwa v36, v13, v24 dst_sel:DWORD dst_unused:UNUSED_PAD src0_sel:DWORD src1_sel:BYTE_3
	v_bfe_u32 v37, v30, 14, 7
	v_bfe_u32 v38, v30, 21, 7
	global_load_dwordx2 v[6:7], v31, s[0:1]
	global_load_sbyte v39, v32, s[2:3]
	global_load_dwordx2 v[14:15], v33, s[0:1]
	global_load_dwordx2 v[24:25], v35, s[0:1]
	;; [unrolled: 1-line block ×3, first 2 shown]
	global_load_sbyte v40, v34, s[2:3]
	global_load_sbyte v41, v37, s[2:3]
	;; [unrolled: 1-line block ×3, first 2 shown]
	v_cmp_gt_u32_e32 vcc, 64, v32
	v_cmp_gt_u32_e64 s[0:1], 64, v34
	v_cmp_gt_u32_e64 s[4:5], 64, v38
	v_cmp_gt_u32_e64 s[2:3], 64, v37
	v_lshrrev_b32_e32 v30, 28, v30
	v_cvt_f32_ubyte0_e32 v30, v30
	v_add_f32_e32 v30, 0.5, v30
	s_waitcnt vmcnt(7)
	v_mul_i32_i24_sdwa v31, v6, sext(v20) dst_sel:DWORD dst_unused:UNUSED_PAD src0_sel:BYTE_0 src1_sel:BYTE_0
	v_mul_i32_i24_sdwa v33, v6, sext(v20) dst_sel:DWORD dst_unused:UNUSED_PAD src0_sel:BYTE_1 src1_sel:BYTE_1
	s_waitcnt vmcnt(6)
	v_and_b32_e32 v35, 2, v39
	v_mul_i32_i24_sdwa v36, v6, sext(v20) dst_sel:DWORD dst_unused:UNUSED_PAD src0_sel:BYTE_2 src1_sel:BYTE_2
	v_and_b32_e32 v43, 4, v39
	v_mul_i32_i24_sdwa v6, v6, sext(v20) dst_sel:DWORD dst_unused:UNUSED_PAD src0_sel:BYTE_3 src1_sel:BYTE_3
	v_and_b32_e32 v20, 8, v39
	v_and_b32_e32 v45, 16, v39
	;; [unrolled: 1-line block ×3, first 2 shown]
	v_cmp_gt_i16_e64 s[60:61], 0, v39
	v_and_b32_e32 v39, 1, v39
	s_waitcnt vmcnt(1)
	v_and_b32_e32 v66, 1, v41
	v_and_b32_e32 v67, 2, v41
	;; [unrolled: 1-line block ×6, first 2 shown]
	v_cmp_gt_i16_e64 s[8:9], 0, v41
	v_sub_u32_e32 v41, 0, v33
	v_cmp_eq_u16_e64 s[10:11], 0, v35
	v_sub_u32_e32 v79, 0, v31
	v_cmp_eq_u16_e64 s[62:63], 0, v39
	v_mul_i32_i24_sdwa v44, v7, sext(v21) dst_sel:DWORD dst_unused:UNUSED_PAD src0_sel:BYTE_0 src1_sel:BYTE_0
	v_mul_i32_i24_sdwa v46, v7, sext(v21) dst_sel:DWORD dst_unused:UNUSED_PAD src0_sel:BYTE_1 src1_sel:BYTE_1
	s_waitcnt vmcnt(0)
	v_and_b32_e32 v75, 8, v42
	v_sub_u32_e32 v35, 0, v36
	v_cmp_eq_u16_e64 s[12:13], 0, v43
	v_sub_u32_e32 v43, 0, v6
	v_cmp_eq_u16_e64 s[14:15], 0, v20
	v_cndmask_b32_e64 v31, v79, v31, s[62:63]
	v_cndmask_b32_e64 v33, v41, v33, s[10:11]
	v_mul_i32_i24_sdwa v48, v7, sext(v21) dst_sel:DWORD dst_unused:UNUSED_PAD src0_sel:BYTE_2 src1_sel:BYTE_2
	v_mul_i32_i24_sdwa v7, v7, sext(v21) dst_sel:DWORD dst_unused:UNUSED_PAD src0_sel:BYTE_3 src1_sel:BYTE_3
	v_and_b32_e32 v72, 1, v42
	v_and_b32_e32 v73, 2, v42
	;; [unrolled: 1-line block ×3, first 2 shown]
	v_sub_u32_e32 v20, 0, v44
	v_cmp_eq_u16_e64 s[16:17], 0, v45
	v_sub_u32_e32 v45, 0, v46
	v_cmp_eq_u16_e64 s[18:19], 0, v47
	v_cmp_eq_u16_e64 s[52:53], 0, v75
	v_and_b32_e32 v75, 16, v42
	v_cmp_gt_i16_e64 s[56:57], 0, v42
	v_and_b32_e32 v42, 32, v42
	v_cndmask_b32_e64 v35, v35, v36, s[12:13]
	v_cndmask_b32_e64 v6, v43, v6, s[14:15]
	v_add_u32_e32 v31, v33, v31
	v_mul_i32_i24_sdwa v21, v14, sext(v22) dst_sel:DWORD dst_unused:UNUSED_PAD src0_sel:BYTE_0 src1_sel:BYTE_0
	v_mul_i32_i24_sdwa v49, v14, sext(v22) dst_sel:DWORD dst_unused:UNUSED_PAD src0_sel:BYTE_1 src1_sel:BYTE_1
	v_mul_i32_i24_sdwa v50, v14, sext(v22) dst_sel:DWORD dst_unused:UNUSED_PAD src0_sel:BYTE_2 src1_sel:BYTE_2
	v_mul_i32_i24_sdwa v14, v14, sext(v22) dst_sel:DWORD dst_unused:UNUSED_PAD src0_sel:BYTE_3 src1_sel:BYTE_3
	v_mul_i32_i24_sdwa v22, v15, sext(v23) dst_sel:DWORD dst_unused:UNUSED_PAD src0_sel:BYTE_0 src1_sel:BYTE_0
	v_mul_i32_i24_sdwa v51, v15, sext(v23) dst_sel:DWORD dst_unused:UNUSED_PAD src0_sel:BYTE_1 src1_sel:BYTE_1
	v_mul_i32_i24_sdwa v52, v15, sext(v23) dst_sel:DWORD dst_unused:UNUSED_PAD src0_sel:BYTE_2 src1_sel:BYTE_2
	v_mul_i32_i24_sdwa v15, v15, sext(v23) dst_sel:DWORD dst_unused:UNUSED_PAD src0_sel:BYTE_3 src1_sel:BYTE_3
	;; [unrolled: 4-line block ×6, first 2 shown]
	v_and_b32_e32 v27, 1, v40
	v_and_b32_e32 v61, 2, v40
	v_sub_u32_e32 v76, 0, v48
	v_cmp_eq_u16_e64 s[58:59], 0, v42
	v_sub_u32_e32 v42, 0, v7
	v_cndmask_b32_e64 v20, v20, v44, s[16:17]
	v_cndmask_b32_e64 v36, v45, v46, s[18:19]
	v_add3_u32 v6, v31, v35, v6
	v_and_b32_e32 v62, 4, v40
	v_and_b32_e32 v63, 8, v40
	v_sub_u32_e32 v47, 0, v21
	v_cmp_eq_u16_e64 s[20:21], 0, v27
	v_sub_u32_e32 v27, 0, v49
	v_cmp_eq_u16_e64 s[22:23], 0, v61
	v_cndmask_b32_e32 v39, v76, v48, vcc
	v_cndmask_b32_e64 v7, v7, v42, s[60:61]
	v_add3_u32 v6, v6, v20, v36
	v_and_b32_e32 v64, 16, v40
	v_and_b32_e32 v65, 32, v40
	v_sub_u32_e32 v61, 0, v50
	v_cmp_eq_u16_e64 s[24:25], 0, v62
	v_sub_u32_e32 v62, 0, v14
	v_cmp_eq_u16_e64 s[26:27], 0, v63
	v_cndmask_b32_e64 v21, v47, v21, s[20:21]
	v_cndmask_b32_e64 v27, v27, v49, s[22:23]
	v_add3_u32 v6, v6, v39, v7
	v_sub_u32_e32 v63, 0, v22
	v_cmp_eq_u16_e64 s[28:29], 0, v64
	v_sub_u32_e32 v64, 0, v51
	v_cmp_eq_u16_e64 s[30:31], 0, v65
	v_cndmask_b32_e64 v41, v61, v50, s[24:25]
	v_cndmask_b32_e64 v14, v62, v14, s[26:27]
	v_add3_u32 v6, v6, v21, v27
	v_sub_u32_e32 v32, 0, v52
	v_sub_u32_e32 v38, 0, v15
	v_cmp_gt_i16_e64 s[6:7], 0, v40
	v_cndmask_b32_e64 v22, v63, v22, s[28:29]
	v_cndmask_b32_e64 v42, v64, v51, s[30:31]
	v_add3_u32 v6, v6, v41, v14
	v_sub_u32_e32 v65, 0, v23
	v_cmp_eq_u16_e64 s[34:35], 0, v66
	v_sub_u32_e32 v66, 0, v53
	v_cmp_eq_u16_e64 s[36:37], 0, v67
	v_cndmask_b32_e64 v32, v32, v52, s[0:1]
	v_cndmask_b32_e64 v15, v15, v38, s[6:7]
	v_add3_u32 v6, v6, v22, v42
	v_sub_u32_e32 v67, 0, v54
	v_cmp_eq_u16_e64 s[38:39], 0, v68
	v_sub_u32_e32 v68, 0, v16
	v_cmp_eq_u16_e64 s[40:41], 0, v69
	;; [unrolled: 7-line block ×3, first 2 shown]
	v_cndmask_b32_e64 v43, v67, v54, s[38:39]
	v_cndmask_b32_e64 v16, v68, v16, s[40:41]
	v_add3_u32 v6, v6, v23, v38
	v_sub_u32_e32 v34, 0, v56
	v_sub_u32_e32 v40, 0, v17
	v_cndmask_b32_e64 v24, v69, v24, s[42:43]
	v_cndmask_b32_e64 v44, v70, v55, s[44:45]
	v_add3_u32 v6, v6, v43, v16
	v_sub_u32_e32 v71, 0, v25
	v_cmp_eq_u16_e64 s[46:47], 0, v72
	v_sub_u32_e32 v72, 0, v57
	v_cmp_eq_u16_e64 s[48:49], 0, v73
	v_cndmask_b32_e64 v34, v34, v56, s[2:3]
	v_cndmask_b32_e64 v17, v17, v40, s[8:9]
	v_add3_u32 v6, v6, v24, v44
	v_sub_u32_e32 v73, 0, v58
	v_cmp_eq_u16_e64 s[50:51], 0, v74
	v_sub_u32_e32 v74, 0, v18
	v_cndmask_b32_e64 v25, v71, v25, s[46:47]
	v_cndmask_b32_e64 v40, v72, v57, s[48:49]
	v_add3_u32 v6, v6, v34, v17
	v_sub_u32_e32 v77, 0, v26
	v_cmp_eq_u16_e64 s[54:55], 0, v75
	v_sub_u32_e32 v78, 0, v59
	v_cndmask_b32_e64 v45, v73, v58, s[50:51]
	v_cndmask_b32_e64 v18, v74, v18, s[52:53]
	v_add3_u32 v6, v6, v25, v40
	v_sub_u32_e32 v37, 0, v60
	v_sub_u32_e32 v75, 0, v19
	v_cndmask_b32_e64 v26, v77, v26, s[54:55]
	v_cndmask_b32_e64 v46, v78, v59, s[58:59]
	v_add3_u32 v6, v6, v45, v18
	v_cndmask_b32_e64 v37, v37, v60, s[4:5]
	v_cndmask_b32_e64 v19, v19, v75, s[56:57]
	v_add3_u32 v6, v6, v26, v46
	v_add3_u32 v6, v6, v37, v19
	v_cvt_f32_i32_e32 v6, v6
	v_mul_f32_e32 v7, v30, v29
	v_mul_f32_e32 v7, v7, v28
	v_cmp_le_u32_e64 s[10:11], s33, v10
	v_mul_f32_e32 v7, 0x3e800000, v7
	s_or_b64 s[64:65], s[10:11], s[64:65]
	v_fmac_f32_e32 v11, v7, v6
	s_andn2_b64 exec, exec, s[64:65]
	s_cbranch_execnz .LBB266_3
; %bb.4:
	s_or_b64 exec, exec, s[64:65]
.LBB266_5:
	s_or_b64 exec, exec, s[72:73]
	v_mbcnt_lo_u32_b32 v0, -1, 0
	v_mbcnt_hi_u32_b32 v1, -1, v0
	v_and_b32_e32 v0, 64, v1
	v_add_u32_e32 v2, 64, v0
	v_xor_b32_e32 v0, 32, v1
	v_cmp_lt_i32_e32 vcc, v0, v2
	v_xor_b32_e32 v3, 16, v1
	v_xor_b32_e32 v4, 8, v1
	v_cndmask_b32_e32 v0, v1, v0, vcc
	v_lshlrev_b32_e32 v0, 2, v0
	ds_bpermute_b32 v0, v0, v11
	v_cmp_lt_i32_e32 vcc, v3, v2
	s_waitcnt lgkmcnt(0)
	v_add_f32_e32 v0, v11, v0
	v_cndmask_b32_e32 v3, v1, v3, vcc
	v_lshlrev_b32_e32 v3, 2, v3
	ds_bpermute_b32 v3, v3, v0
	v_cmp_lt_i32_e32 vcc, v4, v2
	s_waitcnt lgkmcnt(0)
	v_add_f32_e32 v0, v0, v3
	v_cndmask_b32_e32 v3, v1, v4, vcc
	v_lshlrev_b32_e32 v3, 2, v3
	ds_bpermute_b32 v3, v3, v0
	v_xor_b32_e32 v4, 4, v1
	v_cmp_lt_i32_e32 vcc, v4, v2
	s_waitcnt lgkmcnt(0)
	v_add_f32_e32 v0, v0, v3
	v_cndmask_b32_e32 v3, v1, v4, vcc
	v_lshlrev_b32_e32 v3, 2, v3
	ds_bpermute_b32 v3, v3, v0
	v_xor_b32_e32 v4, 2, v1
	;; [unrolled: 7-line block ×3, first 2 shown]
	v_cmp_lt_i32_e32 vcc, v4, v2
	s_waitcnt lgkmcnt(0)
	v_add_f32_e32 v0, v0, v3
	v_cndmask_b32_e32 v1, v1, v4, vcc
	v_lshlrev_b32_e32 v1, 2, v1
	ds_bpermute_b32 v1, v1, v0
	v_cmp_eq_u32_e32 vcc, 0, v9
	s_and_b64 exec, exec, vcc
	s_cbranch_execz .LBB266_7
; %bb.6:
	s_waitcnt lgkmcnt(0)
	v_add_f32_e32 v0, v0, v1
	v_cvt_f16_f32_e32 v2, v0
	s_mul_i32 s0, s66, s68
	v_add_u32_e32 v0, s0, v8
	v_mov_b32_e32 v1, 0
	v_lshl_add_u64 v[0:1], v[0:1], 1, s[70:71]
	global_store_short v[0:1], v2, off
.LBB266_7:
	s_endpgm
	.section	.rodata,"a",@progbits
	.p2align	6, 0x0
	.amdhsa_kernel _ZL9moe_vec_qIN3c104HalfELi256ELi8E13block_iq2_xxsLi1EXadL_ZL20vec_dot_iq2_xxs_q8_1PKvPK10block_q8_1RKiEEEvS4_S4_PT_PS8_iiii
		.amdhsa_group_segment_fixed_size 0
		.amdhsa_private_segment_fixed_size 0
		.amdhsa_kernarg_size 304
		.amdhsa_user_sgpr_count 2
		.amdhsa_user_sgpr_dispatch_ptr 0
		.amdhsa_user_sgpr_queue_ptr 0
		.amdhsa_user_sgpr_kernarg_segment_ptr 1
		.amdhsa_user_sgpr_dispatch_id 0
		.amdhsa_user_sgpr_kernarg_preload_length 0
		.amdhsa_user_sgpr_kernarg_preload_offset 0
		.amdhsa_user_sgpr_private_segment_size 0
		.amdhsa_uses_dynamic_stack 0
		.amdhsa_enable_private_segment 0
		.amdhsa_system_sgpr_workgroup_id_x 1
		.amdhsa_system_sgpr_workgroup_id_y 0
		.amdhsa_system_sgpr_workgroup_id_z 1
		.amdhsa_system_sgpr_workgroup_info 0
		.amdhsa_system_vgpr_workitem_id 1
		.amdhsa_next_free_vgpr 80
		.amdhsa_next_free_sgpr 75
		.amdhsa_accum_offset 80
		.amdhsa_reserve_vcc 1
		.amdhsa_float_round_mode_32 0
		.amdhsa_float_round_mode_16_64 0
		.amdhsa_float_denorm_mode_32 3
		.amdhsa_float_denorm_mode_16_64 3
		.amdhsa_dx10_clamp 1
		.amdhsa_ieee_mode 1
		.amdhsa_fp16_overflow 0
		.amdhsa_tg_split 0
		.amdhsa_exception_fp_ieee_invalid_op 0
		.amdhsa_exception_fp_denorm_src 0
		.amdhsa_exception_fp_ieee_div_zero 0
		.amdhsa_exception_fp_ieee_overflow 0
		.amdhsa_exception_fp_ieee_underflow 0
		.amdhsa_exception_fp_ieee_inexact 0
		.amdhsa_exception_int_div_zero 0
	.end_amdhsa_kernel
	.section	.text._ZL9moe_vec_qIN3c104HalfELi256ELi8E13block_iq2_xxsLi1EXadL_ZL20vec_dot_iq2_xxs_q8_1PKvPK10block_q8_1RKiEEEvS4_S4_PT_PS8_iiii,"axG",@progbits,_ZL9moe_vec_qIN3c104HalfELi256ELi8E13block_iq2_xxsLi1EXadL_ZL20vec_dot_iq2_xxs_q8_1PKvPK10block_q8_1RKiEEEvS4_S4_PT_PS8_iiii,comdat
.Lfunc_end266:
	.size	_ZL9moe_vec_qIN3c104HalfELi256ELi8E13block_iq2_xxsLi1EXadL_ZL20vec_dot_iq2_xxs_q8_1PKvPK10block_q8_1RKiEEEvS4_S4_PT_PS8_iiii, .Lfunc_end266-_ZL9moe_vec_qIN3c104HalfELi256ELi8E13block_iq2_xxsLi1EXadL_ZL20vec_dot_iq2_xxs_q8_1PKvPK10block_q8_1RKiEEEvS4_S4_PT_PS8_iiii
                                        ; -- End function
	.set _ZL9moe_vec_qIN3c104HalfELi256ELi8E13block_iq2_xxsLi1EXadL_ZL20vec_dot_iq2_xxs_q8_1PKvPK10block_q8_1RKiEEEvS4_S4_PT_PS8_iiii.num_vgpr, 80
	.set _ZL9moe_vec_qIN3c104HalfELi256ELi8E13block_iq2_xxsLi1EXadL_ZL20vec_dot_iq2_xxs_q8_1PKvPK10block_q8_1RKiEEEvS4_S4_PT_PS8_iiii.num_agpr, 0
	.set _ZL9moe_vec_qIN3c104HalfELi256ELi8E13block_iq2_xxsLi1EXadL_ZL20vec_dot_iq2_xxs_q8_1PKvPK10block_q8_1RKiEEEvS4_S4_PT_PS8_iiii.numbered_sgpr, 75
	.set _ZL9moe_vec_qIN3c104HalfELi256ELi8E13block_iq2_xxsLi1EXadL_ZL20vec_dot_iq2_xxs_q8_1PKvPK10block_q8_1RKiEEEvS4_S4_PT_PS8_iiii.num_named_barrier, 0
	.set _ZL9moe_vec_qIN3c104HalfELi256ELi8E13block_iq2_xxsLi1EXadL_ZL20vec_dot_iq2_xxs_q8_1PKvPK10block_q8_1RKiEEEvS4_S4_PT_PS8_iiii.private_seg_size, 0
	.set _ZL9moe_vec_qIN3c104HalfELi256ELi8E13block_iq2_xxsLi1EXadL_ZL20vec_dot_iq2_xxs_q8_1PKvPK10block_q8_1RKiEEEvS4_S4_PT_PS8_iiii.uses_vcc, 1
	.set _ZL9moe_vec_qIN3c104HalfELi256ELi8E13block_iq2_xxsLi1EXadL_ZL20vec_dot_iq2_xxs_q8_1PKvPK10block_q8_1RKiEEEvS4_S4_PT_PS8_iiii.uses_flat_scratch, 0
	.set _ZL9moe_vec_qIN3c104HalfELi256ELi8E13block_iq2_xxsLi1EXadL_ZL20vec_dot_iq2_xxs_q8_1PKvPK10block_q8_1RKiEEEvS4_S4_PT_PS8_iiii.has_dyn_sized_stack, 0
	.set _ZL9moe_vec_qIN3c104HalfELi256ELi8E13block_iq2_xxsLi1EXadL_ZL20vec_dot_iq2_xxs_q8_1PKvPK10block_q8_1RKiEEEvS4_S4_PT_PS8_iiii.has_recursion, 0
	.set _ZL9moe_vec_qIN3c104HalfELi256ELi8E13block_iq2_xxsLi1EXadL_ZL20vec_dot_iq2_xxs_q8_1PKvPK10block_q8_1RKiEEEvS4_S4_PT_PS8_iiii.has_indirect_call, 0
	.section	.AMDGPU.csdata,"",@progbits
; Kernel info:
; codeLenInByte = 2076
; TotalNumSgprs: 81
; NumVgprs: 80
; NumAgprs: 0
; TotalNumVgprs: 80
; ScratchSize: 0
; MemoryBound: 0
; FloatMode: 240
; IeeeMode: 1
; LDSByteSize: 0 bytes/workgroup (compile time only)
; SGPRBlocks: 10
; VGPRBlocks: 9
; NumSGPRsForWavesPerEU: 81
; NumVGPRsForWavesPerEU: 80
; AccumOffset: 80
; Occupancy: 6
; WaveLimiterHint : 1
; COMPUTE_PGM_RSRC2:SCRATCH_EN: 0
; COMPUTE_PGM_RSRC2:USER_SGPR: 2
; COMPUTE_PGM_RSRC2:TRAP_HANDLER: 0
; COMPUTE_PGM_RSRC2:TGID_X_EN: 1
; COMPUTE_PGM_RSRC2:TGID_Y_EN: 0
; COMPUTE_PGM_RSRC2:TGID_Z_EN: 1
; COMPUTE_PGM_RSRC2:TIDIG_COMP_CNT: 1
; COMPUTE_PGM_RSRC3_GFX90A:ACCUM_OFFSET: 19
; COMPUTE_PGM_RSRC3_GFX90A:TG_SPLIT: 0
	.section	.text._ZL9moe_vec_qIN3c104HalfELi256ELi8E12block_iq2_xsLi1EXadL_ZL19vec_dot_iq2_xs_q8_1PKvPK10block_q8_1RKiEEEvS4_S4_PT_PS8_iiii,"axG",@progbits,_ZL9moe_vec_qIN3c104HalfELi256ELi8E12block_iq2_xsLi1EXadL_ZL19vec_dot_iq2_xs_q8_1PKvPK10block_q8_1RKiEEEvS4_S4_PT_PS8_iiii,comdat
	.globl	_ZL9moe_vec_qIN3c104HalfELi256ELi8E12block_iq2_xsLi1EXadL_ZL19vec_dot_iq2_xs_q8_1PKvPK10block_q8_1RKiEEEvS4_S4_PT_PS8_iiii ; -- Begin function _ZL9moe_vec_qIN3c104HalfELi256ELi8E12block_iq2_xsLi1EXadL_ZL19vec_dot_iq2_xs_q8_1PKvPK10block_q8_1RKiEEEvS4_S4_PT_PS8_iiii
	.p2align	8
	.type	_ZL9moe_vec_qIN3c104HalfELi256ELi8E12block_iq2_xsLi1EXadL_ZL19vec_dot_iq2_xs_q8_1PKvPK10block_q8_1RKiEEEvS4_S4_PT_PS8_iiii,@function
_ZL9moe_vec_qIN3c104HalfELi256ELi8E12block_iq2_xsLi1EXadL_ZL19vec_dot_iq2_xs_q8_1PKvPK10block_q8_1RKiEEEvS4_S4_PT_PS8_iiii: ; @_ZL9moe_vec_qIN3c104HalfELi256ELi8E12block_iq2_xsLi1EXadL_ZL19vec_dot_iq2_xs_q8_1PKvPK10block_q8_1RKiEEEvS4_S4_PT_PS8_iiii
; %bb.0:
	s_mov_b32 s68, s3
	s_load_dword s3, s[0:1], 0x3c
	s_load_dwordx4 s[64:67], s[0:1], 0x20
	v_bfe_u32 v1, v0, 10, 10
	s_waitcnt lgkmcnt(0)
	s_lshr_b32 s3, s3, 16
	s_mul_i32 s2, s2, s3
	v_add_u32_e32 v18, s2, v1
	v_cmp_gt_u32_e32 vcc, s66, v18
	s_and_saveexec_b64 s[2:3], vcc
	s_cbranch_execz .LBB267_7
; %bb.1:
	s_load_dwordx2 s[70:71], s[0:1], 0x10
	s_ashr_i32 s2, s65, 31
	s_lshr_b32 s2, s2, 24
	s_add_i32 s2, s65, s2
	s_ashr_i32 s33, s2, 8
	v_bfe_u32 v20, v0, 3, 7
	v_and_b32_e32 v19, 0x3ff, v0
	v_cmp_gt_u32_e32 vcc, s33, v20
	v_mov_b32_e32 v21, 0
	s_and_saveexec_b64 s[72:73], vcc
	s_cbranch_execz .LBB267_5
; %bb.2:
	s_load_dwordx2 s[2:3], s[0:1], 0x18
	v_cvt_f32_u32_e32 v0, s64
	s_mov_b32 s69, 0
	s_lshl_b64 s[4:5], s[68:69], 2
	v_and_b32_e32 v8, 7, v19
	s_waitcnt lgkmcnt(0)
	s_add_u32 s2, s2, s4
	v_rcp_iflag_f32_e32 v0, v0
	s_addc_u32 s3, s3, s5
	s_load_dword s8, s[2:3], 0x0
	s_load_dwordx4 s[4:7], s[0:1], 0x0
	s_mul_i32 s0, s33, s66
	v_mul_f32_e32 v0, 0x4f7ffffe, v0
	v_cvt_u32_f32_e32 v0, v0
	s_waitcnt lgkmcnt(0)
	s_mul_i32 s0, s0, s8
	s_mul_hi_i32 s1, s0, 0x4a
	s_mulk_i32 s0, 0x4a
	s_add_u32 s0, s4, s0
	s_addc_u32 s1, s5, s1
	s_sub_i32 s2, 0, s64
	v_readfirstlane_b32 s3, v0
	s_mul_i32 s2, s2, s3
	s_mul_hi_u32 s2, s3, s2
	s_add_i32 s3, s3, s2
	s_mul_hi_u32 s2, s68, s3
	s_mul_i32 s3, s2, s64
	s_sub_i32 s3, s68, s3
	s_add_i32 s4, s2, 1
	s_sub_i32 s5, s3, s64
	s_cmp_ge_u32 s3, s64
	s_cselect_b32 s2, s4, s2
	s_cselect_b32 s3, s5, s3
	s_add_i32 s4, s2, 1
	s_cmp_ge_u32 s3, s64
	s_cselect_b32 s2, s4, s2
	s_mul_i32 s2, s2, s67
	s_mov_b32 s3, s69
	s_lshl_b64 s[2:3], s[2:3], 2
	s_add_u32 s2, s6, s2
	s_addc_u32 s3, s7, s3
	v_lshlrev_b32_e32 v0, 2, v8
	v_mov_b32_e32 v9, 0
	s_movk_i32 s74, 0x4a
	v_mul_lo_u32 v22, v18, s33
	v_mad_u64_u32 v[10:11], s[2:3], v8, 36, s[2:3]
	v_lshlrev_b32_e32 v23, 3, v20
	s_mov_b64 s[64:65], 0
	v_mov_b64_e32 v[12:13], s[0:1]
	v_lshlrev_b32_e32 v14, 1, v0
	v_mov_b32_e32 v15, v9
	v_mov_b32_e32 v21, v9
.LBB267_3:                              ; =>This Inner Loop Header: Depth=1
	v_add_u32_e32 v0, v22, v20
	v_mad_i64_i32 v[16:17], s[0:1], v23, 36, v[10:11]
	v_mad_i64_i32 v[28:29], s[4:5], v0, s74, v[12:13]
	global_load_dwordx4 v[0:3], v[16:17], off offset:20
	global_load_dwordx4 v[4:7], v[16:17], off offset:4
	global_load_ushort v24, v[16:17], off
	v_lshl_add_u64 v[30:31], v[28:29], 0, v[14:15]
	v_lshl_add_u64 v[32:33], v[28:29], 0, v[8:9]
	global_load_ushort v26, v[28:29], off
	global_load_dwordx2 v[16:17], v[30:31], off offset:2
	global_load_ubyte v25, v[32:33], off offset:66
	s_getpc_b64 s[0:1]
	s_add_u32 s0, s0, _ZL10iq2xs_grid@rel32@lo+4
	s_addc_u32 s1, s1, _ZL10iq2xs_grid@rel32@hi+12
	s_getpc_b64 s[2:3]
	s_add_u32 s2, s2, _ZL12ksigns_iq2xs@rel32@lo+4
	s_addc_u32 s3, s3, _ZL12ksigns_iq2xs@rel32@hi+12
	v_add_u32_e32 v20, 8, v20
	v_add_u32_e32 v23, 64, v23
	s_waitcnt vmcnt(3)
	v_cvt_f32_f16_e32 v24, v24
	s_waitcnt vmcnt(2)
	v_cvt_f32_f16_e32 v26, v26
	s_waitcnt vmcnt(1)
	v_bfe_u32 v28, v16, 9, 7
	v_and_b32_e32 v27, 0x1ff, v16
	v_lshrrev_b32_e32 v29, 13, v16
	v_lshrrev_b32_e32 v30, 25, v16
	v_and_b32_e32 v31, 0x1ff, v17
	v_bfe_u32 v32, v17, 9, 7
	v_lshrrev_b32_e32 v33, 13, v17
	v_lshrrev_b32_e32 v36, 25, v17
	global_load_sbyte v37, v28, s[2:3]
	global_load_sbyte v38, v30, s[2:3]
	;; [unrolled: 1-line block ×3, first 2 shown]
	v_lshlrev_b32_e32 v27, 3, v27
	v_and_b32_e32 v40, 0xff8, v29
	v_lshlrev_b32_e32 v41, 3, v31
	v_and_b32_e32 v42, 0xff8, v33
	global_load_sbyte v43, v36, s[2:3]
	global_load_dwordx2 v[28:29], v27, s[0:1]
	global_load_dwordx2 v[30:31], v40, s[0:1]
	;; [unrolled: 1-line block ×4, first 2 shown]
	v_cmp_gt_i16_e64 s[0:1], 0, v17
	v_cmp_lt_i16_sdwa vcc, v17, v9 src0_sel:WORD_1 src1_sel:DWORD
	v_cmp_gt_i16_e64 s[4:5], 0, v16
	v_cmp_lt_i16_sdwa s[2:3], v16, v9 src0_sel:WORD_1 src1_sel:DWORD
	s_waitcnt vmcnt(7)
	v_and_b32_e32 v27, 2, v37
	s_waitcnt vmcnt(6)
	v_and_b32_e32 v46, 4, v38
	v_and_b32_e32 v47, 8, v38
	v_and_b32_e32 v49, 32, v38
	s_waitcnt vmcnt(5)
	v_and_b32_e32 v50, 1, v39
	v_and_b32_e32 v51, 2, v39
	s_waitcnt vmcnt(3)
	v_mul_i32_i24_sdwa v57, v28, sext(v4) dst_sel:DWORD dst_unused:UNUSED_PAD src0_sel:BYTE_0 src1_sel:BYTE_0
	v_mul_i32_i24_sdwa v58, v28, sext(v4) dst_sel:DWORD dst_unused:UNUSED_PAD src0_sel:BYTE_1 src1_sel:BYTE_1
	v_mul_i32_i24_sdwa v59, v28, sext(v4) dst_sel:DWORD dst_unused:UNUSED_PAD src0_sel:BYTE_2 src1_sel:BYTE_2
	v_mul_i32_i24_sdwa v4, v28, sext(v4) dst_sel:DWORD dst_unused:UNUSED_PAD src0_sel:BYTE_3 src1_sel:BYTE_3
	v_mul_i32_i24_sdwa v28, v29, sext(v5) dst_sel:DWORD dst_unused:UNUSED_PAD src0_sel:BYTE_0 src1_sel:BYTE_0
	v_mul_i32_i24_sdwa v60, v29, sext(v5) dst_sel:DWORD dst_unused:UNUSED_PAD src0_sel:BYTE_1 src1_sel:BYTE_1
	v_mul_i32_i24_sdwa v61, v29, sext(v5) dst_sel:DWORD dst_unused:UNUSED_PAD src0_sel:BYTE_2 src1_sel:BYTE_2
	v_mul_i32_i24_sdwa v5, v29, sext(v5) dst_sel:DWORD dst_unused:UNUSED_PAD src0_sel:BYTE_3 src1_sel:BYTE_3
	s_waitcnt vmcnt(2)
	v_mul_i32_i24_sdwa v29, v30, sext(v6) dst_sel:DWORD dst_unused:UNUSED_PAD src0_sel:BYTE_0 src1_sel:BYTE_0
	v_mul_i32_i24_sdwa v62, v30, sext(v6) dst_sel:DWORD dst_unused:UNUSED_PAD src0_sel:BYTE_1 src1_sel:BYTE_1
	v_mul_i32_i24_sdwa v63, v30, sext(v6) dst_sel:DWORD dst_unused:UNUSED_PAD src0_sel:BYTE_2 src1_sel:BYTE_2
	v_mul_i32_i24_sdwa v6, v30, sext(v6) dst_sel:DWORD dst_unused:UNUSED_PAD src0_sel:BYTE_3 src1_sel:BYTE_3
	v_mul_i32_i24_sdwa v30, v31, sext(v7) dst_sel:DWORD dst_unused:UNUSED_PAD src0_sel:BYTE_0 src1_sel:BYTE_0
	v_mul_i32_i24_sdwa v64, v31, sext(v7) dst_sel:DWORD dst_unused:UNUSED_PAD src0_sel:BYTE_1 src1_sel:BYTE_1
	v_mul_i32_i24_sdwa v65, v31, sext(v7) dst_sel:DWORD dst_unused:UNUSED_PAD src0_sel:BYTE_2 src1_sel:BYTE_2
	v_mul_i32_i24_sdwa v7, v31, sext(v7) dst_sel:DWORD dst_unused:UNUSED_PAD src0_sel:BYTE_3 src1_sel:BYTE_3
	s_waitcnt vmcnt(1)
	v_mul_i32_i24_sdwa v31, v32, sext(v0) dst_sel:DWORD dst_unused:UNUSED_PAD src0_sel:BYTE_0 src1_sel:BYTE_0
	v_mul_i32_i24_sdwa v66, v32, sext(v0) dst_sel:DWORD dst_unused:UNUSED_PAD src0_sel:BYTE_1 src1_sel:BYTE_1
	v_and_b32_e32 v17, 4, v43
	v_and_b32_e32 v36, 4, v37
	;; [unrolled: 1-line block ×8, first 2 shown]
	v_mul_i32_i24_sdwa v67, v32, sext(v0) dst_sel:DWORD dst_unused:UNUSED_PAD src0_sel:BYTE_2 src1_sel:BYTE_2
	v_mul_i32_i24_sdwa v0, v32, sext(v0) dst_sel:DWORD dst_unused:UNUSED_PAD src0_sel:BYTE_3 src1_sel:BYTE_3
	v_cmp_eq_u16_e64 s[24:25], 0, v46
	v_sub_u32_e32 v46, 0, v6
	v_cmp_eq_u16_e64 s[26:27], 0, v47
	v_cmp_eq_u16_e64 s[30:31], 0, v49
	v_sub_u32_e32 v49, 0, v31
	v_cmp_eq_u16_e64 s[34:35], 0, v50
	v_sub_u32_e32 v50, 0, v66
	v_cmp_eq_u16_e64 s[36:37], 0, v51
	v_cmp_eq_u16_e64 s[50:51], 0, v17
	v_and_b32_e32 v17, 8, v43
	v_cmp_gt_i16_e64 s[60:61], 0, v37
	v_and_b32_e32 v37, 1, v37
	v_and_b32_e32 v44, 1, v38
	;; [unrolled: 1-line block ×5, first 2 shown]
	v_mul_i32_i24_sdwa v32, v33, sext(v1) dst_sel:DWORD dst_unused:UNUSED_PAD src0_sel:BYTE_0 src1_sel:BYTE_0
	v_mul_i32_i24_sdwa v68, v33, sext(v1) dst_sel:DWORD dst_unused:UNUSED_PAD src0_sel:BYTE_1 src1_sel:BYTE_1
	v_mul_i32_i24_sdwa v69, v33, sext(v1) dst_sel:DWORD dst_unused:UNUSED_PAD src0_sel:BYTE_2 src1_sel:BYTE_2
	v_mul_i32_i24_sdwa v1, v33, sext(v1) dst_sel:DWORD dst_unused:UNUSED_PAD src0_sel:BYTE_3 src1_sel:BYTE_3
	s_waitcnt vmcnt(0)
	v_mul_i32_i24_sdwa v33, v34, sext(v2) dst_sel:DWORD dst_unused:UNUSED_PAD src0_sel:BYTE_0 src1_sel:BYTE_0
	v_mul_i32_i24_sdwa v70, v34, sext(v2) dst_sel:DWORD dst_unused:UNUSED_PAD src0_sel:BYTE_1 src1_sel:BYTE_1
	v_mul_i32_i24_sdwa v71, v34, sext(v2) dst_sel:DWORD dst_unused:UNUSED_PAD src0_sel:BYTE_2 src1_sel:BYTE_2
	v_mul_i32_i24_sdwa v2, v34, sext(v2) dst_sel:DWORD dst_unused:UNUSED_PAD src0_sel:BYTE_3 src1_sel:BYTE_3
	v_mul_i32_i24_sdwa v34, v35, sext(v3) dst_sel:DWORD dst_unused:UNUSED_PAD src0_sel:BYTE_0 src1_sel:BYTE_0
	v_mul_i32_i24_sdwa v72, v35, sext(v3) dst_sel:DWORD dst_unused:UNUSED_PAD src0_sel:BYTE_1 src1_sel:BYTE_1
	v_mul_i32_i24_sdwa v73, v35, sext(v3) dst_sel:DWORD dst_unused:UNUSED_PAD src0_sel:BYTE_2 src1_sel:BYTE_2
	v_mul_i32_i24_sdwa v3, v35, sext(v3) dst_sel:DWORD dst_unused:UNUSED_PAD src0_sel:BYTE_3 src1_sel:BYTE_3
	v_cmp_gt_i16_e64 s[8:9], 0, v39
	v_sub_u32_e32 v39, 0, v58
	v_cmp_eq_u16_e64 s[10:11], 0, v27
	v_sub_u32_e32 v47, 0, v30
	v_cmp_eq_u16_e64 s[28:29], 0, v48
	;; [unrolled: 2-line block ×4, first 2 shown]
	v_cmp_eq_u16_e64 s[52:53], 0, v17
	v_and_b32_e32 v17, 16, v43
	v_sub_u32_e32 v81, 0, v57
	v_cmp_eq_u16_e64 s[62:63], 0, v37
	v_cndmask_b32_e64 v6, v46, v6, s[26:27]
	v_cndmask_b32_e64 v31, v49, v31, s[34:35]
	;; [unrolled: 1-line block ×3, first 2 shown]
	v_sub_u32_e32 v27, 0, v59
	v_cmp_eq_u16_e64 s[12:13], 0, v36
	v_sub_u32_e32 v36, 0, v4
	v_cmp_eq_u16_e64 s[14:15], 0, v40
	v_cmp_eq_u16_e64 s[18:19], 0, v42
	v_sub_u32_e32 v42, 0, v29
	v_cmp_eq_u16_e64 s[20:21], 0, v44
	v_sub_u32_e32 v44, 0, v62
	;; [unrolled: 2-line block ×3, first 2 shown]
	v_sub_u32_e32 v53, 0, v32
	v_cmp_eq_u16_e64 s[42:43], 0, v54
	v_sub_u32_e32 v54, 0, v68
	v_cmp_eq_u16_e64 s[44:45], 0, v55
	v_cmp_eq_u16_e64 s[54:55], 0, v17
	v_sub_u32_e32 v17, 0, v3
	v_cmp_gt_i16_e64 s[56:57], 0, v43
	v_cndmask_b32_e64 v37, v81, v57, s[62:63]
	v_cndmask_b32_e64 v39, v39, v58, s[10:11]
	;; [unrolled: 1-line block ×5, first 2 shown]
	v_add_u32_e32 v31, v46, v31
	v_and_b32_e32 v56, 1, v43
	v_and_b32_e32 v35, 2, v43
	v_sub_u32_e32 v16, 0, v69
	v_cmp_gt_i16_e64 s[6:7], 0, v38
	v_sub_u32_e32 v38, 0, v1
	v_sub_u32_e32 v40, 0, v28
	v_cmp_eq_u16_e64 s[16:17], 0, v41
	v_sub_u32_e32 v41, 0, v60
	v_and_b32_e32 v43, 32, v43
	v_cndmask_b32_e64 v27, v27, v59, s[12:13]
	v_cndmask_b32_e64 v4, v36, v4, s[14:15]
	;; [unrolled: 1-line block ×8, first 2 shown]
	v_add_u32_e32 v17, v39, v37
	v_add3_u32 v0, v31, v47, v0
	v_sub_u32_e32 v74, 0, v61
	v_sub_u32_e32 v55, 0, v33
	v_cmp_eq_u16_e64 s[46:47], 0, v56
	v_sub_u32_e32 v56, 0, v70
	v_cmp_eq_u16_e64 s[48:49], 0, v35
	v_cmp_eq_u16_e64 s[58:59], 0, v43
	v_sub_u32_e32 v43, 0, v5
	v_cndmask_b32_e64 v28, v40, v28, s[16:17]
	v_cndmask_b32_e64 v40, v41, v60, s[18:19]
	;; [unrolled: 1-line block ×4, first 2 shown]
	v_add3_u32 v4, v17, v27, v4
	v_add3_u32 v0, v0, v32, v48
	v_sub_u32_e32 v35, 0, v71
	v_sub_u32_e32 v78, 0, v2
	v_cndmask_b32_e64 v41, v61, v74, s[4:5]
	v_cndmask_b32_e64 v5, v5, v43, s[60:61]
	;; [unrolled: 1-line block ×4, first 2 shown]
	v_add3_u32 v4, v4, v28, v40
	v_add3_u32 v0, v0, v16, v1
	v_sub_u32_e32 v45, 0, v63
	v_sub_u32_e32 v79, 0, v34
	;; [unrolled: 1-line block ×3, first 2 shown]
	v_cndmask_b32_e64 v35, v35, v71, s[50:51]
	v_cndmask_b32_e64 v2, v78, v2, s[52:53]
	v_add3_u32 v4, v4, v41, v5
	v_add3_u32 v0, v0, v33, v38
	v_sub_u32_e32 v76, 0, v73
	v_cndmask_b32_e64 v43, v45, v63, s[24:25]
	v_cndmask_b32_e64 v34, v79, v34, s[54:55]
	;; [unrolled: 1-line block ×3, first 2 shown]
	v_add3_u32 v1, v4, v29, v42
	v_add3_u32 v0, v0, v35, v2
	v_sub_u32_e32 v75, 0, v65
	v_sub_u32_e32 v77, 0, v7
	v_cndmask_b32_e32 v50, v73, v76, vcc
	v_add3_u32 v1, v1, v43, v6
	v_add3_u32 v0, v0, v34, v49
	v_cndmask_b32_e64 v45, v65, v75, s[2:3]
	v_cndmask_b32_e64 v7, v7, v77, s[6:7]
	v_add3_u32 v1, v1, v30, v44
	v_add3_u32 v0, v0, v50, v3
	;; [unrolled: 1-line block ×3, first 2 shown]
	v_cvt_f32_i32_e32 v0, v0
	v_lshrrev_b16_e32 v36, 4, v25
	v_cvt_f32_i32_e32 v1, v1
	v_and_b32_e32 v25, 15, v25
	v_cvt_f32_ubyte0_e32 v36, v36
	v_cvt_f32_ubyte0_e32 v25, v25
	v_add_f32_e32 v36, 0.5, v36
	v_add_f32_e32 v25, 0.5, v25
	v_mul_f32_e32 v2, v26, v24
	v_mul_f32_e32 v0, v36, v0
	v_cmp_le_u32_e64 s[10:11], s33, v20
	v_mul_f32_e32 v2, 0x3e800000, v2
	v_fmac_f32_e32 v0, v25, v1
	s_or_b64 s[64:65], s[10:11], s[64:65]
	v_fmac_f32_e32 v21, v2, v0
	s_andn2_b64 exec, exec, s[64:65]
	s_cbranch_execnz .LBB267_3
; %bb.4:
	s_or_b64 exec, exec, s[64:65]
.LBB267_5:
	s_or_b64 exec, exec, s[72:73]
	v_mbcnt_lo_u32_b32 v0, -1, 0
	v_mbcnt_hi_u32_b32 v1, -1, v0
	v_and_b32_e32 v0, 64, v1
	v_add_u32_e32 v2, 64, v0
	v_xor_b32_e32 v0, 32, v1
	v_cmp_lt_i32_e32 vcc, v0, v2
	v_xor_b32_e32 v3, 16, v1
	v_xor_b32_e32 v4, 8, v1
	v_cndmask_b32_e32 v0, v1, v0, vcc
	v_lshlrev_b32_e32 v0, 2, v0
	ds_bpermute_b32 v0, v0, v21
	v_cmp_lt_i32_e32 vcc, v3, v2
	s_waitcnt lgkmcnt(0)
	v_add_f32_e32 v0, v21, v0
	v_cndmask_b32_e32 v3, v1, v3, vcc
	v_lshlrev_b32_e32 v3, 2, v3
	ds_bpermute_b32 v3, v3, v0
	v_cmp_lt_i32_e32 vcc, v4, v2
	s_waitcnt lgkmcnt(0)
	v_add_f32_e32 v0, v0, v3
	v_cndmask_b32_e32 v3, v1, v4, vcc
	v_lshlrev_b32_e32 v3, 2, v3
	ds_bpermute_b32 v3, v3, v0
	v_xor_b32_e32 v4, 4, v1
	v_cmp_lt_i32_e32 vcc, v4, v2
	s_waitcnt lgkmcnt(0)
	v_add_f32_e32 v0, v0, v3
	v_cndmask_b32_e32 v3, v1, v4, vcc
	v_lshlrev_b32_e32 v3, 2, v3
	ds_bpermute_b32 v3, v3, v0
	v_xor_b32_e32 v4, 2, v1
	;; [unrolled: 7-line block ×3, first 2 shown]
	v_cmp_lt_i32_e32 vcc, v4, v2
	s_waitcnt lgkmcnt(0)
	v_add_f32_e32 v0, v0, v3
	v_cndmask_b32_e32 v1, v1, v4, vcc
	v_lshlrev_b32_e32 v1, 2, v1
	ds_bpermute_b32 v1, v1, v0
	v_cmp_eq_u32_e32 vcc, 0, v19
	s_and_b64 exec, exec, vcc
	s_cbranch_execz .LBB267_7
; %bb.6:
	s_waitcnt lgkmcnt(0)
	v_add_f32_e32 v0, v0, v1
	v_cvt_f16_f32_e32 v2, v0
	s_mul_i32 s0, s66, s68
	v_add_u32_e32 v0, s0, v18
	v_mov_b32_e32 v1, 0
	v_lshl_add_u64 v[0:1], v[0:1], 1, s[70:71]
	global_store_short v[0:1], v2, off
.LBB267_7:
	s_endpgm
	.section	.rodata,"a",@progbits
	.p2align	6, 0x0
	.amdhsa_kernel _ZL9moe_vec_qIN3c104HalfELi256ELi8E12block_iq2_xsLi1EXadL_ZL19vec_dot_iq2_xs_q8_1PKvPK10block_q8_1RKiEEEvS4_S4_PT_PS8_iiii
		.amdhsa_group_segment_fixed_size 0
		.amdhsa_private_segment_fixed_size 0
		.amdhsa_kernarg_size 304
		.amdhsa_user_sgpr_count 2
		.amdhsa_user_sgpr_dispatch_ptr 0
		.amdhsa_user_sgpr_queue_ptr 0
		.amdhsa_user_sgpr_kernarg_segment_ptr 1
		.amdhsa_user_sgpr_dispatch_id 0
		.amdhsa_user_sgpr_kernarg_preload_length 0
		.amdhsa_user_sgpr_kernarg_preload_offset 0
		.amdhsa_user_sgpr_private_segment_size 0
		.amdhsa_uses_dynamic_stack 0
		.amdhsa_enable_private_segment 0
		.amdhsa_system_sgpr_workgroup_id_x 1
		.amdhsa_system_sgpr_workgroup_id_y 0
		.amdhsa_system_sgpr_workgroup_id_z 1
		.amdhsa_system_sgpr_workgroup_info 0
		.amdhsa_system_vgpr_workitem_id 1
		.amdhsa_next_free_vgpr 82
		.amdhsa_next_free_sgpr 75
		.amdhsa_accum_offset 84
		.amdhsa_reserve_vcc 1
		.amdhsa_float_round_mode_32 0
		.amdhsa_float_round_mode_16_64 0
		.amdhsa_float_denorm_mode_32 3
		.amdhsa_float_denorm_mode_16_64 3
		.amdhsa_dx10_clamp 1
		.amdhsa_ieee_mode 1
		.amdhsa_fp16_overflow 0
		.amdhsa_tg_split 0
		.amdhsa_exception_fp_ieee_invalid_op 0
		.amdhsa_exception_fp_denorm_src 0
		.amdhsa_exception_fp_ieee_div_zero 0
		.amdhsa_exception_fp_ieee_overflow 0
		.amdhsa_exception_fp_ieee_underflow 0
		.amdhsa_exception_fp_ieee_inexact 0
		.amdhsa_exception_int_div_zero 0
	.end_amdhsa_kernel
	.section	.text._ZL9moe_vec_qIN3c104HalfELi256ELi8E12block_iq2_xsLi1EXadL_ZL19vec_dot_iq2_xs_q8_1PKvPK10block_q8_1RKiEEEvS4_S4_PT_PS8_iiii,"axG",@progbits,_ZL9moe_vec_qIN3c104HalfELi256ELi8E12block_iq2_xsLi1EXadL_ZL19vec_dot_iq2_xs_q8_1PKvPK10block_q8_1RKiEEEvS4_S4_PT_PS8_iiii,comdat
.Lfunc_end267:
	.size	_ZL9moe_vec_qIN3c104HalfELi256ELi8E12block_iq2_xsLi1EXadL_ZL19vec_dot_iq2_xs_q8_1PKvPK10block_q8_1RKiEEEvS4_S4_PT_PS8_iiii, .Lfunc_end267-_ZL9moe_vec_qIN3c104HalfELi256ELi8E12block_iq2_xsLi1EXadL_ZL19vec_dot_iq2_xs_q8_1PKvPK10block_q8_1RKiEEEvS4_S4_PT_PS8_iiii
                                        ; -- End function
	.set _ZL9moe_vec_qIN3c104HalfELi256ELi8E12block_iq2_xsLi1EXadL_ZL19vec_dot_iq2_xs_q8_1PKvPK10block_q8_1RKiEEEvS4_S4_PT_PS8_iiii.num_vgpr, 82
	.set _ZL9moe_vec_qIN3c104HalfELi256ELi8E12block_iq2_xsLi1EXadL_ZL19vec_dot_iq2_xs_q8_1PKvPK10block_q8_1RKiEEEvS4_S4_PT_PS8_iiii.num_agpr, 0
	.set _ZL9moe_vec_qIN3c104HalfELi256ELi8E12block_iq2_xsLi1EXadL_ZL19vec_dot_iq2_xs_q8_1PKvPK10block_q8_1RKiEEEvS4_S4_PT_PS8_iiii.numbered_sgpr, 75
	.set _ZL9moe_vec_qIN3c104HalfELi256ELi8E12block_iq2_xsLi1EXadL_ZL19vec_dot_iq2_xs_q8_1PKvPK10block_q8_1RKiEEEvS4_S4_PT_PS8_iiii.num_named_barrier, 0
	.set _ZL9moe_vec_qIN3c104HalfELi256ELi8E12block_iq2_xsLi1EXadL_ZL19vec_dot_iq2_xs_q8_1PKvPK10block_q8_1RKiEEEvS4_S4_PT_PS8_iiii.private_seg_size, 0
	.set _ZL9moe_vec_qIN3c104HalfELi256ELi8E12block_iq2_xsLi1EXadL_ZL19vec_dot_iq2_xs_q8_1PKvPK10block_q8_1RKiEEEvS4_S4_PT_PS8_iiii.uses_vcc, 1
	.set _ZL9moe_vec_qIN3c104HalfELi256ELi8E12block_iq2_xsLi1EXadL_ZL19vec_dot_iq2_xs_q8_1PKvPK10block_q8_1RKiEEEvS4_S4_PT_PS8_iiii.uses_flat_scratch, 0
	.set _ZL9moe_vec_qIN3c104HalfELi256ELi8E12block_iq2_xsLi1EXadL_ZL19vec_dot_iq2_xs_q8_1PKvPK10block_q8_1RKiEEEvS4_S4_PT_PS8_iiii.has_dyn_sized_stack, 0
	.set _ZL9moe_vec_qIN3c104HalfELi256ELi8E12block_iq2_xsLi1EXadL_ZL19vec_dot_iq2_xs_q8_1PKvPK10block_q8_1RKiEEEvS4_S4_PT_PS8_iiii.has_recursion, 0
	.set _ZL9moe_vec_qIN3c104HalfELi256ELi8E12block_iq2_xsLi1EXadL_ZL19vec_dot_iq2_xs_q8_1PKvPK10block_q8_1RKiEEEvS4_S4_PT_PS8_iiii.has_indirect_call, 0
	.section	.AMDGPU.csdata,"",@progbits
; Kernel info:
; codeLenInByte = 2120
; TotalNumSgprs: 81
; NumVgprs: 82
; NumAgprs: 0
; TotalNumVgprs: 82
; ScratchSize: 0
; MemoryBound: 0
; FloatMode: 240
; IeeeMode: 1
; LDSByteSize: 0 bytes/workgroup (compile time only)
; SGPRBlocks: 10
; VGPRBlocks: 10
; NumSGPRsForWavesPerEU: 81
; NumVGPRsForWavesPerEU: 82
; AccumOffset: 84
; Occupancy: 5
; WaveLimiterHint : 1
; COMPUTE_PGM_RSRC2:SCRATCH_EN: 0
; COMPUTE_PGM_RSRC2:USER_SGPR: 2
; COMPUTE_PGM_RSRC2:TRAP_HANDLER: 0
; COMPUTE_PGM_RSRC2:TGID_X_EN: 1
; COMPUTE_PGM_RSRC2:TGID_Y_EN: 0
; COMPUTE_PGM_RSRC2:TGID_Z_EN: 1
; COMPUTE_PGM_RSRC2:TIDIG_COMP_CNT: 1
; COMPUTE_PGM_RSRC3_GFX90A:ACCUM_OFFSET: 20
; COMPUTE_PGM_RSRC3_GFX90A:TG_SPLIT: 0
	.section	.text._ZL9moe_vec_qIN3c104HalfELi256ELi8E13block_iq3_xxsLi1EXadL_ZL20vec_dot_iq3_xxs_q8_1PKvPK10block_q8_1RKiEEEvS4_S4_PT_PS8_iiii,"axG",@progbits,_ZL9moe_vec_qIN3c104HalfELi256ELi8E13block_iq3_xxsLi1EXadL_ZL20vec_dot_iq3_xxs_q8_1PKvPK10block_q8_1RKiEEEvS4_S4_PT_PS8_iiii,comdat
	.globl	_ZL9moe_vec_qIN3c104HalfELi256ELi8E13block_iq3_xxsLi1EXadL_ZL20vec_dot_iq3_xxs_q8_1PKvPK10block_q8_1RKiEEEvS4_S4_PT_PS8_iiii ; -- Begin function _ZL9moe_vec_qIN3c104HalfELi256ELi8E13block_iq3_xxsLi1EXadL_ZL20vec_dot_iq3_xxs_q8_1PKvPK10block_q8_1RKiEEEvS4_S4_PT_PS8_iiii
	.p2align	8
	.type	_ZL9moe_vec_qIN3c104HalfELi256ELi8E13block_iq3_xxsLi1EXadL_ZL20vec_dot_iq3_xxs_q8_1PKvPK10block_q8_1RKiEEEvS4_S4_PT_PS8_iiii,@function
_ZL9moe_vec_qIN3c104HalfELi256ELi8E13block_iq3_xxsLi1EXadL_ZL20vec_dot_iq3_xxs_q8_1PKvPK10block_q8_1RKiEEEvS4_S4_PT_PS8_iiii: ; @_ZL9moe_vec_qIN3c104HalfELi256ELi8E13block_iq3_xxsLi1EXadL_ZL20vec_dot_iq3_xxs_q8_1PKvPK10block_q8_1RKiEEEvS4_S4_PT_PS8_iiii
; %bb.0:
	s_mov_b32 s8, s3
	s_load_dword s3, s[0:1], 0x3c
	s_load_dwordx4 s[4:7], s[0:1], 0x20
	v_bfe_u32 v1, v0, 10, 10
	s_waitcnt lgkmcnt(0)
	s_lshr_b32 s3, s3, 16
	s_mul_i32 s2, s2, s3
	v_add_u32_e32 v18, s2, v1
	v_cmp_gt_u32_e32 vcc, s6, v18
	s_and_saveexec_b64 s[2:3], vcc
	s_cbranch_execz .LBB268_7
; %bb.1:
	s_load_dwordx2 s[2:3], s[0:1], 0x10
	s_ashr_i32 s9, s5, 31
	s_lshr_b32 s9, s9, 24
	s_add_i32 s5, s5, s9
	s_ashr_i32 s14, s5, 8
	v_bfe_u32 v20, v0, 3, 7
	v_and_b32_e32 v19, 0x3ff, v0
	v_cmp_gt_u32_e32 vcc, s14, v20
	v_mov_b32_e32 v21, 0
	s_and_saveexec_b64 s[10:11], vcc
	s_cbranch_execz .LBB268_5
; %bb.2:
	s_load_dwordx2 s[12:13], s[0:1], 0x18
	v_cvt_f32_u32_e32 v0, s4
	s_mov_b32 s9, 0
	s_lshl_b64 s[16:17], s[8:9], 2
	v_and_b32_e32 v1, 7, v19
	s_waitcnt lgkmcnt(0)
	s_add_u32 s12, s12, s16
	v_rcp_iflag_f32_e32 v0, v0
	s_addc_u32 s13, s13, s17
	s_load_dword s5, s[12:13], 0x0
	s_load_dwordx4 s[16:19], s[0:1], 0x0
	s_mul_i32 s0, s14, s6
	v_mul_f32_e32 v0, 0x4f7ffffe, v0
	v_cvt_u32_f32_e32 v0, v0
	s_waitcnt lgkmcnt(0)
	s_mul_i32 s0, s0, s5
	s_mul_hi_i32 s1, s0, 0x62
	s_mulk_i32 s0, 0x62
	s_add_u32 s12, s16, s0
	s_addc_u32 s13, s17, s1
	s_sub_i32 s0, 0, s4
	v_readfirstlane_b32 s1, v0
	s_mul_i32 s0, s0, s1
	s_mul_hi_u32 s0, s1, s0
	s_add_i32 s1, s1, s0
	s_mul_hi_u32 s0, s8, s1
	s_mul_i32 s1, s0, s4
	s_sub_i32 s1, s8, s1
	s_add_i32 s5, s0, 1
	s_sub_i32 s16, s1, s4
	s_cmp_ge_u32 s1, s4
	s_cselect_b32 s0, s5, s0
	s_cselect_b32 s1, s16, s1
	s_add_i32 s5, s0, 1
	s_cmp_ge_u32 s1, s4
	s_cselect_b32 s0, s5, s0
	s_mul_i32 s0, s0, s7
	s_mov_b32 s1, s9
	s_lshl_b64 s[0:1], s[0:1], 2
	s_add_u32 s0, s18, s0
	s_addc_u32 s1, s19, s1
	v_mov_b32_e32 v9, 0
	v_lshlrev_b32_e32 v0, 1, v1
	v_mad_u64_u32 v[10:11], s[0:1], v1, 36, s[0:1]
	s_movk_i32 s15, 0x62
	v_mul_lo_u32 v22, v18, s14
	v_lshlrev_b32_e32 v8, 3, v1
	v_lshlrev_b32_e32 v23, 3, v20
	s_mov_b64 s[0:1], 0
	v_mov_b64_e32 v[12:13], s[12:13]
	v_lshlrev_b32_e32 v14, 1, v0
	v_mov_b32_e32 v15, v9
	s_mov_b32 s7, 0xc060c00
	v_mov_b32_e32 v24, 2
	v_mov_b32_e32 v21, v9
	s_getpc_b64 s[12:13]
	s_add_u32 s12, s12, _ZL11iq3xxs_grid@rel32@lo+4
	s_addc_u32 s13, s13, _ZL11iq3xxs_grid@rel32@hi+12
.LBB268_3:                              ; =>This Inner Loop Header: Depth=1
	v_add_u32_e32 v0, v22, v20
	v_mad_i64_i32 v[16:17], s[4:5], v23, 36, v[10:11]
	v_mad_i64_i32 v[26:27], s[16:17], v0, s15, v[12:13]
	global_load_dword v32, v[16:17], off offset:32
	global_load_dwordx4 v[4:7], v[16:17], off
	global_load_dwordx4 v[0:3], v[16:17], off offset:16
	v_lshl_add_u64 v[16:17], v[26:27], 0, v[8:9]
	v_lshl_add_u64 v[28:29], v[26:27], 0, v[14:15]
	global_load_dwordx2 v[30:31], v[16:17], off offset:2
	global_load_dword v33, v[28:29], off offset:66
	global_load_ushort v34, v[26:27], off
	s_getpc_b64 s[4:5]
	s_add_u32 s4, s4, _ZL8ksigns64@rel32@lo+4
	s_addc_u32 s5, s5, _ZL8ksigns64@rel32@hi+12
	v_mov_b32_e32 v25, 0
	v_add_u32_e32 v20, 8, v20
	v_cmp_le_u32_e32 vcc, s14, v20
	v_add_u32_e32 v23, 64, v23
	s_or_b64 s[0:1], vcc, s[0:1]
	s_waitcnt vmcnt(4)
	v_cvt_f32_f16_e32 v4, v4
	s_waitcnt vmcnt(2)
	v_lshlrev_b32_sdwa v16, v24, v30 dst_sel:DWORD dst_unused:UNUSED_PAD src0_sel:DWORD src1_sel:BYTE_0
	v_lshlrev_b32_sdwa v17, v24, v30 dst_sel:DWORD dst_unused:UNUSED_PAD src0_sel:DWORD src1_sel:BYTE_1
	s_waitcnt vmcnt(1)
	v_and_b32_e32 v26, 0x7f, v33
	global_load_dword v40, v16, s[12:13]
	global_load_dword v41, v17, s[12:13]
	v_lshlrev_b32_sdwa v27, v24, v30 dst_sel:DWORD dst_unused:UNUSED_PAD src0_sel:DWORD src1_sel:BYTE_2
	v_lshlrev_b32_sdwa v28, v24, v30 dst_sel:DWORD dst_unused:UNUSED_PAD src0_sel:DWORD src1_sel:BYTE_3
	v_lshrrev_b32_e32 v29, 4, v33
	v_lshlrev_b32_sdwa v30, v24, v31 dst_sel:DWORD dst_unused:UNUSED_PAD src0_sel:DWORD src1_sel:BYTE_0
	v_lshlrev_b32_sdwa v35, v24, v31 dst_sel:DWORD dst_unused:UNUSED_PAD src0_sel:DWORD src1_sel:BYTE_1
	v_lshrrev_b32_e32 v36, 11, v33
	v_lshlrev_b32_sdwa v37, v24, v31 dst_sel:DWORD dst_unused:UNUSED_PAD src0_sel:DWORD src1_sel:BYTE_2
	v_lshlrev_b32_sdwa v31, v24, v31 dst_sel:DWORD dst_unused:UNUSED_PAD src0_sel:DWORD src1_sel:BYTE_3
	v_lshrrev_b32_e32 v38, 18, v33
	v_lshlrev_b32_e32 v39, 3, v26
	v_and_b32_e32 v42, 0x3f8, v29
	global_load_dword v43, v27, s[12:13]
	global_load_dword v44, v28, s[12:13]
	v_and_b32_e32 v36, 0x3f8, v36
	global_load_dword v45, v30, s[12:13]
	global_load_dword v46, v35, s[12:13]
	;; [unrolled: 3-line block ×3, first 2 shown]
	global_load_dwordx2 v[16:17], v39, s[4:5]
	global_load_dwordx2 v[26:27], v42, s[4:5]
	;; [unrolled: 1-line block ×3, first 2 shown]
	s_nop 0
	global_load_dwordx2 v[30:31], v35, s[4:5]
	s_waitcnt vmcnt(12)
	v_cvt_f32_f16_e32 v34, v34
	v_lshrrev_b32_e32 v33, 28, v33
	v_cvt_f32_ubyte0_e32 v33, v33
	v_add_f32_e32 v33, 0.5, v33
	s_waitcnt vmcnt(3)
	v_xor_b32_e32 v35, v16, v40
	v_and_b32_e32 v36, 0xff000000, v16
	v_and_b32_e32 v37, 0xff0000, v16
	;; [unrolled: 1-line block ×3, first 2 shown]
	v_xor_b32_e32 v40, v17, v41
	v_and_b32_e32 v41, 0xff000000, v17
	v_and_b32_e32 v42, 0xff0000, v17
	;; [unrolled: 1-line block ×3, first 2 shown]
	v_sub_u32_e32 v36, v35, v36
	v_sub_u32_e32 v37, v35, v37
	;; [unrolled: 1-line block ×4, first 2 shown]
	s_waitcnt vmcnt(2)
	v_xor_b32_e32 v43, v26, v43
	v_and_b32_e32 v49, 0xff000000, v26
	v_and_b32_e32 v50, 0xff0000, v26
	;; [unrolled: 1-line block ×3, first 2 shown]
	v_sub_u32_e32 v17, v40, v17
	v_sub_u32_e32 v41, v40, v41
	;; [unrolled: 1-line block ×4, first 2 shown]
	v_and_b32_e32 v36, 0xff000000, v36
	v_and_b32_e32 v39, 0xff00, v39
	v_perm_b32 v16, v37, v16, s7
	v_xor_b32_e32 v44, v27, v44
	v_and_b32_e32 v52, 0xff000000, v27
	v_and_b32_e32 v53, 0xff0000, v27
	v_and_b32_e32 v54, 0xff00, v27
	s_waitcnt vmcnt(1)
	v_xor_b32_e32 v45, v28, v45
	v_and_b32_e32 v55, 0xff000000, v28
	v_and_b32_e32 v56, 0xff0000, v28
	v_and_b32_e32 v57, 0xff00, v28
	v_xor_b32_e32 v46, v29, v46
	v_and_b32_e32 v58, 0xff000000, v29
	v_and_b32_e32 v59, 0xff0000, v29
	;; [unrolled: 1-line block ×3, first 2 shown]
	v_sub_u32_e32 v49, v43, v49
	v_sub_u32_e32 v50, v43, v50
	;; [unrolled: 1-line block ×4, first 2 shown]
	v_and_b32_e32 v37, 0xff000000, v41
	v_and_b32_e32 v40, 0xff00, v40
	v_perm_b32 v17, v42, v17, s7
	v_or3_b32 v16, v16, v36, v39
	s_waitcnt vmcnt(0)
	v_xor_b32_e32 v38, v30, v38
	v_and_b32_e32 v35, 0xff000000, v30
	v_and_b32_e32 v48, 0xff0000, v30
	v_sub_u32_e32 v27, v44, v27
	v_and_b32_e32 v43, 0xff00, v30
	v_xor_b32_e32 v47, v31, v47
	v_sub_u32_e32 v52, v44, v52
	v_sub_u32_e32 v53, v44, v53
	;; [unrolled: 1-line block ×3, first 2 shown]
	v_and_b32_e32 v54, 0xff000000, v31
	v_sub_u32_e32 v55, v45, v55
	v_sub_u32_e32 v56, v45, v56
	;; [unrolled: 1-line block ×5, first 2 shown]
	v_and_b32_e32 v45, 0xff0000, v31
	v_sub_u32_e32 v58, v46, v58
	v_sub_u32_e32 v59, v46, v59
	;; [unrolled: 1-line block ×3, first 2 shown]
	v_and_b32_e32 v60, 0xff00, v31
	v_and_b32_e32 v41, 0xff000000, v49
	;; [unrolled: 1-line block ×3, first 2 shown]
	v_perm_b32 v26, v50, v26, s7
	v_or3_b32 v17, v17, v37, v40
	v_dot4c_i32_i8_e32 v25, v16, v5
	v_sub_u32_e32 v35, v38, v35
	v_sub_u32_e32 v48, v38, v48
	;; [unrolled: 1-line block ×8, first 2 shown]
	v_and_b32_e32 v47, 0xff000000, v52
	v_and_b32_e32 v44, 0xff00, v44
	v_perm_b32 v27, v53, v27, s7
	v_or3_b32 v26, v26, v41, v42
	v_dot4c_i32_i8_e32 v25, v17, v6
	v_and_b32_e32 v49, 0xff000000, v55
	v_and_b32_e32 v50, 0xff00, v57
	v_perm_b32 v28, v56, v28, s7
	v_or3_b32 v27, v27, v47, v44
	v_dot4c_i32_i8_e32 v25, v26, v7
	;; [unrolled: 5-line block ×5, first 2 shown]
	v_or3_b32 v31, v31, v38, v48
	v_dot4c_i32_i8_e32 v25, v30, v3
	v_dot4c_i32_i8_e32 v25, v31, v32
	v_mul_f32_e32 v1, v33, v34
	v_mul_f32_e32 v1, v1, v4
	v_mul_f32_e32 v1, 0.5, v1
	v_cvt_f32_i32_e32 v0, v25
	v_fmac_f32_e32 v21, v1, v0
	s_andn2_b64 exec, exec, s[0:1]
	s_cbranch_execnz .LBB268_3
; %bb.4:
	s_or_b64 exec, exec, s[0:1]
.LBB268_5:
	s_or_b64 exec, exec, s[10:11]
	v_mbcnt_lo_u32_b32 v0, -1, 0
	v_mbcnt_hi_u32_b32 v1, -1, v0
	v_and_b32_e32 v0, 64, v1
	v_add_u32_e32 v2, 64, v0
	v_xor_b32_e32 v0, 32, v1
	v_cmp_lt_i32_e32 vcc, v0, v2
	v_xor_b32_e32 v3, 16, v1
	v_xor_b32_e32 v4, 8, v1
	v_cndmask_b32_e32 v0, v1, v0, vcc
	v_lshlrev_b32_e32 v0, 2, v0
	ds_bpermute_b32 v0, v0, v21
	v_cmp_lt_i32_e32 vcc, v3, v2
	s_waitcnt lgkmcnt(0)
	v_add_f32_e32 v0, v21, v0
	v_cndmask_b32_e32 v3, v1, v3, vcc
	v_lshlrev_b32_e32 v3, 2, v3
	ds_bpermute_b32 v3, v3, v0
	v_cmp_lt_i32_e32 vcc, v4, v2
	s_waitcnt lgkmcnt(0)
	v_add_f32_e32 v0, v0, v3
	v_cndmask_b32_e32 v3, v1, v4, vcc
	v_lshlrev_b32_e32 v3, 2, v3
	ds_bpermute_b32 v3, v3, v0
	v_xor_b32_e32 v4, 4, v1
	v_cmp_lt_i32_e32 vcc, v4, v2
	s_waitcnt lgkmcnt(0)
	v_add_f32_e32 v0, v0, v3
	v_cndmask_b32_e32 v3, v1, v4, vcc
	v_lshlrev_b32_e32 v3, 2, v3
	ds_bpermute_b32 v3, v3, v0
	v_xor_b32_e32 v4, 2, v1
	;; [unrolled: 7-line block ×3, first 2 shown]
	v_cmp_lt_i32_e32 vcc, v4, v2
	s_waitcnt lgkmcnt(0)
	v_add_f32_e32 v0, v0, v3
	v_cndmask_b32_e32 v1, v1, v4, vcc
	v_lshlrev_b32_e32 v1, 2, v1
	ds_bpermute_b32 v1, v1, v0
	v_cmp_eq_u32_e32 vcc, 0, v19
	s_and_b64 exec, exec, vcc
	s_cbranch_execz .LBB268_7
; %bb.6:
	s_waitcnt lgkmcnt(0)
	v_add_f32_e32 v0, v0, v1
	v_cvt_f16_f32_e32 v2, v0
	s_mul_i32 s0, s6, s8
	v_add_u32_e32 v0, s0, v18
	v_mov_b32_e32 v1, 0
	v_lshl_add_u64 v[0:1], v[0:1], 1, s[2:3]
	global_store_short v[0:1], v2, off
.LBB268_7:
	s_endpgm
	.section	.rodata,"a",@progbits
	.p2align	6, 0x0
	.amdhsa_kernel _ZL9moe_vec_qIN3c104HalfELi256ELi8E13block_iq3_xxsLi1EXadL_ZL20vec_dot_iq3_xxs_q8_1PKvPK10block_q8_1RKiEEEvS4_S4_PT_PS8_iiii
		.amdhsa_group_segment_fixed_size 0
		.amdhsa_private_segment_fixed_size 0
		.amdhsa_kernarg_size 304
		.amdhsa_user_sgpr_count 2
		.amdhsa_user_sgpr_dispatch_ptr 0
		.amdhsa_user_sgpr_queue_ptr 0
		.amdhsa_user_sgpr_kernarg_segment_ptr 1
		.amdhsa_user_sgpr_dispatch_id 0
		.amdhsa_user_sgpr_kernarg_preload_length 0
		.amdhsa_user_sgpr_kernarg_preload_offset 0
		.amdhsa_user_sgpr_private_segment_size 0
		.amdhsa_uses_dynamic_stack 0
		.amdhsa_enable_private_segment 0
		.amdhsa_system_sgpr_workgroup_id_x 1
		.amdhsa_system_sgpr_workgroup_id_y 0
		.amdhsa_system_sgpr_workgroup_id_z 1
		.amdhsa_system_sgpr_workgroup_info 0
		.amdhsa_system_vgpr_workitem_id 1
		.amdhsa_next_free_vgpr 61
		.amdhsa_next_free_sgpr 20
		.amdhsa_accum_offset 64
		.amdhsa_reserve_vcc 1
		.amdhsa_float_round_mode_32 0
		.amdhsa_float_round_mode_16_64 0
		.amdhsa_float_denorm_mode_32 3
		.amdhsa_float_denorm_mode_16_64 3
		.amdhsa_dx10_clamp 1
		.amdhsa_ieee_mode 1
		.amdhsa_fp16_overflow 0
		.amdhsa_tg_split 0
		.amdhsa_exception_fp_ieee_invalid_op 0
		.amdhsa_exception_fp_denorm_src 0
		.amdhsa_exception_fp_ieee_div_zero 0
		.amdhsa_exception_fp_ieee_overflow 0
		.amdhsa_exception_fp_ieee_underflow 0
		.amdhsa_exception_fp_ieee_inexact 0
		.amdhsa_exception_int_div_zero 0
	.end_amdhsa_kernel
	.section	.text._ZL9moe_vec_qIN3c104HalfELi256ELi8E13block_iq3_xxsLi1EXadL_ZL20vec_dot_iq3_xxs_q8_1PKvPK10block_q8_1RKiEEEvS4_S4_PT_PS8_iiii,"axG",@progbits,_ZL9moe_vec_qIN3c104HalfELi256ELi8E13block_iq3_xxsLi1EXadL_ZL20vec_dot_iq3_xxs_q8_1PKvPK10block_q8_1RKiEEEvS4_S4_PT_PS8_iiii,comdat
.Lfunc_end268:
	.size	_ZL9moe_vec_qIN3c104HalfELi256ELi8E13block_iq3_xxsLi1EXadL_ZL20vec_dot_iq3_xxs_q8_1PKvPK10block_q8_1RKiEEEvS4_S4_PT_PS8_iiii, .Lfunc_end268-_ZL9moe_vec_qIN3c104HalfELi256ELi8E13block_iq3_xxsLi1EXadL_ZL20vec_dot_iq3_xxs_q8_1PKvPK10block_q8_1RKiEEEvS4_S4_PT_PS8_iiii
                                        ; -- End function
	.set _ZL9moe_vec_qIN3c104HalfELi256ELi8E13block_iq3_xxsLi1EXadL_ZL20vec_dot_iq3_xxs_q8_1PKvPK10block_q8_1RKiEEEvS4_S4_PT_PS8_iiii.num_vgpr, 61
	.set _ZL9moe_vec_qIN3c104HalfELi256ELi8E13block_iq3_xxsLi1EXadL_ZL20vec_dot_iq3_xxs_q8_1PKvPK10block_q8_1RKiEEEvS4_S4_PT_PS8_iiii.num_agpr, 0
	.set _ZL9moe_vec_qIN3c104HalfELi256ELi8E13block_iq3_xxsLi1EXadL_ZL20vec_dot_iq3_xxs_q8_1PKvPK10block_q8_1RKiEEEvS4_S4_PT_PS8_iiii.numbered_sgpr, 20
	.set _ZL9moe_vec_qIN3c104HalfELi256ELi8E13block_iq3_xxsLi1EXadL_ZL20vec_dot_iq3_xxs_q8_1PKvPK10block_q8_1RKiEEEvS4_S4_PT_PS8_iiii.num_named_barrier, 0
	.set _ZL9moe_vec_qIN3c104HalfELi256ELi8E13block_iq3_xxsLi1EXadL_ZL20vec_dot_iq3_xxs_q8_1PKvPK10block_q8_1RKiEEEvS4_S4_PT_PS8_iiii.private_seg_size, 0
	.set _ZL9moe_vec_qIN3c104HalfELi256ELi8E13block_iq3_xxsLi1EXadL_ZL20vec_dot_iq3_xxs_q8_1PKvPK10block_q8_1RKiEEEvS4_S4_PT_PS8_iiii.uses_vcc, 1
	.set _ZL9moe_vec_qIN3c104HalfELi256ELi8E13block_iq3_xxsLi1EXadL_ZL20vec_dot_iq3_xxs_q8_1PKvPK10block_q8_1RKiEEEvS4_S4_PT_PS8_iiii.uses_flat_scratch, 0
	.set _ZL9moe_vec_qIN3c104HalfELi256ELi8E13block_iq3_xxsLi1EXadL_ZL20vec_dot_iq3_xxs_q8_1PKvPK10block_q8_1RKiEEEvS4_S4_PT_PS8_iiii.has_dyn_sized_stack, 0
	.set _ZL9moe_vec_qIN3c104HalfELi256ELi8E13block_iq3_xxsLi1EXadL_ZL20vec_dot_iq3_xxs_q8_1PKvPK10block_q8_1RKiEEEvS4_S4_PT_PS8_iiii.has_recursion, 0
	.set _ZL9moe_vec_qIN3c104HalfELi256ELi8E13block_iq3_xxsLi1EXadL_ZL20vec_dot_iq3_xxs_q8_1PKvPK10block_q8_1RKiEEEvS4_S4_PT_PS8_iiii.has_indirect_call, 0
	.section	.AMDGPU.csdata,"",@progbits
; Kernel info:
; codeLenInByte = 1712
; TotalNumSgprs: 26
; NumVgprs: 61
; NumAgprs: 0
; TotalNumVgprs: 61
; ScratchSize: 0
; MemoryBound: 0
; FloatMode: 240
; IeeeMode: 1
; LDSByteSize: 0 bytes/workgroup (compile time only)
; SGPRBlocks: 3
; VGPRBlocks: 7
; NumSGPRsForWavesPerEU: 26
; NumVGPRsForWavesPerEU: 61
; AccumOffset: 64
; Occupancy: 8
; WaveLimiterHint : 1
; COMPUTE_PGM_RSRC2:SCRATCH_EN: 0
; COMPUTE_PGM_RSRC2:USER_SGPR: 2
; COMPUTE_PGM_RSRC2:TRAP_HANDLER: 0
; COMPUTE_PGM_RSRC2:TGID_X_EN: 1
; COMPUTE_PGM_RSRC2:TGID_Y_EN: 0
; COMPUTE_PGM_RSRC2:TGID_Z_EN: 1
; COMPUTE_PGM_RSRC2:TIDIG_COMP_CNT: 1
; COMPUTE_PGM_RSRC3_GFX90A:ACCUM_OFFSET: 15
; COMPUTE_PGM_RSRC3_GFX90A:TG_SPLIT: 0
	.section	.text._ZL9moe_vec_qIN3c104HalfELi256ELi8E11block_iq1_sLi1EXadL_ZL18vec_dot_iq1_s_q8_1PKvPK10block_q8_1RKiEEEvS4_S4_PT_PS8_iiii,"axG",@progbits,_ZL9moe_vec_qIN3c104HalfELi256ELi8E11block_iq1_sLi1EXadL_ZL18vec_dot_iq1_s_q8_1PKvPK10block_q8_1RKiEEEvS4_S4_PT_PS8_iiii,comdat
	.globl	_ZL9moe_vec_qIN3c104HalfELi256ELi8E11block_iq1_sLi1EXadL_ZL18vec_dot_iq1_s_q8_1PKvPK10block_q8_1RKiEEEvS4_S4_PT_PS8_iiii ; -- Begin function _ZL9moe_vec_qIN3c104HalfELi256ELi8E11block_iq1_sLi1EXadL_ZL18vec_dot_iq1_s_q8_1PKvPK10block_q8_1RKiEEEvS4_S4_PT_PS8_iiii
	.p2align	8
	.type	_ZL9moe_vec_qIN3c104HalfELi256ELi8E11block_iq1_sLi1EXadL_ZL18vec_dot_iq1_s_q8_1PKvPK10block_q8_1RKiEEEvS4_S4_PT_PS8_iiii,@function
_ZL9moe_vec_qIN3c104HalfELi256ELi8E11block_iq1_sLi1EXadL_ZL18vec_dot_iq1_s_q8_1PKvPK10block_q8_1RKiEEEvS4_S4_PT_PS8_iiii: ; @_ZL9moe_vec_qIN3c104HalfELi256ELi8E11block_iq1_sLi1EXadL_ZL18vec_dot_iq1_s_q8_1PKvPK10block_q8_1RKiEEEvS4_S4_PT_PS8_iiii
; %bb.0:
	s_mov_b32 s8, s3
	s_load_dword s3, s[0:1], 0x3c
	s_load_dwordx4 s[4:7], s[0:1], 0x20
	v_bfe_u32 v1, v0, 10, 10
	s_waitcnt lgkmcnt(0)
	s_lshr_b32 s3, s3, 16
	s_mul_i32 s2, s2, s3
	v_add_u32_e32 v6, s2, v1
	v_cmp_gt_u32_e32 vcc, s6, v6
	s_and_saveexec_b64 s[2:3], vcc
	s_cbranch_execz .LBB269_7
; %bb.1:
	s_load_dwordx2 s[2:3], s[0:1], 0x10
	s_ashr_i32 s9, s5, 31
	s_lshr_b32 s9, s9, 24
	s_add_i32 s5, s5, s9
	s_ashr_i32 s12, s5, 8
	v_bfe_u32 v8, v0, 3, 7
	v_and_b32_e32 v7, 0x3ff, v0
	v_cmp_gt_u32_e32 vcc, s12, v8
	v_mov_b32_e32 v9, 0
	s_and_saveexec_b64 s[10:11], vcc
	s_cbranch_execz .LBB269_5
; %bb.2:
	s_load_dwordx2 s[14:15], s[0:1], 0x18
	v_cvt_f32_u32_e32 v0, s4
	s_mov_b32 s9, 0
	s_lshl_b64 s[16:17], s[8:9], 2
	v_and_b32_e32 v4, 7, v7
	v_rcp_iflag_f32_e32 v0, v0
	s_waitcnt lgkmcnt(0)
	s_add_u32 s14, s14, s16
	s_addc_u32 s15, s15, s17
	s_load_dword s5, s[14:15], 0x0
	s_load_dwordx4 s[16:19], s[0:1], 0x0
	v_mul_f32_e32 v0, 0x4f7ffffe, v0
	s_mul_i32 s0, s12, s6
	v_cvt_u32_f32_e32 v0, v0
	s_waitcnt lgkmcnt(0)
	s_mul_i32 s0, s0, s5
	s_mul_hi_i32 s1, s0, 50
	s_mul_i32 s0, s0, 50
	s_add_u32 s0, s16, s0
	s_addc_u32 s1, s17, s1
	s_sub_i32 s5, 0, s4
	v_readfirstlane_b32 s13, v0
	s_mul_i32 s5, s5, s13
	s_mul_hi_u32 s5, s13, s5
	s_add_i32 s13, s13, s5
	s_mul_hi_u32 s5, s8, s13
	s_mul_i32 s13, s5, s4
	s_sub_i32 s13, s8, s13
	s_add_i32 s14, s5, 1
	s_sub_i32 s15, s13, s4
	s_cmp_ge_u32 s13, s4
	s_cselect_b32 s5, s14, s5
	s_cselect_b32 s13, s15, s13
	s_add_i32 s14, s5, 1
	s_cmp_ge_u32 s13, s4
	s_cselect_b32 s4, s14, s5
	s_mul_i32 s4, s4, s7
	s_mov_b32 s5, s9
	s_lshl_b64 s[4:5], s[4:5], 2
	s_add_u32 s4, s18, s4
	s_addc_u32 s5, s19, s5
	v_lshlrev_b32_e32 v0, 1, v4
	v_mov_b32_e32 v1, 0
	v_mad_u64_u32 v[2:3], s[4:5], v4, 36, s[4:5]
	v_mul_lo_u32 v10, v6, s12
	v_lshlrev_b32_e32 v11, 3, v8
	s_mov_b64 s[4:5], 0
	v_lshlrev_b32_e32 v0, 1, v0
	v_lshlrev_b32_e32 v4, 1, v4
	v_mov_b32_e32 v5, v1
	s_movk_i32 s7, 0x700
	v_mov_b32_e32 v12, 0xbf600000
	v_mov_b32_e32 v9, v1
.LBB269_3:                              ; =>This Inner Loop Header: Depth=1
	v_add_u32_e32 v13, v10, v8
	v_mad_i64_i32 v[22:23], s[14:15], v13, 50, s[0:1]
	v_lshl_add_u64 v[14:15], v[22:23], 0, v[0:1]
	v_lshl_add_u64 v[16:17], v[22:23], 0, v[4:5]
	global_load_dword v13, v[14:15], off offset:2
	global_load_ushort v26, v[16:17], off offset:34
	v_mad_i64_i32 v[24:25], s[14:15], v11, 36, v[2:3]
	global_load_dwordx4 v[14:17], v[24:25], off
	global_load_dwordx4 v[18:21], v[24:25], off offset:16
	global_load_ushort v27, v[22:23], off
	s_getpc_b64 s[14:15]
	s_add_u32 s14, s14, _ZL13iq1s_grid_gpu@rel32@lo+4
	s_addc_u32 s15, s15, _ZL13iq1s_grid_gpu@rel32@hi+12
	v_add_u32_e32 v8, 8, v8
	v_cmp_le_u32_e32 vcc, s12, v8
	v_add_u32_e32 v11, 64, v11
	s_or_b64 s[4:5], vcc, s[4:5]
	s_waitcnt vmcnt(4)
	v_and_b32_e32 v23, 0xff, v13
	s_waitcnt vmcnt(3)
	v_lshlrev_b32_e32 v28, 8, v26
	v_lshrrev_b32_e32 v22, 24, v13
	v_bfe_u32 v29, v13, 8, 8
	v_lshlrev_b32_e32 v30, 5, v26
	v_bfe_u32 v13, v13, 16, 8
	v_lshlrev_b32_e32 v31, 2, v26
	v_lshrrev_b32_e32 v32, 1, v26
	v_and_or_b32 v23, v28, s7, v23
	v_and_or_b32 v28, v30, s7, v29
	;; [unrolled: 1-line block ×4, first 2 shown]
	v_lshlrev_b32_e32 v23, 3, v23
	v_lshlrev_b32_e32 v28, 3, v28
	;; [unrolled: 1-line block ×4, first 2 shown]
	global_load_dword v29, v23, s[14:15]
	global_load_dword v30, v28, s[14:15]
	;; [unrolled: 1-line block ×4, first 2 shown]
	global_load_dword v33, v[24:25], off offset:32
	s_waitcnt vmcnt(7)
	v_cvt_f32_f16_e32 v22, v14
	v_cvt_f32_f16_sdwa v23, v14 dst_sel:DWORD dst_unused:UNUSED_PAD src0_sel:WORD_1
	v_lshrrev_b32_e32 v14, 11, v26
	v_mov_b32_e32 v13, 0
	s_waitcnt vmcnt(5)
	v_cvt_f32_f16_e32 v24, v27
	v_and_b32_e32 v25, 0x8000, v26
	v_and_or_b32 v26, v14, 14, 1
	v_cvt_f32_u32_e32 v25, v25
	s_waitcnt vmcnt(4)
	v_and_b32_e32 v14, 0xf0f0f0f, v29
	v_lshrrev_b32_e32 v27, 4, v29
	v_and_b32_e32 v27, 0xf0f0f0f, v27
	v_dot4c_i32_i8_e32 v13, v14, v15
	s_waitcnt vmcnt(3)
	v_and_b32_e32 v28, 0xf0f0f0f, v30
	v_lshrrev_b32_e32 v29, 4, v30
	v_dot4c_i32_i8_e32 v13, v27, v16
	v_and_b32_e32 v14, 0xf0f0f0f, v29
	v_dot4c_i32_i8_e32 v13, v28, v17
	s_waitcnt vmcnt(2)
	v_and_b32_e32 v30, 0xf0f0f0f, v31
	v_lshrrev_b32_e32 v31, 4, v31
	v_dot4c_i32_i8_e32 v13, v14, v18
	;; [unrolled: 6-line block ×3, first 2 shown]
	v_and_b32_e32 v29, 0xf0f0f0f, v32
	v_dot4c_i32_i8_e32 v13, v34, v21
	s_waitcnt vmcnt(0)
	v_dot4c_i32_i8_e32 v13, v29, v33
	v_fmamk_f32 v15, v25, 0xb7000000, v12
	s_nop 1
	v_cvt_f32_i32_e32 v14, v13
	v_cvt_f32_ubyte0_e32 v13, v26
	v_mul_f32_e32 v13, v13, v24
	v_pk_mul_f32 v[14:15], v[14:15], v[22:23]
	s_nop 0
	v_add_f32_e32 v14, v14, v15
	v_fmac_f32_e32 v9, v13, v14
	s_andn2_b64 exec, exec, s[4:5]
	s_cbranch_execnz .LBB269_3
; %bb.4:
	s_or_b64 exec, exec, s[4:5]
.LBB269_5:
	s_or_b64 exec, exec, s[10:11]
	v_mbcnt_lo_u32_b32 v0, -1, 0
	v_mbcnt_hi_u32_b32 v1, -1, v0
	v_and_b32_e32 v0, 64, v1
	v_add_u32_e32 v2, 64, v0
	v_xor_b32_e32 v0, 32, v1
	v_cmp_lt_i32_e32 vcc, v0, v2
	v_xor_b32_e32 v3, 16, v1
	v_xor_b32_e32 v4, 8, v1
	v_cndmask_b32_e32 v0, v1, v0, vcc
	v_lshlrev_b32_e32 v0, 2, v0
	ds_bpermute_b32 v0, v0, v9
	v_cmp_lt_i32_e32 vcc, v3, v2
	s_waitcnt lgkmcnt(0)
	v_add_f32_e32 v0, v9, v0
	v_cndmask_b32_e32 v3, v1, v3, vcc
	v_lshlrev_b32_e32 v3, 2, v3
	ds_bpermute_b32 v3, v3, v0
	v_cmp_lt_i32_e32 vcc, v4, v2
	s_waitcnt lgkmcnt(0)
	v_add_f32_e32 v0, v0, v3
	v_cndmask_b32_e32 v3, v1, v4, vcc
	v_lshlrev_b32_e32 v3, 2, v3
	ds_bpermute_b32 v3, v3, v0
	v_xor_b32_e32 v4, 4, v1
	v_cmp_lt_i32_e32 vcc, v4, v2
	s_waitcnt lgkmcnt(0)
	v_add_f32_e32 v0, v0, v3
	v_cndmask_b32_e32 v3, v1, v4, vcc
	v_lshlrev_b32_e32 v3, 2, v3
	ds_bpermute_b32 v3, v3, v0
	v_xor_b32_e32 v4, 2, v1
	;; [unrolled: 7-line block ×3, first 2 shown]
	v_cmp_lt_i32_e32 vcc, v4, v2
	s_waitcnt lgkmcnt(0)
	v_add_f32_e32 v0, v0, v3
	v_cndmask_b32_e32 v1, v1, v4, vcc
	v_lshlrev_b32_e32 v1, 2, v1
	ds_bpermute_b32 v1, v1, v0
	v_cmp_eq_u32_e32 vcc, 0, v7
	s_and_b64 exec, exec, vcc
	s_cbranch_execz .LBB269_7
; %bb.6:
	s_waitcnt lgkmcnt(0)
	v_add_f32_e32 v0, v0, v1
	v_cvt_f16_f32_e32 v2, v0
	s_mul_i32 s0, s6, s8
	v_add_u32_e32 v0, s0, v6
	v_mov_b32_e32 v1, 0
	v_lshl_add_u64 v[0:1], v[0:1], 1, s[2:3]
	global_store_short v[0:1], v2, off
.LBB269_7:
	s_endpgm
	.section	.rodata,"a",@progbits
	.p2align	6, 0x0
	.amdhsa_kernel _ZL9moe_vec_qIN3c104HalfELi256ELi8E11block_iq1_sLi1EXadL_ZL18vec_dot_iq1_s_q8_1PKvPK10block_q8_1RKiEEEvS4_S4_PT_PS8_iiii
		.amdhsa_group_segment_fixed_size 0
		.amdhsa_private_segment_fixed_size 0
		.amdhsa_kernarg_size 304
		.amdhsa_user_sgpr_count 2
		.amdhsa_user_sgpr_dispatch_ptr 0
		.amdhsa_user_sgpr_queue_ptr 0
		.amdhsa_user_sgpr_kernarg_segment_ptr 1
		.amdhsa_user_sgpr_dispatch_id 0
		.amdhsa_user_sgpr_kernarg_preload_length 0
		.amdhsa_user_sgpr_kernarg_preload_offset 0
		.amdhsa_user_sgpr_private_segment_size 0
		.amdhsa_uses_dynamic_stack 0
		.amdhsa_enable_private_segment 0
		.amdhsa_system_sgpr_workgroup_id_x 1
		.amdhsa_system_sgpr_workgroup_id_y 0
		.amdhsa_system_sgpr_workgroup_id_z 1
		.amdhsa_system_sgpr_workgroup_info 0
		.amdhsa_system_vgpr_workitem_id 1
		.amdhsa_next_free_vgpr 35
		.amdhsa_next_free_sgpr 20
		.amdhsa_accum_offset 36
		.amdhsa_reserve_vcc 1
		.amdhsa_float_round_mode_32 0
		.amdhsa_float_round_mode_16_64 0
		.amdhsa_float_denorm_mode_32 3
		.amdhsa_float_denorm_mode_16_64 3
		.amdhsa_dx10_clamp 1
		.amdhsa_ieee_mode 1
		.amdhsa_fp16_overflow 0
		.amdhsa_tg_split 0
		.amdhsa_exception_fp_ieee_invalid_op 0
		.amdhsa_exception_fp_denorm_src 0
		.amdhsa_exception_fp_ieee_div_zero 0
		.amdhsa_exception_fp_ieee_overflow 0
		.amdhsa_exception_fp_ieee_underflow 0
		.amdhsa_exception_fp_ieee_inexact 0
		.amdhsa_exception_int_div_zero 0
	.end_amdhsa_kernel
	.section	.text._ZL9moe_vec_qIN3c104HalfELi256ELi8E11block_iq1_sLi1EXadL_ZL18vec_dot_iq1_s_q8_1PKvPK10block_q8_1RKiEEEvS4_S4_PT_PS8_iiii,"axG",@progbits,_ZL9moe_vec_qIN3c104HalfELi256ELi8E11block_iq1_sLi1EXadL_ZL18vec_dot_iq1_s_q8_1PKvPK10block_q8_1RKiEEEvS4_S4_PT_PS8_iiii,comdat
.Lfunc_end269:
	.size	_ZL9moe_vec_qIN3c104HalfELi256ELi8E11block_iq1_sLi1EXadL_ZL18vec_dot_iq1_s_q8_1PKvPK10block_q8_1RKiEEEvS4_S4_PT_PS8_iiii, .Lfunc_end269-_ZL9moe_vec_qIN3c104HalfELi256ELi8E11block_iq1_sLi1EXadL_ZL18vec_dot_iq1_s_q8_1PKvPK10block_q8_1RKiEEEvS4_S4_PT_PS8_iiii
                                        ; -- End function
	.set _ZL9moe_vec_qIN3c104HalfELi256ELi8E11block_iq1_sLi1EXadL_ZL18vec_dot_iq1_s_q8_1PKvPK10block_q8_1RKiEEEvS4_S4_PT_PS8_iiii.num_vgpr, 35
	.set _ZL9moe_vec_qIN3c104HalfELi256ELi8E11block_iq1_sLi1EXadL_ZL18vec_dot_iq1_s_q8_1PKvPK10block_q8_1RKiEEEvS4_S4_PT_PS8_iiii.num_agpr, 0
	.set _ZL9moe_vec_qIN3c104HalfELi256ELi8E11block_iq1_sLi1EXadL_ZL18vec_dot_iq1_s_q8_1PKvPK10block_q8_1RKiEEEvS4_S4_PT_PS8_iiii.numbered_sgpr, 20
	.set _ZL9moe_vec_qIN3c104HalfELi256ELi8E11block_iq1_sLi1EXadL_ZL18vec_dot_iq1_s_q8_1PKvPK10block_q8_1RKiEEEvS4_S4_PT_PS8_iiii.num_named_barrier, 0
	.set _ZL9moe_vec_qIN3c104HalfELi256ELi8E11block_iq1_sLi1EXadL_ZL18vec_dot_iq1_s_q8_1PKvPK10block_q8_1RKiEEEvS4_S4_PT_PS8_iiii.private_seg_size, 0
	.set _ZL9moe_vec_qIN3c104HalfELi256ELi8E11block_iq1_sLi1EXadL_ZL18vec_dot_iq1_s_q8_1PKvPK10block_q8_1RKiEEEvS4_S4_PT_PS8_iiii.uses_vcc, 1
	.set _ZL9moe_vec_qIN3c104HalfELi256ELi8E11block_iq1_sLi1EXadL_ZL18vec_dot_iq1_s_q8_1PKvPK10block_q8_1RKiEEEvS4_S4_PT_PS8_iiii.uses_flat_scratch, 0
	.set _ZL9moe_vec_qIN3c104HalfELi256ELi8E11block_iq1_sLi1EXadL_ZL18vec_dot_iq1_s_q8_1PKvPK10block_q8_1RKiEEEvS4_S4_PT_PS8_iiii.has_dyn_sized_stack, 0
	.set _ZL9moe_vec_qIN3c104HalfELi256ELi8E11block_iq1_sLi1EXadL_ZL18vec_dot_iq1_s_q8_1PKvPK10block_q8_1RKiEEEvS4_S4_PT_PS8_iiii.has_recursion, 0
	.set _ZL9moe_vec_qIN3c104HalfELi256ELi8E11block_iq1_sLi1EXadL_ZL18vec_dot_iq1_s_q8_1PKvPK10block_q8_1RKiEEEvS4_S4_PT_PS8_iiii.has_indirect_call, 0
	.section	.AMDGPU.csdata,"",@progbits
; Kernel info:
; codeLenInByte = 1112
; TotalNumSgprs: 26
; NumVgprs: 35
; NumAgprs: 0
; TotalNumVgprs: 35
; ScratchSize: 0
; MemoryBound: 0
; FloatMode: 240
; IeeeMode: 1
; LDSByteSize: 0 bytes/workgroup (compile time only)
; SGPRBlocks: 3
; VGPRBlocks: 4
; NumSGPRsForWavesPerEU: 26
; NumVGPRsForWavesPerEU: 35
; AccumOffset: 36
; Occupancy: 8
; WaveLimiterHint : 1
; COMPUTE_PGM_RSRC2:SCRATCH_EN: 0
; COMPUTE_PGM_RSRC2:USER_SGPR: 2
; COMPUTE_PGM_RSRC2:TRAP_HANDLER: 0
; COMPUTE_PGM_RSRC2:TGID_X_EN: 1
; COMPUTE_PGM_RSRC2:TGID_Y_EN: 0
; COMPUTE_PGM_RSRC2:TGID_Z_EN: 1
; COMPUTE_PGM_RSRC2:TIDIG_COMP_CNT: 1
; COMPUTE_PGM_RSRC3_GFX90A:ACCUM_OFFSET: 8
; COMPUTE_PGM_RSRC3_GFX90A:TG_SPLIT: 0
	.section	.text._ZL9moe_vec_qIN3c104HalfELi32ELi4E12block_iq4_nlLi2EXadL_ZL19vec_dot_iq4_nl_q8_1PKvPK10block_q8_1RKiEEEvS4_S4_PT_PS8_iiii,"axG",@progbits,_ZL9moe_vec_qIN3c104HalfELi32ELi4E12block_iq4_nlLi2EXadL_ZL19vec_dot_iq4_nl_q8_1PKvPK10block_q8_1RKiEEEvS4_S4_PT_PS8_iiii,comdat
	.globl	_ZL9moe_vec_qIN3c104HalfELi32ELi4E12block_iq4_nlLi2EXadL_ZL19vec_dot_iq4_nl_q8_1PKvPK10block_q8_1RKiEEEvS4_S4_PT_PS8_iiii ; -- Begin function _ZL9moe_vec_qIN3c104HalfELi32ELi4E12block_iq4_nlLi2EXadL_ZL19vec_dot_iq4_nl_q8_1PKvPK10block_q8_1RKiEEEvS4_S4_PT_PS8_iiii
	.p2align	8
	.type	_ZL9moe_vec_qIN3c104HalfELi32ELi4E12block_iq4_nlLi2EXadL_ZL19vec_dot_iq4_nl_q8_1PKvPK10block_q8_1RKiEEEvS4_S4_PT_PS8_iiii,@function
_ZL9moe_vec_qIN3c104HalfELi32ELi4E12block_iq4_nlLi2EXadL_ZL19vec_dot_iq4_nl_q8_1PKvPK10block_q8_1RKiEEEvS4_S4_PT_PS8_iiii: ; @_ZL9moe_vec_qIN3c104HalfELi32ELi4E12block_iq4_nlLi2EXadL_ZL19vec_dot_iq4_nl_q8_1PKvPK10block_q8_1RKiEEEvS4_S4_PT_PS8_iiii
; %bb.0:
	s_mov_b32 s8, s3
	s_load_dword s3, s[0:1], 0x3c
	s_load_dwordx4 s[4:7], s[0:1], 0x20
	v_bfe_u32 v1, v0, 10, 10
	s_waitcnt lgkmcnt(0)
	s_lshr_b32 s3, s3, 16
	s_mul_i32 s2, s2, s3
	v_add_u32_e32 v4, s2, v1
	v_cmp_gt_u32_e32 vcc, s6, v4
	s_and_saveexec_b64 s[2:3], vcc
	s_cbranch_execz .LBB270_7
; %bb.1:
	v_cvt_f32_u32_e32 v1, s4
	v_and_b32_e32 v5, 0x3ff, v0
	v_bfe_u32 v6, v0, 1, 9
	s_load_dwordx2 s[2:3], s[0:1], 0x10
	v_rcp_iflag_f32_e32 v1, v1
	s_ashr_i32 s9, s5, 31
	s_lshr_b32 s9, s9, 27
	s_add_i32 s5, s5, s9
	v_mul_f32_e32 v0, 0x4f7ffffe, v1
	v_cvt_u32_f32_e32 v0, v0
	s_ashr_i32 s16, s5, 5
	v_cmp_gt_u32_e32 vcc, s16, v6
	v_mov_b32_e32 v7, 0
	v_readfirstlane_b32 s5, v0
	s_and_saveexec_b64 s[10:11], vcc
	s_cbranch_execz .LBB270_5
; %bb.2:
	s_sub_i32 s12, 0, s4
	s_mul_i32 s17, s12, s5
	s_load_dwordx4 s[12:15], s[0:1], 0x0
	s_load_dwordx2 s[18:19], s[0:1], 0x18
	s_mov_b32 s9, 0
	s_mul_hi_u32 s0, s5, s17
	s_add_i32 s5, s5, s0
	s_lshl_b64 s[0:1], s[8:9], 2
	s_waitcnt lgkmcnt(0)
	s_add_u32 s0, s18, s0
	s_mul_hi_u32 s5, s8, s5
	s_addc_u32 s1, s19, s1
	s_load_dword s0, s[0:1], 0x0
	s_mul_i32 s1, s5, s4
	s_sub_i32 s1, s8, s1
	s_add_i32 s17, s5, 1
	s_sub_i32 s18, s1, s4
	s_cmp_ge_u32 s1, s4
	s_cselect_b32 s5, s17, s5
	s_cselect_b32 s1, s18, s1
	s_add_i32 s17, s5, 1
	s_cmp_ge_u32 s1, s4
	s_mul_i32 s1, s16, s6
	s_waitcnt lgkmcnt(0)
	s_mul_i32 s0, s1, s0
	s_cselect_b32 s4, s17, s5
	s_mul_hi_i32 s1, s0, 18
	s_mul_i32 s0, s0, 18
	s_add_u32 s0, s12, s0
	s_mul_i32 s4, s4, s7
	s_mov_b32 s5, s9
	v_lshlrev_b32_e32 v0, 1, v5
	s_addc_u32 s1, s13, s1
	s_lshl_b64 s[4:5], s[4:5], 2
	v_and_b32_e32 v2, 2, v0
	s_add_u32 s4, s14, s4
	v_lshlrev_b32_e32 v0, 1, v2
	v_mov_b32_e32 v1, 0
	s_addc_u32 s5, s15, s5
	v_mul_lo_u32 v8, v4, s16
	s_mov_b64 s[12:13], 0
	v_lshlrev_b32_e32 v0, 1, v0
	v_lshlrev_b32_e32 v2, 2, v2
	v_mov_b32_e32 v3, v1
	v_mov_b32_e32 v7, v1
.LBB270_3:                              ; =>This Inner Loop Header: Depth=1
	v_add_u32_e32 v9, v8, v6
	v_mad_i64_i32 v[10:11], s[14:15], v9, 18, s[0:1]
	v_lshl_add_u64 v[12:13], v[10:11], 0, v[0:1]
	global_load_dwordx2 v[12:13], v[12:13], off offset:2
	v_mad_i64_i32 v[14:15], s[14:15], v6, 36, s[4:5]
	v_lshl_add_u64 v[16:17], v[14:15], 0, v[2:3]
	s_getpc_b64 s[14:15]
	s_add_u32 s14, s14, _ZL13kvalues_iq4nl@rel32@lo+4
	s_addc_u32 s15, s15, _ZL13kvalues_iq4nl@rel32@hi+12
	global_load_dword v9, v[14:15], off
	global_load_dwordx2 v[18:19], v[16:17], off offset:4
	global_load_dwordx2 v[20:21], v[16:17], off offset:20
	v_add_u32_e32 v6, 32, v6
	v_cmp_le_u32_e32 vcc, s16, v6
	s_or_b64 s[12:13], vcc, s[12:13]
	s_waitcnt vmcnt(3)
	v_bfe_u32 v14, v12, 24, 4
	v_and_b32_e32 v15, 15, v12
	v_bfe_u32 v16, v12, 8, 4
	v_bfe_u32 v17, v12, 16, 4
	;; [unrolled: 1-line block ×4, first 2 shown]
	v_lshrrev_b32_e32 v24, 28, v12
	v_bfe_u32 v12, v12, 4, 4
	v_bfe_u32 v25, v13, 24, 4
	v_and_b32_e32 v26, 15, v13
	v_bfe_u32 v27, v13, 8, 4
	v_bfe_u32 v28, v13, 16, 4
	;; [unrolled: 1-line block ×4, first 2 shown]
	v_lshrrev_b32_e32 v31, 28, v13
	v_bfe_u32 v13, v13, 4, 4
	global_load_ubyte v32, v15, s[14:15]
	global_load_ubyte v33, v16, s[14:15]
	;; [unrolled: 1-line block ×15, first 2 shown]
                                        ; kill: killed $vgpr22
                                        ; kill: killed $vgpr31
                                        ; kill: killed $vgpr24
                                        ; kill: killed $vgpr29
                                        ; kill: killed $vgpr28
                                        ; kill: killed $vgpr23
                                        ; kill: killed $vgpr27
                                        ; kill: killed $vgpr13
                                        ; kill: killed $vgpr15
                                        ; kill: killed $vgpr12
                                        ; kill: killed $vgpr26
                                        ; kill: killed $vgpr30
                                        ; kill: killed $vgpr17
                                        ; kill: killed $vgpr14
                                        ; kill: killed $vgpr16
	global_load_ubyte v12, v25, s[14:15]
	s_nop 0
	global_load_ushort v13, v[10:11], off
	v_mov_b32_e32 v10, 0
	v_mov_b32_e32 v11, 0
	s_waitcnt vmcnt(19)
	v_cvt_f32_f16_e32 v9, v9
	s_waitcnt vmcnt(15)
	v_lshl_or_b32 v16, v33, 8, v32
	s_waitcnt vmcnt(14)
	v_lshlrev_b32_e32 v15, 16, v34
	s_waitcnt vmcnt(12)
	v_lshl_or_b32 v23, v36, 8, v35
	s_waitcnt vmcnt(11)
	v_lshlrev_b32_e32 v22, 16, v37
	s_waitcnt vmcnt(10)
	v_lshlrev_b32_e32 v17, 24, v38
	;; [unrolled: 2-line block ×3, first 2 shown]
	v_or3_b32 v14, v16, v15, v14
	s_waitcnt vmcnt(7)
	v_lshl_or_b32 v25, v41, 8, v40
	s_waitcnt vmcnt(6)
	v_lshlrev_b32_e32 v24, 16, v42
	v_or3_b32 v15, v23, v22, v17
	s_waitcnt vmcnt(4)
	v_lshl_or_b32 v28, v44, 8, v43
	s_waitcnt vmcnt(3)
	v_lshlrev_b32_e32 v27, 16, v45
	s_waitcnt vmcnt(2)
	v_lshlrev_b32_e32 v26, 24, v46
	v_or3_b32 v16, v28, v27, v26
	v_dot4c_i32_i8_e32 v10, v14, v18
	v_dot4c_i32_i8_e32 v11, v15, v20
	;; [unrolled: 1-line block ×3, first 2 shown]
	s_waitcnt vmcnt(1)
	v_lshlrev_b32_e32 v12, 24, v12
	v_or3_b32 v12, v25, v24, v12
	v_dot4c_i32_i8_e32 v10, v12, v19
	s_waitcnt vmcnt(0)
	v_cvt_f32_f16_e32 v13, v13
	v_mul_f32_e32 v9, v13, v9
	v_add_u32_e32 v10, v11, v10
	v_cvt_f32_i32_e32 v10, v10
	v_fmac_f32_e32 v7, v9, v10
	s_andn2_b64 exec, exec, s[12:13]
	s_cbranch_execnz .LBB270_3
; %bb.4:
	s_or_b64 exec, exec, s[12:13]
.LBB270_5:
	s_or_b64 exec, exec, s[10:11]
	v_mbcnt_lo_u32_b32 v0, -1, 0
	v_mbcnt_hi_u32_b32 v1, -1, v0
	v_and_b32_e32 v0, 64, v1
	v_add_u32_e32 v2, 64, v0
	v_xor_b32_e32 v0, 32, v1
	v_cmp_lt_i32_e32 vcc, v0, v2
	v_xor_b32_e32 v3, 16, v1
	v_xor_b32_e32 v6, 8, v1
	v_cndmask_b32_e32 v0, v1, v0, vcc
	v_lshlrev_b32_e32 v0, 2, v0
	ds_bpermute_b32 v0, v0, v7
	v_cmp_lt_i32_e32 vcc, v3, v2
	s_waitcnt lgkmcnt(0)
	v_add_f32_e32 v0, v7, v0
	v_cndmask_b32_e32 v3, v1, v3, vcc
	v_lshlrev_b32_e32 v3, 2, v3
	ds_bpermute_b32 v3, v3, v0
	v_cmp_lt_i32_e32 vcc, v6, v2
	s_waitcnt lgkmcnt(0)
	v_add_f32_e32 v0, v0, v3
	v_cndmask_b32_e32 v3, v1, v6, vcc
	v_lshlrev_b32_e32 v3, 2, v3
	ds_bpermute_b32 v3, v3, v0
	v_xor_b32_e32 v6, 4, v1
	v_cmp_lt_i32_e32 vcc, v6, v2
	s_waitcnt lgkmcnt(0)
	v_add_f32_e32 v0, v0, v3
	v_cndmask_b32_e32 v3, v1, v6, vcc
	v_lshlrev_b32_e32 v3, 2, v3
	ds_bpermute_b32 v3, v3, v0
	v_xor_b32_e32 v6, 2, v1
	;; [unrolled: 7-line block ×3, first 2 shown]
	v_cmp_lt_i32_e32 vcc, v6, v2
	s_waitcnt lgkmcnt(0)
	v_add_f32_e32 v0, v0, v3
	v_cndmask_b32_e32 v1, v1, v6, vcc
	v_lshlrev_b32_e32 v1, 2, v1
	ds_bpermute_b32 v1, v1, v0
	v_cmp_eq_u32_e32 vcc, 0, v5
	s_and_b64 exec, exec, vcc
	s_cbranch_execz .LBB270_7
; %bb.6:
	s_waitcnt lgkmcnt(0)
	v_add_f32_e32 v0, v0, v1
	v_cvt_f16_f32_e32 v2, v0
	s_mul_i32 s0, s6, s8
	v_add_u32_e32 v0, s0, v4
	v_mov_b32_e32 v1, 0
	v_lshl_add_u64 v[0:1], v[0:1], 1, s[2:3]
	global_store_short v[0:1], v2, off
.LBB270_7:
	s_endpgm
	.section	.rodata,"a",@progbits
	.p2align	6, 0x0
	.amdhsa_kernel _ZL9moe_vec_qIN3c104HalfELi32ELi4E12block_iq4_nlLi2EXadL_ZL19vec_dot_iq4_nl_q8_1PKvPK10block_q8_1RKiEEEvS4_S4_PT_PS8_iiii
		.amdhsa_group_segment_fixed_size 0
		.amdhsa_private_segment_fixed_size 0
		.amdhsa_kernarg_size 304
		.amdhsa_user_sgpr_count 2
		.amdhsa_user_sgpr_dispatch_ptr 0
		.amdhsa_user_sgpr_queue_ptr 0
		.amdhsa_user_sgpr_kernarg_segment_ptr 1
		.amdhsa_user_sgpr_dispatch_id 0
		.amdhsa_user_sgpr_kernarg_preload_length 0
		.amdhsa_user_sgpr_kernarg_preload_offset 0
		.amdhsa_user_sgpr_private_segment_size 0
		.amdhsa_uses_dynamic_stack 0
		.amdhsa_enable_private_segment 0
		.amdhsa_system_sgpr_workgroup_id_x 1
		.amdhsa_system_sgpr_workgroup_id_y 0
		.amdhsa_system_sgpr_workgroup_id_z 1
		.amdhsa_system_sgpr_workgroup_info 0
		.amdhsa_system_vgpr_workitem_id 1
		.amdhsa_next_free_vgpr 47
		.amdhsa_next_free_sgpr 20
		.amdhsa_accum_offset 48
		.amdhsa_reserve_vcc 1
		.amdhsa_float_round_mode_32 0
		.amdhsa_float_round_mode_16_64 0
		.amdhsa_float_denorm_mode_32 3
		.amdhsa_float_denorm_mode_16_64 3
		.amdhsa_dx10_clamp 1
		.amdhsa_ieee_mode 1
		.amdhsa_fp16_overflow 0
		.amdhsa_tg_split 0
		.amdhsa_exception_fp_ieee_invalid_op 0
		.amdhsa_exception_fp_denorm_src 0
		.amdhsa_exception_fp_ieee_div_zero 0
		.amdhsa_exception_fp_ieee_overflow 0
		.amdhsa_exception_fp_ieee_underflow 0
		.amdhsa_exception_fp_ieee_inexact 0
		.amdhsa_exception_int_div_zero 0
	.end_amdhsa_kernel
	.section	.text._ZL9moe_vec_qIN3c104HalfELi32ELi4E12block_iq4_nlLi2EXadL_ZL19vec_dot_iq4_nl_q8_1PKvPK10block_q8_1RKiEEEvS4_S4_PT_PS8_iiii,"axG",@progbits,_ZL9moe_vec_qIN3c104HalfELi32ELi4E12block_iq4_nlLi2EXadL_ZL19vec_dot_iq4_nl_q8_1PKvPK10block_q8_1RKiEEEvS4_S4_PT_PS8_iiii,comdat
.Lfunc_end270:
	.size	_ZL9moe_vec_qIN3c104HalfELi32ELi4E12block_iq4_nlLi2EXadL_ZL19vec_dot_iq4_nl_q8_1PKvPK10block_q8_1RKiEEEvS4_S4_PT_PS8_iiii, .Lfunc_end270-_ZL9moe_vec_qIN3c104HalfELi32ELi4E12block_iq4_nlLi2EXadL_ZL19vec_dot_iq4_nl_q8_1PKvPK10block_q8_1RKiEEEvS4_S4_PT_PS8_iiii
                                        ; -- End function
	.set _ZL9moe_vec_qIN3c104HalfELi32ELi4E12block_iq4_nlLi2EXadL_ZL19vec_dot_iq4_nl_q8_1PKvPK10block_q8_1RKiEEEvS4_S4_PT_PS8_iiii.num_vgpr, 47
	.set _ZL9moe_vec_qIN3c104HalfELi32ELi4E12block_iq4_nlLi2EXadL_ZL19vec_dot_iq4_nl_q8_1PKvPK10block_q8_1RKiEEEvS4_S4_PT_PS8_iiii.num_agpr, 0
	.set _ZL9moe_vec_qIN3c104HalfELi32ELi4E12block_iq4_nlLi2EXadL_ZL19vec_dot_iq4_nl_q8_1PKvPK10block_q8_1RKiEEEvS4_S4_PT_PS8_iiii.numbered_sgpr, 20
	.set _ZL9moe_vec_qIN3c104HalfELi32ELi4E12block_iq4_nlLi2EXadL_ZL19vec_dot_iq4_nl_q8_1PKvPK10block_q8_1RKiEEEvS4_S4_PT_PS8_iiii.num_named_barrier, 0
	.set _ZL9moe_vec_qIN3c104HalfELi32ELi4E12block_iq4_nlLi2EXadL_ZL19vec_dot_iq4_nl_q8_1PKvPK10block_q8_1RKiEEEvS4_S4_PT_PS8_iiii.private_seg_size, 0
	.set _ZL9moe_vec_qIN3c104HalfELi32ELi4E12block_iq4_nlLi2EXadL_ZL19vec_dot_iq4_nl_q8_1PKvPK10block_q8_1RKiEEEvS4_S4_PT_PS8_iiii.uses_vcc, 1
	.set _ZL9moe_vec_qIN3c104HalfELi32ELi4E12block_iq4_nlLi2EXadL_ZL19vec_dot_iq4_nl_q8_1PKvPK10block_q8_1RKiEEEvS4_S4_PT_PS8_iiii.uses_flat_scratch, 0
	.set _ZL9moe_vec_qIN3c104HalfELi32ELi4E12block_iq4_nlLi2EXadL_ZL19vec_dot_iq4_nl_q8_1PKvPK10block_q8_1RKiEEEvS4_S4_PT_PS8_iiii.has_dyn_sized_stack, 0
	.set _ZL9moe_vec_qIN3c104HalfELi32ELi4E12block_iq4_nlLi2EXadL_ZL19vec_dot_iq4_nl_q8_1PKvPK10block_q8_1RKiEEEvS4_S4_PT_PS8_iiii.has_recursion, 0
	.set _ZL9moe_vec_qIN3c104HalfELi32ELi4E12block_iq4_nlLi2EXadL_ZL19vec_dot_iq4_nl_q8_1PKvPK10block_q8_1RKiEEEvS4_S4_PT_PS8_iiii.has_indirect_call, 0
	.section	.AMDGPU.csdata,"",@progbits
; Kernel info:
; codeLenInByte = 1168
; TotalNumSgprs: 26
; NumVgprs: 47
; NumAgprs: 0
; TotalNumVgprs: 47
; ScratchSize: 0
; MemoryBound: 0
; FloatMode: 240
; IeeeMode: 1
; LDSByteSize: 0 bytes/workgroup (compile time only)
; SGPRBlocks: 3
; VGPRBlocks: 5
; NumSGPRsForWavesPerEU: 26
; NumVGPRsForWavesPerEU: 47
; AccumOffset: 48
; Occupancy: 8
; WaveLimiterHint : 1
; COMPUTE_PGM_RSRC2:SCRATCH_EN: 0
; COMPUTE_PGM_RSRC2:USER_SGPR: 2
; COMPUTE_PGM_RSRC2:TRAP_HANDLER: 0
; COMPUTE_PGM_RSRC2:TGID_X_EN: 1
; COMPUTE_PGM_RSRC2:TGID_Y_EN: 0
; COMPUTE_PGM_RSRC2:TGID_Z_EN: 1
; COMPUTE_PGM_RSRC2:TIDIG_COMP_CNT: 1
; COMPUTE_PGM_RSRC3_GFX90A:ACCUM_OFFSET: 11
; COMPUTE_PGM_RSRC3_GFX90A:TG_SPLIT: 0
	.section	.text._ZL9moe_vec_qIN3c104HalfELi256ELi8E11block_iq3_sLi1EXadL_ZL18vec_dot_iq3_s_q8_1PKvPK10block_q8_1RKiEEEvS4_S4_PT_PS8_iiii,"axG",@progbits,_ZL9moe_vec_qIN3c104HalfELi256ELi8E11block_iq3_sLi1EXadL_ZL18vec_dot_iq3_s_q8_1PKvPK10block_q8_1RKiEEEvS4_S4_PT_PS8_iiii,comdat
	.globl	_ZL9moe_vec_qIN3c104HalfELi256ELi8E11block_iq3_sLi1EXadL_ZL18vec_dot_iq3_s_q8_1PKvPK10block_q8_1RKiEEEvS4_S4_PT_PS8_iiii ; -- Begin function _ZL9moe_vec_qIN3c104HalfELi256ELi8E11block_iq3_sLi1EXadL_ZL18vec_dot_iq3_s_q8_1PKvPK10block_q8_1RKiEEEvS4_S4_PT_PS8_iiii
	.p2align	8
	.type	_ZL9moe_vec_qIN3c104HalfELi256ELi8E11block_iq3_sLi1EXadL_ZL18vec_dot_iq3_s_q8_1PKvPK10block_q8_1RKiEEEvS4_S4_PT_PS8_iiii,@function
_ZL9moe_vec_qIN3c104HalfELi256ELi8E11block_iq3_sLi1EXadL_ZL18vec_dot_iq3_s_q8_1PKvPK10block_q8_1RKiEEEvS4_S4_PT_PS8_iiii: ; @_ZL9moe_vec_qIN3c104HalfELi256ELi8E11block_iq3_sLi1EXadL_ZL18vec_dot_iq3_s_q8_1PKvPK10block_q8_1RKiEEEvS4_S4_PT_PS8_iiii
; %bb.0:
	s_mov_b32 s8, s3
	s_load_dword s3, s[0:1], 0x3c
	s_load_dwordx4 s[4:7], s[0:1], 0x20
	v_bfe_u32 v1, v0, 10, 10
	s_waitcnt lgkmcnt(0)
	s_lshr_b32 s3, s3, 16
	s_mul_i32 s2, s2, s3
	v_add_u32_e32 v24, s2, v1
	v_cmp_gt_u32_e32 vcc, s6, v24
	s_and_saveexec_b64 s[2:3], vcc
	s_cbranch_execz .LBB271_9
; %bb.1:
	s_load_dwordx2 s[2:3], s[0:1], 0x10
	s_ashr_i32 s9, s5, 31
	s_lshr_b32 s9, s9, 24
	s_add_i32 s5, s5, s9
	s_ashr_i32 s5, s5, 8
	v_bfe_u32 v26, v0, 3, 7
	v_and_b32_e32 v25, 0x3ff, v0
	v_cmp_gt_u32_e32 vcc, s5, v26
	v_mov_b32_e32 v1, 0
	s_and_saveexec_b64 s[10:11], vcc
	s_cbranch_execz .LBB271_7
; %bb.2:
	s_load_dwordx2 s[12:13], s[0:1], 0x18
	v_cvt_f32_u32_e32 v0, s4
	s_mov_b32 s9, 0
	s_lshl_b64 s[14:15], s[8:9], 2
	v_and_b32_e32 v2, 7, v25
	s_waitcnt lgkmcnt(0)
	s_add_u32 s12, s12, s14
	v_rcp_iflag_f32_e32 v0, v0
	s_addc_u32 s13, s13, s15
	s_load_dword s14, s[12:13], 0x0
	s_load_dwordx4 s[16:19], s[0:1], 0x0
	s_mul_i32 s0, s5, s6
	v_mul_f32_e32 v0, 0x4f7ffffe, v0
	v_cvt_u32_f32_e32 v0, v0
	s_waitcnt lgkmcnt(0)
	s_mul_i32 s0, s0, s14
	s_mul_hi_i32 s1, s0, 0x6e
	s_mulk_i32 s0, 0x6e
	s_add_u32 s14, s16, s0
	s_addc_u32 s15, s17, s1
	s_sub_i32 s0, 0, s4
	v_readfirstlane_b32 s1, v0
	s_mul_i32 s0, s0, s1
	s_mul_hi_u32 s0, s1, s0
	s_add_i32 s1, s1, s0
	s_mul_hi_u32 s0, s8, s1
	s_mul_i32 s1, s0, s4
	s_sub_i32 s1, s8, s1
	s_add_i32 s13, s0, 1
	s_sub_i32 s16, s1, s4
	s_cmp_ge_u32 s1, s4
	s_cselect_b32 s0, s13, s0
	s_cselect_b32 s1, s16, s1
	s_add_i32 s13, s0, 1
	s_cmp_ge_u32 s1, s4
	s_cselect_b32 s0, s13, s0
	s_mul_i32 s0, s0, s7
	s_mov_b32 s1, s9
	s_lshl_b64 s[0:1], s[0:1], 2
	s_add_u32 s0, s18, s0
	s_addc_u32 s1, s19, s1
	v_mov_b32_e32 v1, 0
	v_lshlrev_b32_e32 v8, 2, v25
	v_lshlrev_b32_e32 v0, 3, v2
	v_mad_u64_u32 v[4:5], s[0:1], v2, 36, s[0:1]
	v_and_b32_e32 v28, 4, v8
	v_lshlrev_b32_e32 v8, 2, v2
	v_mov_b32_e32 v9, v1
	v_mul_lo_u32 v27, v24, s5
	v_lshl_add_u64 v[8:9], s[14:15], 0, v[8:9]
	s_mov_b64 s[0:1], 0x4a
	v_lshl_add_u64 v[10:11], s[14:15], 0, v[0:1]
	s_movk_i32 s12, 0x6e
	v_mov_b32_e32 v3, v1
	v_bfe_u32 v6, v25, 1, 2
	v_mov_b32_e32 v7, v1
	v_lshl_add_u64 v[8:9], v[8:9], 0, s[0:1]
	v_add_u32_e32 v29, v26, v27
	v_lshl_add_u64 v[10:11], v[10:11], 0, 2
	s_mov_b64 s[0:1], 0
	v_mov_b64_e32 v[12:13], s[14:15]
	s_movk_i32 s4, 0x100
	s_mov_b32 s7, 0x1010101
	s_mov_b32 s9, 0x8040201
	;; [unrolled: 1-line block ×4, first 2 shown]
	v_mov_b32_e32 v0, 0xff0000
	s_movk_i32 s15, 0x200
	v_mov_b32_e32 v30, 0xff00
	v_mov_b32_e32 v31, 0xff
	s_mov_b32 s16, 0xc060c00
.LBB271_3:                              ; =>This Loop Header: Depth=1
                                        ;     Child Loop BB271_4 Depth 2
	v_add_u32_e32 v14, v26, v27
	v_mad_i64_i32 v[16:17], s[18:19], v14, s12, v[12:13]
	v_lshl_add_u64 v[14:15], v[16:17], 0, v[2:3]
	global_load_ubyte v33, v[14:15], off offset:66
	v_lshlrev_b32_e32 v14, 3, v26
	v_mad_i64_i32 v[14:15], s[18:19], v14, 36, v[4:5]
	v_mad_i64_i32 v[18:19], s[18:19], v29, s12, v[8:9]
	;; [unrolled: 1-line block ×3, first 2 shown]
	v_lshl_add_u64 v[22:23], v[14:15], 0, 4
	s_mov_b32 s17, 7
	v_mov_b32_e32 v32, 0
.LBB271_4:                              ;   Parent Loop BB271_3 Depth=1
                                        ; =>  This Inner Loop Header: Depth=2
	global_load_ushort v34, v[20:21], off
	global_load_ubyte v36, v[18:19], off
	s_add_i32 s20, s17, 1
	s_waitcnt vmcnt(2)
	v_lshlrev_b32_e32 v37, s20, v33
	v_lshlrev_b32_e32 v35, s17, v33
	s_getpc_b64 s[18:19]
	s_add_u32 s18, s18, _ZL10iq3xs_grid@rel32@lo+4
	s_addc_u32 s19, s19, _ZL10iq3xs_grid@rel32@hi+12
	s_add_i32 s17, s17, -2
	v_lshl_add_u64 v[18:19], v[18:19], 0, 1
	v_lshl_add_u64 v[20:21], v[20:21], 0, 2
	s_cmp_lg_u32 s17, -1
	s_waitcnt vmcnt(1)
	v_and_b32_e32 v38, 0xff, v34
	v_lshrrev_b16_e32 v34, 8, v34
	v_and_or_b32 v37, v37, s4, v38
	v_and_or_b32 v34, v35, s4, v34
	v_lshlrev_b32_e32 v37, 2, v37
	v_lshlrev_b32_e32 v38, 2, v34
	global_load_dword v39, v37, s[18:19]
	global_load_dword v40, v38, s[18:19]
	global_load_dwordx2 v[34:35], v[22:23], off
	s_waitcnt vmcnt(3)
	v_and_b32_e32 v37, 15, v36
	v_lshrrev_b16_e32 v36, 4, v36
	v_mul_lo_u32 v36, v36, s7
	v_bitop3_b32 v38, v36, s9, v36 bitop3:0xc
	v_bitop3_b32 v41, v36, s14, v36 bitop3:0xc
	v_cmp_gt_u32_e32 vcc, s13, v38
	v_and_b32_e32 v37, 0xffff, v37
	v_bitop3_b32 v42, v36, s15, v36 bitop3:0xc
	v_cndmask_b32_e64 v38, 0, -1, vcc
	v_cmp_eq_u32_e32 vcc, 0, v41
	v_mul_lo_u32 v37, v37, s7
	v_bitop3_b32 v36, v36, 1, v36 bitop3:0xc
	v_cndmask_b32_e32 v41, 0, v0, vcc
	v_cmp_eq_u32_e32 vcc, 0, v42
	v_bitop3_b32 v43, v37, s9, v37 bitop3:0xc
	v_bitop3_b32 v44, v37, s14, v37 bitop3:0xc
	v_cndmask_b32_e32 v42, 0, v30, vcc
	v_cmp_eq_u32_e32 vcc, 0, v36
	v_bitop3_b32 v45, v37, s15, v37 bitop3:0xc
	v_bitop3_b32 v37, v37, 1, v37 bitop3:0xc
	v_cndmask_b32_e32 v36, 0, v31, vcc
	v_cmp_gt_u32_e32 vcc, s13, v43
	v_lshlrev_b32_e32 v38, 24, v38
	v_or3_b32 v46, v42, v36, v41
	v_cndmask_b32_e64 v43, 0, -1, vcc
	v_cmp_eq_u32_e32 vcc, 0, v44
	v_lshlrev_b32_e32 v43, 24, v43
	v_lshl_add_u64 v[22:23], v[22:23], 0, 8
	v_cndmask_b32_e32 v44, 0, v0, vcc
	v_cmp_eq_u32_e32 vcc, 0, v45
	s_waitcnt vmcnt(1)
	v_bitop3_b32 v40, v46, v40, v38 bitop3:0x36
	v_cndmask_b32_e32 v45, 0, v30, vcc
	v_cmp_eq_u32_e32 vcc, 0, v37
	v_sub_u32_e32 v38, v40, v38
	v_sub_u32_e32 v36, v40, v36
	v_cndmask_b32_e32 v37, 0, v31, vcc
	v_or3_b32 v47, v45, v37, v44
	v_bitop3_b32 v39, v47, v39, v43 bitop3:0x36
	v_sub_u32_e32 v43, v39, v43
	v_sub_u32_e32 v44, v39, v44
	;; [unrolled: 1-line block ×6, first 2 shown]
	v_and_b32_e32 v40, 0xff000000, v43
	v_and_b32_e32 v42, 0xff00, v45
	v_perm_b32 v37, v44, v37, s16
	v_and_b32_e32 v38, 0xff000000, v38
	v_and_b32_e32 v41, 0xff00, v41
	v_perm_b32 v36, v39, v36, s16
	v_or3_b32 v37, v37, v40, v42
	v_or3_b32 v36, v36, v38, v41
	s_waitcnt vmcnt(0)
	v_dot4c_i32_i8_e32 v32, v37, v34
	v_dot4c_i32_i8_e32 v32, v36, v35
	s_cbranch_scc1 .LBB271_4
; %bb.5:                                ;   in Loop: Header=BB271_3 Depth=1
	global_load_ushort v18, v[16:17], off
	v_lshl_add_u64 v[16:17], v[16:17], 0, v[6:7]
	global_load_dword v19, v[14:15], off
	global_load_ubyte v20, v[16:17], off offset:106
	v_cvt_f32_i32_e32 v14, v32
	v_add_u32_e32 v26, 8, v26
	v_cmp_le_u32_e32 vcc, s5, v26
	s_or_b64 s[0:1], vcc, s[0:1]
	v_add_u32_e32 v29, 8, v29
	s_waitcnt vmcnt(2)
	v_cvt_f32_f16_e32 v15, v18
	s_waitcnt vmcnt(1)
	v_cvt_f32_f16_e32 v16, v19
	s_waitcnt vmcnt(0)
	v_bfe_u32 v17, v20, v28, 4
	v_cvt_f32_ubyte0_e32 v17, v17
	v_add_f32_e32 v17, 0.5, v17
	v_mul_f32_e32 v15, v17, v15
	v_mul_f32_e32 v15, v15, v16
	v_mul_f32_e32 v15, 0.5, v15
	v_fmac_f32_e32 v1, v15, v14
	s_andn2_b64 exec, exec, s[0:1]
	s_cbranch_execnz .LBB271_3
; %bb.6:
	s_or_b64 exec, exec, s[0:1]
.LBB271_7:
	s_or_b64 exec, exec, s[10:11]
	v_mbcnt_lo_u32_b32 v0, -1, 0
	v_mbcnt_hi_u32_b32 v2, -1, v0
	v_and_b32_e32 v0, 64, v2
	v_add_u32_e32 v3, 64, v0
	v_xor_b32_e32 v0, 32, v2
	v_cmp_lt_i32_e32 vcc, v0, v3
	v_xor_b32_e32 v4, 16, v2
	s_nop 0
	v_cndmask_b32_e32 v0, v2, v0, vcc
	v_lshlrev_b32_e32 v0, 2, v0
	ds_bpermute_b32 v0, v0, v1
	v_cmp_lt_i32_e32 vcc, v4, v3
	s_waitcnt lgkmcnt(0)
	v_add_f32_e32 v0, v1, v0
	v_cndmask_b32_e32 v1, v2, v4, vcc
	v_lshlrev_b32_e32 v1, 2, v1
	ds_bpermute_b32 v1, v1, v0
	v_xor_b32_e32 v4, 8, v2
	v_cmp_lt_i32_e32 vcc, v4, v3
	s_waitcnt lgkmcnt(0)
	v_add_f32_e32 v0, v0, v1
	v_cndmask_b32_e32 v1, v2, v4, vcc
	v_lshlrev_b32_e32 v1, 2, v1
	ds_bpermute_b32 v1, v1, v0
	v_xor_b32_e32 v4, 4, v2
	v_cmp_lt_i32_e32 vcc, v4, v3
	s_waitcnt lgkmcnt(0)
	v_add_f32_e32 v0, v0, v1
	v_cndmask_b32_e32 v1, v2, v4, vcc
	v_lshlrev_b32_e32 v1, 2, v1
	ds_bpermute_b32 v1, v1, v0
	v_xor_b32_e32 v4, 2, v2
	v_cmp_lt_i32_e32 vcc, v4, v3
	s_waitcnt lgkmcnt(0)
	v_add_f32_e32 v0, v0, v1
	v_cndmask_b32_e32 v1, v2, v4, vcc
	v_lshlrev_b32_e32 v1, 2, v1
	ds_bpermute_b32 v1, v1, v0
	v_xor_b32_e32 v4, 1, v2
	v_cmp_lt_i32_e32 vcc, v4, v3
	s_waitcnt lgkmcnt(0)
	v_add_f32_e32 v0, v0, v1
	v_cndmask_b32_e32 v1, v2, v4, vcc
	v_lshlrev_b32_e32 v1, 2, v1
	ds_bpermute_b32 v1, v1, v0
	v_cmp_eq_u32_e32 vcc, 0, v25
	s_and_b64 exec, exec, vcc
	s_cbranch_execz .LBB271_9
; %bb.8:
	s_waitcnt lgkmcnt(0)
	v_add_f32_e32 v0, v0, v1
	v_cvt_f16_f32_e32 v2, v0
	s_mul_i32 s0, s6, s8
	v_add_u32_e32 v0, s0, v24
	v_mov_b32_e32 v1, 0
	v_lshl_add_u64 v[0:1], v[0:1], 1, s[2:3]
	global_store_short v[0:1], v2, off
.LBB271_9:
	s_endpgm
	.section	.rodata,"a",@progbits
	.p2align	6, 0x0
	.amdhsa_kernel _ZL9moe_vec_qIN3c104HalfELi256ELi8E11block_iq3_sLi1EXadL_ZL18vec_dot_iq3_s_q8_1PKvPK10block_q8_1RKiEEEvS4_S4_PT_PS8_iiii
		.amdhsa_group_segment_fixed_size 0
		.amdhsa_private_segment_fixed_size 0
		.amdhsa_kernarg_size 304
		.amdhsa_user_sgpr_count 2
		.amdhsa_user_sgpr_dispatch_ptr 0
		.amdhsa_user_sgpr_queue_ptr 0
		.amdhsa_user_sgpr_kernarg_segment_ptr 1
		.amdhsa_user_sgpr_dispatch_id 0
		.amdhsa_user_sgpr_kernarg_preload_length 0
		.amdhsa_user_sgpr_kernarg_preload_offset 0
		.amdhsa_user_sgpr_private_segment_size 0
		.amdhsa_uses_dynamic_stack 0
		.amdhsa_enable_private_segment 0
		.amdhsa_system_sgpr_workgroup_id_x 1
		.amdhsa_system_sgpr_workgroup_id_y 0
		.amdhsa_system_sgpr_workgroup_id_z 1
		.amdhsa_system_sgpr_workgroup_info 0
		.amdhsa_system_vgpr_workitem_id 1
		.amdhsa_next_free_vgpr 48
		.amdhsa_next_free_sgpr 21
		.amdhsa_accum_offset 48
		.amdhsa_reserve_vcc 1
		.amdhsa_float_round_mode_32 0
		.amdhsa_float_round_mode_16_64 0
		.amdhsa_float_denorm_mode_32 3
		.amdhsa_float_denorm_mode_16_64 3
		.amdhsa_dx10_clamp 1
		.amdhsa_ieee_mode 1
		.amdhsa_fp16_overflow 0
		.amdhsa_tg_split 0
		.amdhsa_exception_fp_ieee_invalid_op 0
		.amdhsa_exception_fp_denorm_src 0
		.amdhsa_exception_fp_ieee_div_zero 0
		.amdhsa_exception_fp_ieee_overflow 0
		.amdhsa_exception_fp_ieee_underflow 0
		.amdhsa_exception_fp_ieee_inexact 0
		.amdhsa_exception_int_div_zero 0
	.end_amdhsa_kernel
	.section	.text._ZL9moe_vec_qIN3c104HalfELi256ELi8E11block_iq3_sLi1EXadL_ZL18vec_dot_iq3_s_q8_1PKvPK10block_q8_1RKiEEEvS4_S4_PT_PS8_iiii,"axG",@progbits,_ZL9moe_vec_qIN3c104HalfELi256ELi8E11block_iq3_sLi1EXadL_ZL18vec_dot_iq3_s_q8_1PKvPK10block_q8_1RKiEEEvS4_S4_PT_PS8_iiii,comdat
.Lfunc_end271:
	.size	_ZL9moe_vec_qIN3c104HalfELi256ELi8E11block_iq3_sLi1EXadL_ZL18vec_dot_iq3_s_q8_1PKvPK10block_q8_1RKiEEEvS4_S4_PT_PS8_iiii, .Lfunc_end271-_ZL9moe_vec_qIN3c104HalfELi256ELi8E11block_iq3_sLi1EXadL_ZL18vec_dot_iq3_s_q8_1PKvPK10block_q8_1RKiEEEvS4_S4_PT_PS8_iiii
                                        ; -- End function
	.set _ZL9moe_vec_qIN3c104HalfELi256ELi8E11block_iq3_sLi1EXadL_ZL18vec_dot_iq3_s_q8_1PKvPK10block_q8_1RKiEEEvS4_S4_PT_PS8_iiii.num_vgpr, 48
	.set _ZL9moe_vec_qIN3c104HalfELi256ELi8E11block_iq3_sLi1EXadL_ZL18vec_dot_iq3_s_q8_1PKvPK10block_q8_1RKiEEEvS4_S4_PT_PS8_iiii.num_agpr, 0
	.set _ZL9moe_vec_qIN3c104HalfELi256ELi8E11block_iq3_sLi1EXadL_ZL18vec_dot_iq3_s_q8_1PKvPK10block_q8_1RKiEEEvS4_S4_PT_PS8_iiii.numbered_sgpr, 21
	.set _ZL9moe_vec_qIN3c104HalfELi256ELi8E11block_iq3_sLi1EXadL_ZL18vec_dot_iq3_s_q8_1PKvPK10block_q8_1RKiEEEvS4_S4_PT_PS8_iiii.num_named_barrier, 0
	.set _ZL9moe_vec_qIN3c104HalfELi256ELi8E11block_iq3_sLi1EXadL_ZL18vec_dot_iq3_s_q8_1PKvPK10block_q8_1RKiEEEvS4_S4_PT_PS8_iiii.private_seg_size, 0
	.set _ZL9moe_vec_qIN3c104HalfELi256ELi8E11block_iq3_sLi1EXadL_ZL18vec_dot_iq3_s_q8_1PKvPK10block_q8_1RKiEEEvS4_S4_PT_PS8_iiii.uses_vcc, 1
	.set _ZL9moe_vec_qIN3c104HalfELi256ELi8E11block_iq3_sLi1EXadL_ZL18vec_dot_iq3_s_q8_1PKvPK10block_q8_1RKiEEEvS4_S4_PT_PS8_iiii.uses_flat_scratch, 0
	.set _ZL9moe_vec_qIN3c104HalfELi256ELi8E11block_iq3_sLi1EXadL_ZL18vec_dot_iq3_s_q8_1PKvPK10block_q8_1RKiEEEvS4_S4_PT_PS8_iiii.has_dyn_sized_stack, 0
	.set _ZL9moe_vec_qIN3c104HalfELi256ELi8E11block_iq3_sLi1EXadL_ZL18vec_dot_iq3_s_q8_1PKvPK10block_q8_1RKiEEEvS4_S4_PT_PS8_iiii.has_recursion, 0
	.set _ZL9moe_vec_qIN3c104HalfELi256ELi8E11block_iq3_sLi1EXadL_ZL18vec_dot_iq3_s_q8_1PKvPK10block_q8_1RKiEEEvS4_S4_PT_PS8_iiii.has_indirect_call, 0
	.section	.AMDGPU.csdata,"",@progbits
; Kernel info:
; codeLenInByte = 1416
; TotalNumSgprs: 27
; NumVgprs: 48
; NumAgprs: 0
; TotalNumVgprs: 48
; ScratchSize: 0
; MemoryBound: 0
; FloatMode: 240
; IeeeMode: 1
; LDSByteSize: 0 bytes/workgroup (compile time only)
; SGPRBlocks: 3
; VGPRBlocks: 5
; NumSGPRsForWavesPerEU: 27
; NumVGPRsForWavesPerEU: 48
; AccumOffset: 48
; Occupancy: 8
; WaveLimiterHint : 1
; COMPUTE_PGM_RSRC2:SCRATCH_EN: 0
; COMPUTE_PGM_RSRC2:USER_SGPR: 2
; COMPUTE_PGM_RSRC2:TRAP_HANDLER: 0
; COMPUTE_PGM_RSRC2:TGID_X_EN: 1
; COMPUTE_PGM_RSRC2:TGID_Y_EN: 0
; COMPUTE_PGM_RSRC2:TGID_Z_EN: 1
; COMPUTE_PGM_RSRC2:TIDIG_COMP_CNT: 1
; COMPUTE_PGM_RSRC3_GFX90A:ACCUM_OFFSET: 11
; COMPUTE_PGM_RSRC3_GFX90A:TG_SPLIT: 0
	.section	.text._ZL9moe_vec_qIN3c104HalfELi256ELi8E11block_iq2_sLi1EXadL_ZL18vec_dot_iq2_s_q8_1PKvPK10block_q8_1RKiEEEvS4_S4_PT_PS8_iiii,"axG",@progbits,_ZL9moe_vec_qIN3c104HalfELi256ELi8E11block_iq2_sLi1EXadL_ZL18vec_dot_iq2_s_q8_1PKvPK10block_q8_1RKiEEEvS4_S4_PT_PS8_iiii,comdat
	.globl	_ZL9moe_vec_qIN3c104HalfELi256ELi8E11block_iq2_sLi1EXadL_ZL18vec_dot_iq2_s_q8_1PKvPK10block_q8_1RKiEEEvS4_S4_PT_PS8_iiii ; -- Begin function _ZL9moe_vec_qIN3c104HalfELi256ELi8E11block_iq2_sLi1EXadL_ZL18vec_dot_iq2_s_q8_1PKvPK10block_q8_1RKiEEEvS4_S4_PT_PS8_iiii
	.p2align	8
	.type	_ZL9moe_vec_qIN3c104HalfELi256ELi8E11block_iq2_sLi1EXadL_ZL18vec_dot_iq2_s_q8_1PKvPK10block_q8_1RKiEEEvS4_S4_PT_PS8_iiii,@function
_ZL9moe_vec_qIN3c104HalfELi256ELi8E11block_iq2_sLi1EXadL_ZL18vec_dot_iq2_s_q8_1PKvPK10block_q8_1RKiEEEvS4_S4_PT_PS8_iiii: ; @_ZL9moe_vec_qIN3c104HalfELi256ELi8E11block_iq2_sLi1EXadL_ZL18vec_dot_iq2_s_q8_1PKvPK10block_q8_1RKiEEEvS4_S4_PT_PS8_iiii
; %bb.0:
	s_mov_b32 s8, s3
	s_load_dword s3, s[0:1], 0x3c
	s_load_dwordx4 s[4:7], s[0:1], 0x20
	v_bfe_u32 v1, v0, 10, 10
	s_waitcnt lgkmcnt(0)
	s_lshr_b32 s3, s3, 16
	s_mul_i32 s2, s2, s3
	v_add_u32_e32 v14, s2, v1
	v_cmp_gt_u32_e32 vcc, s6, v14
	s_and_saveexec_b64 s[2:3], vcc
	s_cbranch_execz .LBB272_7
; %bb.1:
	s_load_dwordx2 s[2:3], s[0:1], 0x10
	s_ashr_i32 s9, s5, 31
	s_lshr_b32 s9, s9, 24
	s_add_i32 s5, s5, s9
	s_ashr_i32 s12, s5, 8
	v_bfe_u32 v16, v0, 3, 7
	v_and_b32_e32 v15, 0x3ff, v0
	v_cmp_gt_u32_e32 vcc, s12, v16
	v_mov_b32_e32 v17, 0
	s_and_saveexec_b64 s[10:11], vcc
	s_cbranch_execz .LBB272_5
; %bb.2:
	s_load_dwordx2 s[14:15], s[0:1], 0x18
	v_cvt_f32_u32_e32 v0, s4
	s_mov_b32 s9, 0
	s_lshl_b64 s[16:17], s[8:9], 2
	v_mov_b32_e32 v1, 0
	s_waitcnt lgkmcnt(0)
	s_add_u32 s14, s14, s16
	v_rcp_iflag_f32_e32 v0, v0
	s_addc_u32 s15, s15, s17
	s_load_dword s5, s[14:15], 0x0
	s_load_dwordx4 s[16:19], s[0:1], 0x0
	s_mul_i32 s0, s12, s6
	v_mul_f32_e32 v0, 0x4f7ffffe, v0
	v_cvt_u32_f32_e32 v0, v0
	s_waitcnt lgkmcnt(0)
	s_mul_i32 s0, s0, s5
	s_mul_hi_i32 s1, s0, 0x52
	s_mulk_i32 s0, 0x52
	s_add_u32 s0, s16, s0
	s_addc_u32 s1, s17, s1
	s_sub_i32 s5, 0, s4
	v_readfirstlane_b32 s14, v0
	s_mul_i32 s5, s5, s14
	s_mul_hi_u32 s5, s14, s5
	s_add_i32 s14, s14, s5
	s_mul_hi_u32 s5, s8, s14
	s_mul_i32 s14, s5, s4
	s_sub_i32 s14, s8, s14
	s_add_i32 s15, s5, 1
	s_sub_i32 s16, s14, s4
	s_cmp_ge_u32 s14, s4
	s_cselect_b32 s5, s15, s5
	s_cselect_b32 s14, s16, s14
	s_add_i32 s15, s5, 1
	s_cmp_ge_u32 s14, s4
	s_cselect_b32 s4, s15, s5
	s_mul_i32 s4, s4, s7
	s_mov_b32 s5, s9
	s_lshl_b64 s[4:5], s[4:5], 2
	s_add_u32 s4, s18, s4
	s_addc_u32 s5, s19, s5
	v_and_b32_e32 v0, 7, v15
	v_mad_u64_u32 v[2:3], s[4:5], v0, 36, s[4:5]
	s_movk_i32 s13, 0x52
	v_mul_lo_u32 v18, v14, s12
	v_lshlrev_b32_e32 v4, 2, v0
	v_mov_b32_e32 v5, v1
	v_lshlrev_b32_e32 v19, 3, v16
	s_mov_b64 s[4:5], 0
	v_mov_b64_e32 v[6:7], s[0:1]
	s_movk_i32 s7, 0x300
	s_mov_b32 s9, 0x1010101
	s_mov_b32 s14, 0x8040201
	;; [unrolled: 1-line block ×4, first 2 shown]
	v_mov_b32_e32 v20, 0xff0000
	s_movk_i32 s17, 0x200
	v_mov_b32_e32 v21, 0xff00
	v_mov_b32_e32 v22, 0xff
	s_mov_b32 s18, 0xc060c00
	v_mov_b32_e32 v23, 4
	v_mov_b32_e32 v17, v1
.LBB272_3:                              ; =>This Inner Loop Header: Depth=1
	v_add_u32_e32 v8, v18, v16
	v_mad_i64_i32 v[8:9], s[20:21], v8, s13, v[6:7]
	v_lshl_add_u64 v[10:11], v[8:9], 0, v[4:5]
	v_lshl_add_u64 v[12:13], v[8:9], 0, v[0:1]
	global_load_ushort v28, v[8:9], off
	global_load_dword v24, v[10:11], off offset:2
	global_load_ubyte v25, v[12:13], off offset:66
	global_load_dword v26, v[10:11], off offset:34
	global_load_ubyte v27, v[12:13], off offset:74
	s_getpc_b64 s[0:1]
	s_add_u32 s0, s0, _ZL9iq2s_grid@rel32@lo+4
	s_addc_u32 s1, s1, _ZL9iq2s_grid@rel32@hi+12
	v_add_u32_e32 v16, 8, v16
	s_waitcnt vmcnt(4)
	v_cvt_f32_f16_e32 v28, v28
	s_waitcnt vmcnt(3)
	v_and_b32_e32 v9, 0xff, v24
	s_waitcnt vmcnt(2)
	v_lshlrev_b32_e32 v10, 8, v25
	s_waitcnt vmcnt(1)
	v_and_b32_e32 v12, 15, v26
	v_lshrrev_b32_e32 v8, 24, v24
	v_bfe_u32 v29, v24, 8, 8
	v_bfe_u32 v24, v24, 16, 8
	v_lshlrev_b32_e32 v32, 4, v25
	v_and_or_b32 v9, v10, s7, v9
	v_mul_lo_u32 v10, v12, s9
	v_lshrrev_b16_e32 v13, 4, v26
	v_lshlrev_b32_e32 v30, 6, v25
	v_bfe_u32 v33, v26, 16, 4
	v_and_or_b32 v24, v32, s7, v24
	v_bitop3_b32 v32, v10, s14, v10 bitop3:0xc
	v_bfe_u32 v31, v26, 8, 4
	v_bfe_u32 v34, v26, 20, 4
	v_lshlrev_b32_e32 v25, 2, v25
	v_and_b32_e32 v12, 15, v13
	v_and_or_b32 v13, v30, s7, v29
	v_mul_lo_u32 v30, v33, s9
	v_bitop3_b32 v33, v10, s16, v10 bitop3:0xc
	v_cmp_gt_u32_e32 vcc, s15, v32
	v_lshrrev_b32_e32 v11, 8, v26
	v_mul_lo_u32 v29, v31, s9
	v_mul_lo_u32 v31, v34, s9
	v_and_or_b32 v8, v25, s7, v8
	v_lshlrev_b32_e32 v9, 3, v9
	v_bitop3_b32 v34, v10, s17, v10 bitop3:0xc
	v_cndmask_b32_e64 v32, 0, -1, vcc
	v_cmp_eq_u32_e32 vcc, 0, v33
	v_lshrrev_b16_e32 v11, 4, v11
	v_bitop3_b32 v10, v10, 1, v10 bitop3:0xc
	v_lshlrev_b32_e32 v13, 3, v13
	v_lshlrev_b32_e32 v45, 3, v8
	v_cndmask_b32_e32 v33, 0, v20, vcc
	global_load_dwordx2 v[8:9], v9, s[0:1]
	v_cmp_eq_u32_e32 vcc, 0, v34
	v_bfe_u32 v35, v26, 24, 4
	v_and_b32_e32 v12, 0xffff, v12
	v_and_b32_e32 v38, 15, v11
	v_lshlrev_b32_e32 v24, 3, v24
	v_cndmask_b32_e32 v34, 0, v21, vcc
	v_cmp_eq_u32_e32 vcc, 0, v10
	global_load_dwordx2 v[10:11], v13, s[0:1]
	v_mul_lo_u32 v25, v35, s9
	v_mul_lo_u32 v54, v12, s9
	global_load_dwordx2 v[12:13], v24, s[0:1]
	v_bitop3_b32 v46, v25, s14, v25 bitop3:0xc
	v_bitop3_b32 v47, v25, s16, v25 bitop3:0xc
	;; [unrolled: 1-line block ×4, first 2 shown]
	global_load_dwordx2 v[24:25], v45, s[0:1]
	v_bitop3_b32 v35, v29, s14, v29 bitop3:0xc
	v_bitop3_b32 v36, v29, s16, v29 bitop3:0xc
	v_cndmask_b32_e32 v53, 0, v22, vcc
	v_cmp_gt_u32_e32 vcc, s15, v35
	v_bitop3_b32 v37, v29, s17, v29 bitop3:0xc
	v_bitop3_b32 v29, v29, 1, v29 bitop3:0xc
	v_cndmask_b32_e64 v35, 0, -1, vcc
	v_cmp_eq_u32_e32 vcc, 0, v36
	v_bitop3_b32 v39, v30, s14, v30 bitop3:0xc
	v_bitop3_b32 v40, v30, s16, v30 bitop3:0xc
	v_cndmask_b32_e32 v36, 0, v20, vcc
	v_cmp_eq_u32_e32 vcc, 0, v37
	v_bitop3_b32 v41, v30, s17, v30 bitop3:0xc
	v_bitop3_b32 v30, v30, 1, v30 bitop3:0xc
	v_cndmask_b32_e32 v37, 0, v21, vcc
	;; [unrolled: 4-line block ×3, first 2 shown]
	v_cmp_gt_u32_e32 vcc, s15, v39
	v_bitop3_b32 v44, v31, s17, v31 bitop3:0xc
	v_bitop3_b32 v31, v31, 1, v31 bitop3:0xc
	v_cndmask_b32_e64 v39, 0, -1, vcc
	v_cmp_eq_u32_e32 vcc, 0, v40
	v_lshrrev_b16_sdwa v26, v23, v26 dst_sel:DWORD dst_unused:UNUSED_PAD src0_sel:DWORD src1_sel:BYTE_3
	v_mul_lo_u32 v26, v26, s9
	v_cndmask_b32_e32 v40, 0, v20, vcc
	v_cmp_eq_u32_e32 vcc, 0, v41
	v_bitop3_b32 v50, v26, s14, v26 bitop3:0xc
	v_bitop3_b32 v51, v26, s16, v26 bitop3:0xc
	v_cndmask_b32_e32 v41, 0, v21, vcc
	v_cmp_eq_u32_e32 vcc, 0, v30
	v_bitop3_b32 v52, v26, s17, v26 bitop3:0xc
	v_bitop3_b32 v26, v26, 1, v26 bitop3:0xc
	v_cndmask_b32_e32 v30, 0, v22, vcc
	v_cmp_gt_u32_e32 vcc, s15, v42
	v_bitop3_b32 v55, v54, s14, v54 bitop3:0xc
	v_and_b32_e32 v38, 0xffff, v38
	v_cndmask_b32_e64 v42, 0, -1, vcc
	v_cmp_eq_u32_e32 vcc, 0, v43
	v_bitop3_b32 v56, v54, s16, v54 bitop3:0xc
	v_bitop3_b32 v57, v54, s17, v54 bitop3:0xc
	v_cndmask_b32_e32 v43, 0, v20, vcc
	v_cmp_eq_u32_e32 vcc, 0, v44
	v_mul_lo_u32 v38, v38, s9
	v_bitop3_b32 v54, v54, 1, v54 bitop3:0xc
	v_cndmask_b32_e32 v44, 0, v21, vcc
	v_cmp_eq_u32_e32 vcc, 0, v31
	v_bitop3_b32 v59, v38, s14, v38 bitop3:0xc
	v_bitop3_b32 v60, v38, s16, v38 bitop3:0xc
	v_cndmask_b32_e32 v31, 0, v22, vcc
	v_cmp_gt_u32_e32 vcc, s15, v46
	v_cmp_gt_u32_e64 s[0:1], s15, v59
	v_bitop3_b32 v61, v38, s17, v38 bitop3:0xc
	v_cndmask_b32_e64 v45, 0, -1, vcc
	v_cmp_eq_u32_e32 vcc, 0, v47
	v_bitop3_b32 v38, v38, 1, v38 bitop3:0xc
	v_cndmask_b32_e64 v59, 0, -1, s[0:1]
	v_cndmask_b32_e32 v46, 0, v20, vcc
	v_cmp_eq_u32_e32 vcc, 0, v48
	v_cmp_eq_u32_e64 s[0:1], 0, v60
	v_lshlrev_b32_e32 v32, 24, v32
	v_cndmask_b32_e32 v47, 0, v21, vcc
	v_cmp_eq_u32_e32 vcc, 0, v49
	v_cndmask_b32_e64 v60, 0, v20, s[0:1]
	v_cmp_eq_u32_e64 s[0:1], 0, v61
	v_cndmask_b32_e32 v48, 0, v22, vcc
	v_cmp_gt_u32_e32 vcc, s15, v50
	v_lshlrev_b32_e32 v35, 24, v35
	v_or3_b32 v58, v37, v29, v36
	v_cndmask_b32_e64 v49, 0, -1, vcc
	v_cmp_eq_u32_e32 vcc, 0, v51
	v_cndmask_b32_e64 v61, 0, v21, s[0:1]
	v_lshlrev_b32_e32 v39, 24, v39
	v_cndmask_b32_e32 v50, 0, v20, vcc
	v_cmp_eq_u32_e32 vcc, 0, v52
	v_or3_b32 v52, v34, v53, v33
	s_waitcnt vmcnt(3)
	v_bitop3_b32 v8, v52, v8, v32 bitop3:0x36
	v_cndmask_b32_e32 v51, 0, v21, vcc
	v_cmp_eq_u32_e32 vcc, 0, v26
	v_lshlrev_b32_e32 v52, 24, v59
	s_waitcnt vmcnt(2)
	v_bitop3_b32 v10, v58, v10, v35 bitop3:0x36
	v_cndmask_b32_e32 v26, 0, v22, vcc
	v_cmp_gt_u32_e32 vcc, s15, v55
	v_or3_b32 v58, v41, v30, v40
	v_lshlrev_b32_e32 v42, 24, v42
	v_cndmask_b32_e64 v55, 0, -1, vcc
	v_cmp_eq_u32_e32 vcc, 0, v56
	v_lshlrev_b32_e32 v55, 24, v55
	v_lshlrev_b32_e32 v45, 24, v45
	v_cndmask_b32_e32 v56, 0, v20, vcc
	v_cmp_eq_u32_e32 vcc, 0, v57
	s_waitcnt vmcnt(1)
	v_bitop3_b32 v58, v58, v12, v39 bitop3:0x36
	v_or3_b32 v12, v47, v48, v46
	v_cndmask_b32_e32 v57, 0, v21, vcc
	v_cmp_eq_u32_e32 vcc, 0, v54
	v_lshlrev_b32_e32 v49, 24, v49
	s_waitcnt vmcnt(0)
	v_bitop3_b32 v62, v12, v24, v45 bitop3:0x36
	v_cndmask_b32_e32 v54, 0, v22, vcc
	v_cmp_eq_u32_e32 vcc, 0, v38
	v_or3_b32 v38, v57, v54, v56
	v_bitop3_b32 v9, v38, v9, v55 bitop3:0x36
	v_cndmask_b32_e32 v38, 0, v22, vcc
	v_or3_b32 v59, v61, v38, v60
	v_bitop3_b32 v11, v59, v11, v52 bitop3:0x36
	v_or3_b32 v59, v44, v31, v43
	v_bitop3_b32 v59, v59, v13, v42 bitop3:0x36
	v_or3_b32 v13, v51, v26, v50
	v_lshrrev_b16_e32 v12, 4, v27
	v_and_b32_e32 v24, 15, v27
	v_bitop3_b32 v63, v13, v25, v49 bitop3:0x36
	v_cvt_f32_ubyte0_e32 v13, v12
	v_cvt_f32_ubyte0_e32 v12, v24
	v_mad_i64_i32 v[24:25], s[0:1], v19, 36, v[2:3]
	v_sub_u32_e32 v32, v8, v32
	v_sub_u32_e32 v33, v8, v33
	;; [unrolled: 1-line block ×16, first 2 shown]
	global_load_dwordx4 v[8:11], v[24:25], off
	v_sub_u32_e32 v39, v58, v39
	v_sub_u32_e32 v40, v58, v40
	;; [unrolled: 1-line block ×8, first 2 shown]
	global_load_dword v58, v[24:25], off offset:32
	v_sub_u32_e32 v59, v63, v26
	global_load_dwordx4 v[24:27], v[24:25], off offset:16
	v_sub_u32_e32 v45, v62, v45
	v_sub_u32_e32 v46, v62, v46
	;; [unrolled: 1-line block ×4, first 2 shown]
	v_perm_b32 v33, v33, v53, s18
	v_perm_b32 v29, v36, v29, s18
	v_and_b32_e32 v39, 0xff000000, v39
	v_and_b32_e32 v41, 0xff00, v41
	v_perm_b32 v30, v40, v30, s18
	v_and_b32_e32 v34, 0xff00, v34
	v_sub_u32_e32 v47, v62, v47
	v_mov_b32_e32 v53, 0
	v_perm_b32 v54, v56, v54, s18
	v_mov_b32_e32 v56, 0
	v_and_b32_e32 v40, 0xff000000, v42
	v_and_b32_e32 v42, 0xff00, v44
	v_perm_b32 v31, v43, v31, s18
	v_and_b32_e32 v43, 0xff000000, v45
	v_perm_b32 v45, v46, v48, s18
	v_and_b32_e32 v46, 0xff000000, v49
	v_and_b32_e32 v49, 0xff00, v57
	v_or3_b32 v30, v30, v39, v41
	v_sub_u32_e32 v50, v63, v50
	v_sub_u32_e32 v51, v63, v51
	v_and_b32_e32 v35, 0xff000000, v35
	v_and_b32_e32 v44, 0xff00, v47
	;; [unrolled: 1-line block ×3, first 2 shown]
	v_or3_b32 v31, v31, v40, v42
	v_and_b32_e32 v52, 0xff000000, v52
	v_perm_b32 v38, v60, v38, s18
	v_and_b32_e32 v47, 0xff00, v51
	v_perm_b32 v48, v50, v59, s18
	v_and_b32_e32 v50, 0xff00, v61
	v_or3_b32 v39, v45, v43, v44
	v_or3_b32 v29, v29, v35, v37
	v_or3_b32 v40, v48, v46, v47
	v_cmp_le_u32_e32 vcc, s12, v16
	v_add_u32_e32 v19, 64, v19
	s_or_b64 s[4:5], vcc, s[4:5]
	s_waitcnt vmcnt(2)
	v_cvt_f32_f16_e32 v36, v8
	v_and_b32_e32 v8, 0xff000000, v32
	v_and_b32_e32 v32, 0xff000000, v55
	v_or3_b32 v8, v33, v8, v34
	v_or3_b32 v32, v54, v32, v49
	v_dot4c_i32_i8_e32 v56, v8, v9
	v_dot4c_i32_i8_e32 v56, v32, v10
	v_or3_b32 v33, v38, v52, v50
	v_dot4c_i32_i8_e32 v56, v29, v11
	v_pk_add_f32 v[10:11], v[12:13], 0.5 op_sel_hi:[1,0]
	v_mul_f32_e32 v12, v28, v36
	s_waitcnt vmcnt(0)
	v_dot4c_i32_i8_e32 v53, v30, v25
	v_dot4c_i32_i8_e32 v53, v31, v26
	;; [unrolled: 1-line block ×5, first 2 shown]
	v_mul_f32_e32 v12, 0x3e800000, v12
	s_nop 0
	v_cvt_f32_i32_e32 v9, v53
	v_cvt_f32_i32_e32 v8, v56
	v_pk_mul_f32 v[8:9], v[10:11], v[8:9]
	s_nop 0
	v_add_f32_e32 v8, v8, v9
	v_fmac_f32_e32 v17, v12, v8
	s_andn2_b64 exec, exec, s[4:5]
	s_cbranch_execnz .LBB272_3
; %bb.4:
	s_or_b64 exec, exec, s[4:5]
.LBB272_5:
	s_or_b64 exec, exec, s[10:11]
	v_mbcnt_lo_u32_b32 v0, -1, 0
	v_mbcnt_hi_u32_b32 v1, -1, v0
	v_and_b32_e32 v0, 64, v1
	v_add_u32_e32 v2, 64, v0
	v_xor_b32_e32 v0, 32, v1
	v_cmp_lt_i32_e32 vcc, v0, v2
	v_xor_b32_e32 v3, 16, v1
	v_xor_b32_e32 v4, 8, v1
	v_cndmask_b32_e32 v0, v1, v0, vcc
	v_lshlrev_b32_e32 v0, 2, v0
	ds_bpermute_b32 v0, v0, v17
	v_cmp_lt_i32_e32 vcc, v3, v2
	s_waitcnt lgkmcnt(0)
	v_add_f32_e32 v0, v17, v0
	v_cndmask_b32_e32 v3, v1, v3, vcc
	v_lshlrev_b32_e32 v3, 2, v3
	ds_bpermute_b32 v3, v3, v0
	v_cmp_lt_i32_e32 vcc, v4, v2
	s_waitcnt lgkmcnt(0)
	v_add_f32_e32 v0, v0, v3
	v_cndmask_b32_e32 v3, v1, v4, vcc
	v_lshlrev_b32_e32 v3, 2, v3
	ds_bpermute_b32 v3, v3, v0
	v_xor_b32_e32 v4, 4, v1
	v_cmp_lt_i32_e32 vcc, v4, v2
	s_waitcnt lgkmcnt(0)
	v_add_f32_e32 v0, v0, v3
	v_cndmask_b32_e32 v3, v1, v4, vcc
	v_lshlrev_b32_e32 v3, 2, v3
	ds_bpermute_b32 v3, v3, v0
	v_xor_b32_e32 v4, 2, v1
	;; [unrolled: 7-line block ×3, first 2 shown]
	v_cmp_lt_i32_e32 vcc, v4, v2
	s_waitcnt lgkmcnt(0)
	v_add_f32_e32 v0, v0, v3
	v_cndmask_b32_e32 v1, v1, v4, vcc
	v_lshlrev_b32_e32 v1, 2, v1
	ds_bpermute_b32 v1, v1, v0
	v_cmp_eq_u32_e32 vcc, 0, v15
	s_and_b64 exec, exec, vcc
	s_cbranch_execz .LBB272_7
; %bb.6:
	s_waitcnt lgkmcnt(0)
	v_add_f32_e32 v0, v0, v1
	v_cvt_f16_f32_e32 v2, v0
	s_mul_i32 s0, s6, s8
	v_add_u32_e32 v0, s0, v14
	v_mov_b32_e32 v1, 0
	v_lshl_add_u64 v[0:1], v[0:1], 1, s[2:3]
	global_store_short v[0:1], v2, off
.LBB272_7:
	s_endpgm
	.section	.rodata,"a",@progbits
	.p2align	6, 0x0
	.amdhsa_kernel _ZL9moe_vec_qIN3c104HalfELi256ELi8E11block_iq2_sLi1EXadL_ZL18vec_dot_iq2_s_q8_1PKvPK10block_q8_1RKiEEEvS4_S4_PT_PS8_iiii
		.amdhsa_group_segment_fixed_size 0
		.amdhsa_private_segment_fixed_size 0
		.amdhsa_kernarg_size 304
		.amdhsa_user_sgpr_count 2
		.amdhsa_user_sgpr_dispatch_ptr 0
		.amdhsa_user_sgpr_queue_ptr 0
		.amdhsa_user_sgpr_kernarg_segment_ptr 1
		.amdhsa_user_sgpr_dispatch_id 0
		.amdhsa_user_sgpr_kernarg_preload_length 0
		.amdhsa_user_sgpr_kernarg_preload_offset 0
		.amdhsa_user_sgpr_private_segment_size 0
		.amdhsa_uses_dynamic_stack 0
		.amdhsa_enable_private_segment 0
		.amdhsa_system_sgpr_workgroup_id_x 1
		.amdhsa_system_sgpr_workgroup_id_y 0
		.amdhsa_system_sgpr_workgroup_id_z 1
		.amdhsa_system_sgpr_workgroup_info 0
		.amdhsa_system_vgpr_workitem_id 1
		.amdhsa_next_free_vgpr 64
		.amdhsa_next_free_sgpr 22
		.amdhsa_accum_offset 64
		.amdhsa_reserve_vcc 1
		.amdhsa_float_round_mode_32 0
		.amdhsa_float_round_mode_16_64 0
		.amdhsa_float_denorm_mode_32 3
		.amdhsa_float_denorm_mode_16_64 3
		.amdhsa_dx10_clamp 1
		.amdhsa_ieee_mode 1
		.amdhsa_fp16_overflow 0
		.amdhsa_tg_split 0
		.amdhsa_exception_fp_ieee_invalid_op 0
		.amdhsa_exception_fp_denorm_src 0
		.amdhsa_exception_fp_ieee_div_zero 0
		.amdhsa_exception_fp_ieee_overflow 0
		.amdhsa_exception_fp_ieee_underflow 0
		.amdhsa_exception_fp_ieee_inexact 0
		.amdhsa_exception_int_div_zero 0
	.end_amdhsa_kernel
	.section	.text._ZL9moe_vec_qIN3c104HalfELi256ELi8E11block_iq2_sLi1EXadL_ZL18vec_dot_iq2_s_q8_1PKvPK10block_q8_1RKiEEEvS4_S4_PT_PS8_iiii,"axG",@progbits,_ZL9moe_vec_qIN3c104HalfELi256ELi8E11block_iq2_sLi1EXadL_ZL18vec_dot_iq2_s_q8_1PKvPK10block_q8_1RKiEEEvS4_S4_PT_PS8_iiii,comdat
.Lfunc_end272:
	.size	_ZL9moe_vec_qIN3c104HalfELi256ELi8E11block_iq2_sLi1EXadL_ZL18vec_dot_iq2_s_q8_1PKvPK10block_q8_1RKiEEEvS4_S4_PT_PS8_iiii, .Lfunc_end272-_ZL9moe_vec_qIN3c104HalfELi256ELi8E11block_iq2_sLi1EXadL_ZL18vec_dot_iq2_s_q8_1PKvPK10block_q8_1RKiEEEvS4_S4_PT_PS8_iiii
                                        ; -- End function
	.set _ZL9moe_vec_qIN3c104HalfELi256ELi8E11block_iq2_sLi1EXadL_ZL18vec_dot_iq2_s_q8_1PKvPK10block_q8_1RKiEEEvS4_S4_PT_PS8_iiii.num_vgpr, 64
	.set _ZL9moe_vec_qIN3c104HalfELi256ELi8E11block_iq2_sLi1EXadL_ZL18vec_dot_iq2_s_q8_1PKvPK10block_q8_1RKiEEEvS4_S4_PT_PS8_iiii.num_agpr, 0
	.set _ZL9moe_vec_qIN3c104HalfELi256ELi8E11block_iq2_sLi1EXadL_ZL18vec_dot_iq2_s_q8_1PKvPK10block_q8_1RKiEEEvS4_S4_PT_PS8_iiii.numbered_sgpr, 22
	.set _ZL9moe_vec_qIN3c104HalfELi256ELi8E11block_iq2_sLi1EXadL_ZL18vec_dot_iq2_s_q8_1PKvPK10block_q8_1RKiEEEvS4_S4_PT_PS8_iiii.num_named_barrier, 0
	.set _ZL9moe_vec_qIN3c104HalfELi256ELi8E11block_iq2_sLi1EXadL_ZL18vec_dot_iq2_s_q8_1PKvPK10block_q8_1RKiEEEvS4_S4_PT_PS8_iiii.private_seg_size, 0
	.set _ZL9moe_vec_qIN3c104HalfELi256ELi8E11block_iq2_sLi1EXadL_ZL18vec_dot_iq2_s_q8_1PKvPK10block_q8_1RKiEEEvS4_S4_PT_PS8_iiii.uses_vcc, 1
	.set _ZL9moe_vec_qIN3c104HalfELi256ELi8E11block_iq2_sLi1EXadL_ZL18vec_dot_iq2_s_q8_1PKvPK10block_q8_1RKiEEEvS4_S4_PT_PS8_iiii.uses_flat_scratch, 0
	.set _ZL9moe_vec_qIN3c104HalfELi256ELi8E11block_iq2_sLi1EXadL_ZL18vec_dot_iq2_s_q8_1PKvPK10block_q8_1RKiEEEvS4_S4_PT_PS8_iiii.has_dyn_sized_stack, 0
	.set _ZL9moe_vec_qIN3c104HalfELi256ELi8E11block_iq2_sLi1EXadL_ZL18vec_dot_iq2_s_q8_1PKvPK10block_q8_1RKiEEEvS4_S4_PT_PS8_iiii.has_recursion, 0
	.set _ZL9moe_vec_qIN3c104HalfELi256ELi8E11block_iq2_sLi1EXadL_ZL18vec_dot_iq2_s_q8_1PKvPK10block_q8_1RKiEEEvS4_S4_PT_PS8_iiii.has_indirect_call, 0
	.section	.AMDGPU.csdata,"",@progbits
; Kernel info:
; codeLenInByte = 2368
; TotalNumSgprs: 28
; NumVgprs: 64
; NumAgprs: 0
; TotalNumVgprs: 64
; ScratchSize: 0
; MemoryBound: 0
; FloatMode: 240
; IeeeMode: 1
; LDSByteSize: 0 bytes/workgroup (compile time only)
; SGPRBlocks: 3
; VGPRBlocks: 7
; NumSGPRsForWavesPerEU: 28
; NumVGPRsForWavesPerEU: 64
; AccumOffset: 64
; Occupancy: 8
; WaveLimiterHint : 1
; COMPUTE_PGM_RSRC2:SCRATCH_EN: 0
; COMPUTE_PGM_RSRC2:USER_SGPR: 2
; COMPUTE_PGM_RSRC2:TRAP_HANDLER: 0
; COMPUTE_PGM_RSRC2:TGID_X_EN: 1
; COMPUTE_PGM_RSRC2:TGID_Y_EN: 0
; COMPUTE_PGM_RSRC2:TGID_Z_EN: 1
; COMPUTE_PGM_RSRC2:TIDIG_COMP_CNT: 1
; COMPUTE_PGM_RSRC3_GFX90A:ACCUM_OFFSET: 15
; COMPUTE_PGM_RSRC3_GFX90A:TG_SPLIT: 0
	.section	.text._ZL9moe_vec_qIN3c104HalfELi256ELi8E12block_iq4_xsLi1EXadL_ZL19vec_dot_iq4_xs_q8_1PKvPK10block_q8_1RKiEEEvS4_S4_PT_PS8_iiii,"axG",@progbits,_ZL9moe_vec_qIN3c104HalfELi256ELi8E12block_iq4_xsLi1EXadL_ZL19vec_dot_iq4_xs_q8_1PKvPK10block_q8_1RKiEEEvS4_S4_PT_PS8_iiii,comdat
	.globl	_ZL9moe_vec_qIN3c104HalfELi256ELi8E12block_iq4_xsLi1EXadL_ZL19vec_dot_iq4_xs_q8_1PKvPK10block_q8_1RKiEEEvS4_S4_PT_PS8_iiii ; -- Begin function _ZL9moe_vec_qIN3c104HalfELi256ELi8E12block_iq4_xsLi1EXadL_ZL19vec_dot_iq4_xs_q8_1PKvPK10block_q8_1RKiEEEvS4_S4_PT_PS8_iiii
	.p2align	8
	.type	_ZL9moe_vec_qIN3c104HalfELi256ELi8E12block_iq4_xsLi1EXadL_ZL19vec_dot_iq4_xs_q8_1PKvPK10block_q8_1RKiEEEvS4_S4_PT_PS8_iiii,@function
_ZL9moe_vec_qIN3c104HalfELi256ELi8E12block_iq4_xsLi1EXadL_ZL19vec_dot_iq4_xs_q8_1PKvPK10block_q8_1RKiEEEvS4_S4_PT_PS8_iiii: ; @_ZL9moe_vec_qIN3c104HalfELi256ELi8E12block_iq4_xsLi1EXadL_ZL19vec_dot_iq4_xs_q8_1PKvPK10block_q8_1RKiEEEvS4_S4_PT_PS8_iiii
; %bb.0:
	s_mov_b32 s8, s3
	s_load_dword s3, s[0:1], 0x3c
	s_load_dwordx4 s[4:7], s[0:1], 0x20
	v_bfe_u32 v1, v0, 10, 10
	s_waitcnt lgkmcnt(0)
	s_lshr_b32 s3, s3, 16
	s_mul_i32 s2, s2, s3
	v_add_u32_e32 v18, s2, v1
	v_cmp_gt_u32_e32 vcc, s6, v18
	s_and_saveexec_b64 s[2:3], vcc
	s_cbranch_execz .LBB273_7
; %bb.1:
	s_load_dwordx2 s[2:3], s[0:1], 0x10
	s_ashr_i32 s9, s5, 31
	s_lshr_b32 s9, s9, 24
	s_add_i32 s5, s5, s9
	s_ashr_i32 s12, s5, 8
	v_bfe_u32 v20, v0, 3, 7
	v_and_b32_e32 v19, 0x3ff, v0
	v_cmp_gt_u32_e32 vcc, s12, v20
	v_mov_b32_e32 v21, 0
	s_and_saveexec_b64 s[10:11], vcc
	s_cbranch_execz .LBB273_5
; %bb.2:
	s_load_dwordx2 s[14:15], s[0:1], 0x18
	v_cvt_f32_u32_e32 v0, s4
	s_mov_b32 s9, 0
	s_lshl_b64 s[16:17], s[8:9], 2
	v_and_b32_e32 v1, 7, v19
	s_waitcnt lgkmcnt(0)
	s_add_u32 s14, s14, s16
	v_rcp_iflag_f32_e32 v0, v0
	s_addc_u32 s15, s15, s17
	s_load_dword s5, s[14:15], 0x0
	s_load_dwordx4 s[16:19], s[0:1], 0x0
	s_mul_i32 s0, s12, s6
	v_mul_f32_e32 v0, 0x4f7ffffe, v0
	v_cvt_u32_f32_e32 v0, v0
	s_waitcnt lgkmcnt(0)
	s_mul_i32 s0, s0, s5
	s_mul_hi_i32 s1, s0, 0x88
	s_mulk_i32 s0, 0x88
	s_add_u32 s14, s16, s0
	s_addc_u32 s15, s17, s1
	s_sub_i32 s0, 0, s4
	v_readfirstlane_b32 s1, v0
	s_mul_i32 s0, s0, s1
	s_mul_hi_u32 s0, s1, s0
	s_add_i32 s1, s1, s0
	s_mul_hi_u32 s0, s8, s1
	s_mul_i32 s1, s0, s4
	s_sub_i32 s1, s8, s1
	s_add_i32 s5, s0, 1
	s_sub_i32 s16, s1, s4
	s_cmp_ge_u32 s1, s4
	s_cselect_b32 s0, s5, s0
	s_cselect_b32 s1, s16, s1
	s_add_i32 s5, s0, 1
	s_cmp_ge_u32 s1, s4
	s_cselect_b32 s0, s5, s0
	s_mul_i32 s0, s0, s7
	s_mov_b32 s1, s9
	s_lshl_b64 s[0:1], s[0:1], 2
	s_add_u32 s0, s18, s0
	s_addc_u32 s1, s19, s1
	v_mad_u64_u32 v[8:9], s[0:1], v1, 36, s[0:1]
	v_lshlrev_b32_e32 v0, 2, v1
	v_mov_b32_e32 v11, 0
	v_lshlrev_b32_e32 v2, 2, v19
	s_movk_i32 s13, 0x88
	v_mul_lo_u32 v22, v18, s12
	v_bfe_u32 v10, v19, 1, 2
	v_and_b32_e32 v23, 4, v2
	v_lshlrev_b32_e32 v24, 1, v1
	v_lshlrev_b32_e32 v25, 3, v20
	s_mov_b64 s[0:1], 0
	v_mov_b64_e32 v[12:13], s[14:15]
	v_lshlrev_b32_e32 v14, 2, v0
	v_mov_b32_e32 v15, v11
	v_mov_b32_e32 v21, v11
.LBB273_3:                              ; =>This Inner Loop Header: Depth=1
	v_add_u32_e32 v0, v22, v20
	v_mad_i64_i32 v[26:27], s[14:15], v0, s13, v[12:13]
	v_lshl_add_u64 v[28:29], v[26:27], 0, v[14:15]
	v_mad_i64_i32 v[16:17], s[4:5], v25, 36, v[8:9]
	v_lshl_add_u64 v[30:31], v[26:27], 0, v[10:11]
	global_load_dwordx4 v[4:7], v[28:29], off offset:8
	global_load_ubyte v32, v[30:31], off offset:4
	global_load_dwordx4 v[0:3], v[16:17], off
	s_getpc_b64 s[4:5]
	s_add_u32 s4, s4, _ZL13kvalues_iq4nl@rel32@lo+4
	s_addc_u32 s5, s5, _ZL13kvalues_iq4nl@rel32@hi+12
	v_add_u32_e32 v20, 8, v20
	v_cmp_le_u32_e32 vcc, s12, v20
	v_add_u32_e32 v25, 64, v25
	s_or_b64 s[0:1], vcc, s[0:1]
	s_waitcnt vmcnt(2)
	v_bfe_u32 v28, v4, 24, 4
	v_and_b32_e32 v29, 15, v4
	v_bfe_u32 v30, v4, 8, 4
	v_bfe_u32 v31, v4, 16, 4
	v_bfe_u32 v33, v4, 20, 4
	v_lshrrev_b32_e32 v34, 28, v4
	v_bfe_u32 v35, v4, 4, 4
	v_bfe_u32 v36, v4, 12, 4
	v_bfe_u32 v37, v5, 24, 4
	v_and_b32_e32 v38, 15, v5
	v_bfe_u32 v39, v5, 8, 4
	v_bfe_u32 v40, v5, 16, 4
	v_bfe_u32 v41, v5, 20, 4
	v_lshrrev_b32_e32 v42, 28, v5
	v_bfe_u32 v43, v5, 4, 4
	v_bfe_u32 v44, v5, 12, 4
	;; [unrolled: 8-line block ×3, first 2 shown]
	v_bfe_u32 v53, v7, 24, 4
	v_bfe_u32 v55, v7, 8, 4
	;; [unrolled: 1-line block ×4, first 2 shown]
	v_lshrrev_b32_e32 v58, 28, v7
	v_and_b32_e32 v54, 15, v7
	v_bfe_u32 v59, v7, 4, 4
	v_bfe_u32 v60, v7, 12, 4
	global_load_dwordx4 v[4:7], v[16:17], off offset:16
	global_load_dword v61, v[26:27], off
	global_load_ubyte v62, v29, s[4:5]
	global_load_ubyte v63, v30, s[4:5]
                                        ; kill: killed $vgpr29
                                        ; kill: killed $vgpr30
                                        ; kill: killed $vgpr26_vgpr27
	s_nop 0
	global_load_ubyte v26, v31, s[4:5]
	global_load_ubyte v27, v35, s[4:5]
	global_load_ubyte v29, v36, s[4:5]
	global_load_ubyte v30, v33, s[4:5]
                                        ; kill: killed $vgpr33
                                        ; kill: killed $vgpr36
                                        ; kill: killed $vgpr31
                                        ; kill: killed $vgpr35
	s_nop 0
	global_load_ubyte v31, v34, s[4:5]
	global_load_ubyte v33, v28, s[4:5]
	global_load_ubyte v35, v38, s[4:5]
	global_load_ubyte v36, v39, s[4:5]
                                        ; kill: killed $vgpr39
                                        ; kill: killed $vgpr38
                                        ; kill: killed $vgpr28
                                        ; kill: killed $vgpr34
	s_nop 0
	global_load_ubyte v28, v40, s[4:5]
	global_load_ubyte v34, v43, s[4:5]
	;; [unrolled: 1-line block ×4, first 2 shown]
                                        ; kill: killed $vgpr44
                                        ; kill: killed $vgpr43
                                        ; kill: killed $vgpr41
                                        ; kill: killed $vgpr40
	s_nop 0
	global_load_ubyte v40, v42, s[4:5]
	global_load_ubyte v41, v37, s[4:5]
	;; [unrolled: 1-line block ×4, first 2 shown]
                                        ; kill: killed $vgpr47
                                        ; kill: killed $vgpr46
                                        ; kill: killed $vgpr42
                                        ; kill: killed $vgpr37
	s_nop 0
	global_load_ubyte v37, v48, s[4:5]
	global_load_ubyte v42, v51, s[4:5]
	;; [unrolled: 1-line block ×4, first 2 shown]
                                        ; kill: killed $vgpr52
                                        ; kill: killed $vgpr51
                                        ; kill: killed $vgpr49
                                        ; kill: killed $vgpr48
	s_nop 0
	global_load_ubyte v48, v50, s[4:5]
	global_load_ubyte v49, v45, s[4:5]
	;; [unrolled: 1-line block ×4, first 2 shown]
                                        ; kill: killed $vgpr50
                                        ; kill: killed $vgpr45
                                        ; kill: killed $vgpr56
                                        ; kill: killed $vgpr55
	s_nop 0
	global_load_ubyte v45, v60, s[4:5]
	global_load_ubyte v50, v57, s[4:5]
	;; [unrolled: 1-line block ×4, first 2 shown]
                                        ; kill: killed $vgpr58
                                        ; kill: killed $vgpr60
                                        ; kill: killed $vgpr53
                                        ; kill: killed $vgpr57
	s_nop 0
	global_load_ubyte v53, v54, s[4:5]
	global_load_ubyte v57, v59, s[4:5]
	global_load_dword v58, v[16:17], off offset:32
	v_mov_b32_e32 v16, 0
	v_mov_b32_e32 v17, 0
	s_waitcnt vmcnt(36)
	v_bfe_u32 v32, v32, v23, 4
	s_waitcnt vmcnt(35)
	v_cvt_f32_f16_e32 v0, v0
	s_waitcnt vmcnt(33)
	v_lshrrev_b32_sdwa v54, v24, v61 dst_sel:DWORD dst_unused:UNUSED_PAD src0_sel:DWORD src1_sel:WORD_1
	v_lshlrev_b32_e32 v54, 4, v54
	s_waitcnt vmcnt(31)
	v_lshl_or_b32 v59, v63, 8, v62
	v_and_or_b32 v32, v54, 48, v32
	v_subrev_u32_e32 v32, 32, v32
	v_cvt_f32_f16_e32 v54, v61
	s_waitcnt vmcnt(30)
	v_lshlrev_b32_e32 v26, 16, v26
	v_cvt_f32_i32_e32 v32, v32
	s_waitcnt vmcnt(28)
	v_lshl_or_b32 v27, v29, 8, v27
	s_waitcnt vmcnt(27)
	v_lshlrev_b32_e32 v30, 16, v30
	s_waitcnt vmcnt(26)
	v_lshlrev_b32_e32 v31, 24, v31
	;; [unrolled: 2-line block ×3, first 2 shown]
	v_or3_b32 v26, v59, v26, v33
	s_waitcnt vmcnt(23)
	v_lshl_or_b32 v35, v36, 8, v35
	v_or3_b32 v27, v27, v30, v31
	v_dot4c_i32_i8_e32 v16, v26, v1
	v_dot4c_i32_i8_e32 v17, v27, v5
	s_waitcnt vmcnt(22)
	v_lshlrev_b32_e32 v28, 16, v28
	s_waitcnt vmcnt(20)
	v_lshl_or_b32 v34, v38, 8, v34
	s_waitcnt vmcnt(19)
	v_lshlrev_b32_e32 v39, 16, v39
	s_waitcnt vmcnt(18)
	v_lshlrev_b32_e32 v36, 24, v40
	;; [unrolled: 2-line block ×3, first 2 shown]
	v_or3_b32 v28, v35, v28, v29
	s_waitcnt vmcnt(15)
	v_lshl_or_b32 v40, v44, 8, v43
	v_or3_b32 v29, v34, v39, v36
	v_dot4c_i32_i8_e32 v16, v28, v2
	v_dot4c_i32_i8_e32 v17, v29, v6
	v_mul_f32_e32 v2, v54, v32
	s_waitcnt vmcnt(14)
	v_lshlrev_b32_e32 v37, 16, v37
	v_mul_f32_e32 v0, v2, v0
	s_waitcnt vmcnt(12)
	v_lshl_or_b32 v42, v46, 8, v42
	s_waitcnt vmcnt(11)
	v_lshlrev_b32_e32 v43, 16, v47
	s_waitcnt vmcnt(10)
	v_lshlrev_b32_e32 v41, 24, v48
	;; [unrolled: 2-line block ×3, first 2 shown]
	v_or3_b32 v30, v40, v37, v38
	s_waitcnt vmcnt(7)
	v_lshlrev_b32_e32 v46, 16, v52
	v_or3_b32 v31, v42, v43, v41
	v_dot4c_i32_i8_e32 v16, v30, v3
	v_dot4c_i32_i8_e32 v17, v31, v7
	s_waitcnt vmcnt(5)
	v_lshlrev_b32_e32 v49, 16, v50
	s_waitcnt vmcnt(4)
	v_lshlrev_b32_e32 v48, 24, v55
	;; [unrolled: 2-line block ×3, first 2 shown]
	s_waitcnt vmcnt(2)
	v_lshl_or_b32 v47, v51, 8, v53
	s_waitcnt vmcnt(1)
	v_lshl_or_b32 v45, v45, 8, v57
	v_or3_b32 v33, v47, v46, v44
	v_or3_b32 v34, v45, v49, v48
	v_dot4c_i32_i8_e32 v16, v33, v4
	s_waitcnt vmcnt(0)
	v_dot4c_i32_i8_e32 v17, v34, v58
	s_nop 2
	v_add_u32_e32 v1, v17, v16
	v_cvt_f32_i32_e32 v1, v1
	v_fmac_f32_e32 v21, v0, v1
	s_andn2_b64 exec, exec, s[0:1]
	s_cbranch_execnz .LBB273_3
; %bb.4:
	s_or_b64 exec, exec, s[0:1]
.LBB273_5:
	s_or_b64 exec, exec, s[10:11]
	v_mbcnt_lo_u32_b32 v0, -1, 0
	v_mbcnt_hi_u32_b32 v1, -1, v0
	v_and_b32_e32 v0, 64, v1
	v_add_u32_e32 v2, 64, v0
	v_xor_b32_e32 v0, 32, v1
	v_cmp_lt_i32_e32 vcc, v0, v2
	v_xor_b32_e32 v3, 16, v1
	v_xor_b32_e32 v4, 8, v1
	v_cndmask_b32_e32 v0, v1, v0, vcc
	v_lshlrev_b32_e32 v0, 2, v0
	ds_bpermute_b32 v0, v0, v21
	v_cmp_lt_i32_e32 vcc, v3, v2
	s_waitcnt lgkmcnt(0)
	v_add_f32_e32 v0, v21, v0
	v_cndmask_b32_e32 v3, v1, v3, vcc
	v_lshlrev_b32_e32 v3, 2, v3
	ds_bpermute_b32 v3, v3, v0
	v_cmp_lt_i32_e32 vcc, v4, v2
	s_waitcnt lgkmcnt(0)
	v_add_f32_e32 v0, v0, v3
	v_cndmask_b32_e32 v3, v1, v4, vcc
	v_lshlrev_b32_e32 v3, 2, v3
	ds_bpermute_b32 v3, v3, v0
	v_xor_b32_e32 v4, 4, v1
	v_cmp_lt_i32_e32 vcc, v4, v2
	s_waitcnt lgkmcnt(0)
	v_add_f32_e32 v0, v0, v3
	v_cndmask_b32_e32 v3, v1, v4, vcc
	v_lshlrev_b32_e32 v3, 2, v3
	ds_bpermute_b32 v3, v3, v0
	v_xor_b32_e32 v4, 2, v1
	;; [unrolled: 7-line block ×3, first 2 shown]
	v_cmp_lt_i32_e32 vcc, v4, v2
	s_waitcnt lgkmcnt(0)
	v_add_f32_e32 v0, v0, v3
	v_cndmask_b32_e32 v1, v1, v4, vcc
	v_lshlrev_b32_e32 v1, 2, v1
	ds_bpermute_b32 v1, v1, v0
	v_cmp_eq_u32_e32 vcc, 0, v19
	s_and_b64 exec, exec, vcc
	s_cbranch_execz .LBB273_7
; %bb.6:
	s_waitcnt lgkmcnt(0)
	v_add_f32_e32 v0, v0, v1
	v_cvt_f16_f32_e32 v2, v0
	s_mul_i32 s0, s6, s8
	v_add_u32_e32 v0, s0, v18
	v_mov_b32_e32 v1, 0
	v_lshl_add_u64 v[0:1], v[0:1], 1, s[2:3]
	global_store_short v[0:1], v2, off
.LBB273_7:
	s_endpgm
	.section	.rodata,"a",@progbits
	.p2align	6, 0x0
	.amdhsa_kernel _ZL9moe_vec_qIN3c104HalfELi256ELi8E12block_iq4_xsLi1EXadL_ZL19vec_dot_iq4_xs_q8_1PKvPK10block_q8_1RKiEEEvS4_S4_PT_PS8_iiii
		.amdhsa_group_segment_fixed_size 0
		.amdhsa_private_segment_fixed_size 0
		.amdhsa_kernarg_size 304
		.amdhsa_user_sgpr_count 2
		.amdhsa_user_sgpr_dispatch_ptr 0
		.amdhsa_user_sgpr_queue_ptr 0
		.amdhsa_user_sgpr_kernarg_segment_ptr 1
		.amdhsa_user_sgpr_dispatch_id 0
		.amdhsa_user_sgpr_kernarg_preload_length 0
		.amdhsa_user_sgpr_kernarg_preload_offset 0
		.amdhsa_user_sgpr_private_segment_size 0
		.amdhsa_uses_dynamic_stack 0
		.amdhsa_enable_private_segment 0
		.amdhsa_system_sgpr_workgroup_id_x 1
		.amdhsa_system_sgpr_workgroup_id_y 0
		.amdhsa_system_sgpr_workgroup_id_z 1
		.amdhsa_system_sgpr_workgroup_info 0
		.amdhsa_system_vgpr_workitem_id 1
		.amdhsa_next_free_vgpr 64
		.amdhsa_next_free_sgpr 20
		.amdhsa_accum_offset 64
		.amdhsa_reserve_vcc 1
		.amdhsa_float_round_mode_32 0
		.amdhsa_float_round_mode_16_64 0
		.amdhsa_float_denorm_mode_32 3
		.amdhsa_float_denorm_mode_16_64 3
		.amdhsa_dx10_clamp 1
		.amdhsa_ieee_mode 1
		.amdhsa_fp16_overflow 0
		.amdhsa_tg_split 0
		.amdhsa_exception_fp_ieee_invalid_op 0
		.amdhsa_exception_fp_denorm_src 0
		.amdhsa_exception_fp_ieee_div_zero 0
		.amdhsa_exception_fp_ieee_overflow 0
		.amdhsa_exception_fp_ieee_underflow 0
		.amdhsa_exception_fp_ieee_inexact 0
		.amdhsa_exception_int_div_zero 0
	.end_amdhsa_kernel
	.section	.text._ZL9moe_vec_qIN3c104HalfELi256ELi8E12block_iq4_xsLi1EXadL_ZL19vec_dot_iq4_xs_q8_1PKvPK10block_q8_1RKiEEEvS4_S4_PT_PS8_iiii,"axG",@progbits,_ZL9moe_vec_qIN3c104HalfELi256ELi8E12block_iq4_xsLi1EXadL_ZL19vec_dot_iq4_xs_q8_1PKvPK10block_q8_1RKiEEEvS4_S4_PT_PS8_iiii,comdat
.Lfunc_end273:
	.size	_ZL9moe_vec_qIN3c104HalfELi256ELi8E12block_iq4_xsLi1EXadL_ZL19vec_dot_iq4_xs_q8_1PKvPK10block_q8_1RKiEEEvS4_S4_PT_PS8_iiii, .Lfunc_end273-_ZL9moe_vec_qIN3c104HalfELi256ELi8E12block_iq4_xsLi1EXadL_ZL19vec_dot_iq4_xs_q8_1PKvPK10block_q8_1RKiEEEvS4_S4_PT_PS8_iiii
                                        ; -- End function
	.set _ZL9moe_vec_qIN3c104HalfELi256ELi8E12block_iq4_xsLi1EXadL_ZL19vec_dot_iq4_xs_q8_1PKvPK10block_q8_1RKiEEEvS4_S4_PT_PS8_iiii.num_vgpr, 64
	.set _ZL9moe_vec_qIN3c104HalfELi256ELi8E12block_iq4_xsLi1EXadL_ZL19vec_dot_iq4_xs_q8_1PKvPK10block_q8_1RKiEEEvS4_S4_PT_PS8_iiii.num_agpr, 0
	.set _ZL9moe_vec_qIN3c104HalfELi256ELi8E12block_iq4_xsLi1EXadL_ZL19vec_dot_iq4_xs_q8_1PKvPK10block_q8_1RKiEEEvS4_S4_PT_PS8_iiii.numbered_sgpr, 20
	.set _ZL9moe_vec_qIN3c104HalfELi256ELi8E12block_iq4_xsLi1EXadL_ZL19vec_dot_iq4_xs_q8_1PKvPK10block_q8_1RKiEEEvS4_S4_PT_PS8_iiii.num_named_barrier, 0
	.set _ZL9moe_vec_qIN3c104HalfELi256ELi8E12block_iq4_xsLi1EXadL_ZL19vec_dot_iq4_xs_q8_1PKvPK10block_q8_1RKiEEEvS4_S4_PT_PS8_iiii.private_seg_size, 0
	.set _ZL9moe_vec_qIN3c104HalfELi256ELi8E12block_iq4_xsLi1EXadL_ZL19vec_dot_iq4_xs_q8_1PKvPK10block_q8_1RKiEEEvS4_S4_PT_PS8_iiii.uses_vcc, 1
	.set _ZL9moe_vec_qIN3c104HalfELi256ELi8E12block_iq4_xsLi1EXadL_ZL19vec_dot_iq4_xs_q8_1PKvPK10block_q8_1RKiEEEvS4_S4_PT_PS8_iiii.uses_flat_scratch, 0
	.set _ZL9moe_vec_qIN3c104HalfELi256ELi8E12block_iq4_xsLi1EXadL_ZL19vec_dot_iq4_xs_q8_1PKvPK10block_q8_1RKiEEEvS4_S4_PT_PS8_iiii.has_dyn_sized_stack, 0
	.set _ZL9moe_vec_qIN3c104HalfELi256ELi8E12block_iq4_xsLi1EXadL_ZL19vec_dot_iq4_xs_q8_1PKvPK10block_q8_1RKiEEEvS4_S4_PT_PS8_iiii.has_recursion, 0
	.set _ZL9moe_vec_qIN3c104HalfELi256ELi8E12block_iq4_xsLi1EXadL_ZL19vec_dot_iq4_xs_q8_1PKvPK10block_q8_1RKiEEEvS4_S4_PT_PS8_iiii.has_indirect_call, 0
	.section	.AMDGPU.csdata,"",@progbits
; Kernel info:
; codeLenInByte = 1696
; TotalNumSgprs: 26
; NumVgprs: 64
; NumAgprs: 0
; TotalNumVgprs: 64
; ScratchSize: 0
; MemoryBound: 0
; FloatMode: 240
; IeeeMode: 1
; LDSByteSize: 0 bytes/workgroup (compile time only)
; SGPRBlocks: 3
; VGPRBlocks: 7
; NumSGPRsForWavesPerEU: 26
; NumVGPRsForWavesPerEU: 64
; AccumOffset: 64
; Occupancy: 8
; WaveLimiterHint : 1
; COMPUTE_PGM_RSRC2:SCRATCH_EN: 0
; COMPUTE_PGM_RSRC2:USER_SGPR: 2
; COMPUTE_PGM_RSRC2:TRAP_HANDLER: 0
; COMPUTE_PGM_RSRC2:TGID_X_EN: 1
; COMPUTE_PGM_RSRC2:TGID_Y_EN: 0
; COMPUTE_PGM_RSRC2:TGID_Z_EN: 1
; COMPUTE_PGM_RSRC2:TIDIG_COMP_CNT: 1
; COMPUTE_PGM_RSRC3_GFX90A:ACCUM_OFFSET: 15
; COMPUTE_PGM_RSRC3_GFX90A:TG_SPLIT: 0
	.section	.text._ZL9moe_vec_qIN3c104HalfELi256ELi8E11block_iq1_mLi1EXadL_ZL18vec_dot_iq1_m_q8_1PKvPK10block_q8_1RKiEEEvS4_S4_PT_PS8_iiii,"axG",@progbits,_ZL9moe_vec_qIN3c104HalfELi256ELi8E11block_iq1_mLi1EXadL_ZL18vec_dot_iq1_m_q8_1PKvPK10block_q8_1RKiEEEvS4_S4_PT_PS8_iiii,comdat
	.globl	_ZL9moe_vec_qIN3c104HalfELi256ELi8E11block_iq1_mLi1EXadL_ZL18vec_dot_iq1_m_q8_1PKvPK10block_q8_1RKiEEEvS4_S4_PT_PS8_iiii ; -- Begin function _ZL9moe_vec_qIN3c104HalfELi256ELi8E11block_iq1_mLi1EXadL_ZL18vec_dot_iq1_m_q8_1PKvPK10block_q8_1RKiEEEvS4_S4_PT_PS8_iiii
	.p2align	8
	.type	_ZL9moe_vec_qIN3c104HalfELi256ELi8E11block_iq1_mLi1EXadL_ZL18vec_dot_iq1_m_q8_1PKvPK10block_q8_1RKiEEEvS4_S4_PT_PS8_iiii,@function
_ZL9moe_vec_qIN3c104HalfELi256ELi8E11block_iq1_mLi1EXadL_ZL18vec_dot_iq1_m_q8_1PKvPK10block_q8_1RKiEEEvS4_S4_PT_PS8_iiii: ; @_ZL9moe_vec_qIN3c104HalfELi256ELi8E11block_iq1_mLi1EXadL_ZL18vec_dot_iq1_m_q8_1PKvPK10block_q8_1RKiEEEvS4_S4_PT_PS8_iiii
; %bb.0:
	s_mov_b32 s8, s3
	s_load_dword s3, s[0:1], 0x3c
	s_load_dwordx4 s[4:7], s[0:1], 0x20
	v_bfe_u32 v1, v0, 10, 10
	s_waitcnt lgkmcnt(0)
	s_lshr_b32 s3, s3, 16
	s_mul_i32 s2, s2, s3
	v_add_u32_e32 v18, s2, v1
	v_cmp_gt_u32_e32 vcc, s6, v18
	s_and_saveexec_b64 s[2:3], vcc
	s_cbranch_execz .LBB274_7
; %bb.1:
	s_load_dwordx2 s[2:3], s[0:1], 0x10
	s_ashr_i32 s9, s5, 31
	s_lshr_b32 s9, s9, 24
	s_add_i32 s5, s5, s9
	s_ashr_i32 s13, s5, 8
	v_bfe_u32 v20, v0, 3, 7
	v_and_b32_e32 v19, 0x3ff, v0
	v_cmp_gt_u32_e32 vcc, s13, v20
	v_mov_b32_e32 v22, 0
	s_and_saveexec_b64 s[10:11], vcc
	s_cbranch_execz .LBB274_5
; %bb.2:
	s_load_dwordx2 s[14:15], s[0:1], 0x18
	v_cvt_f32_u32_e32 v0, s4
	s_mov_b32 s9, 0
	s_lshl_b64 s[16:17], s[8:9], 2
	v_and_b32_e32 v1, 1, v19
	v_rcp_iflag_f32_e32 v0, v0
	s_waitcnt lgkmcnt(0)
	s_add_u32 s14, s14, s16
	s_addc_u32 s15, s15, s17
	s_load_dword s5, s[14:15], 0x0
	s_load_dwordx4 s[16:19], s[0:1], 0x0
	v_mul_f32_e32 v0, 0x4f7ffffe, v0
	s_mul_i32 s0, s13, s6
	v_cvt_u32_f32_e32 v0, v0
	s_waitcnt lgkmcnt(0)
	s_mul_i32 s0, s0, s5
	s_mul_hi_i32 s1, s0, 56
	s_mul_i32 s0, s0, 56
	s_add_u32 s0, s16, s0
	s_addc_u32 s1, s17, s1
	s_sub_i32 s5, 0, s4
	v_readfirstlane_b32 s12, v0
	s_mul_i32 s5, s5, s12
	s_mul_hi_u32 s5, s12, s5
	s_add_i32 s12, s12, s5
	s_mul_hi_u32 s5, s8, s12
	s_mul_i32 s12, s5, s4
	s_sub_i32 s12, s8, s12
	s_add_i32 s14, s5, 1
	s_sub_i32 s15, s12, s4
	s_cmp_ge_u32 s12, s4
	s_cselect_b32 s5, s14, s5
	s_cselect_b32 s12, s15, s12
	s_add_i32 s14, s5, 1
	s_cmp_ge_u32 s12, s4
	s_cselect_b32 s4, s14, s5
	s_mul_i32 s4, s4, s7
	s_mov_b32 s5, s9
	s_lshl_b64 s[4:5], s[4:5], 2
	s_add_u32 s4, s18, s4
	s_addc_u32 s5, s19, s5
	v_and_b32_e32 v0, 7, v19
	v_mov_b32_e32 v9, 0
	v_mad_u64_u32 v[10:11], s[4:5], v0, 36, s[4:5]
	v_bfe_u32 v2, v19, 1, 2
	v_cmp_eq_u32_e32 vcc, 1, v1
	s_mov_b32 s14, 0xbf600000
	v_mul_lo_u32 v21, v18, s13
	v_lshlrev_b32_e32 v8, 1, v0
	v_cndmask_b32_e64 v23, 0, 6, vcc
	v_lshlrev_b32_e32 v24, 3, v20
	s_mov_b64 s[4:5], 0
	v_lshlrev_b32_e32 v12, 2, v0
	v_mov_b32_e32 v13, v9
	s_movk_i32 s7, 0x700
	s_mov_b32 s12, 0x3d000000
	v_mov_b64_e32 v[14:15], s[14:15]
	s_mov_b32 s9, 0x8000c
	s_movk_i32 s16, 0xf0
	v_lshlrev_b32_e32 v16, 1, v2
	v_mov_b32_e32 v17, v9
	v_mov_b32_e32 v25, 8
	v_mov_b32_e32 v26, 4
	v_mov_b32_e32 v22, v9
.LBB274_3:                              ; =>This Inner Loop Header: Depth=1
	v_add_u32_e32 v0, v21, v20
	v_mad_i64_i32 v[28:29], s[14:15], v0, 56, s[0:1]
	v_lshl_add_u64 v[0:1], v[28:29], 0, v[12:13]
	v_lshl_add_u64 v[2:3], v[28:29], 0, v[8:9]
	global_load_dword v27, v[0:1], off
	global_load_ushort v34, v[2:3], off offset:32
	v_mad_i64_i32 v[30:31], s[14:15], v24, 36, v[10:11]
	global_load_dwordx4 v[0:3], v[30:31], off
	global_load_dwordx4 v[4:7], v[30:31], off offset:16
	global_load_dword v38, v[30:31], off offset:32
	v_lshl_add_u64 v[30:31], v[28:29], 0, v[16:17]
	global_load_dwordx2 v[32:33], v[28:29], off offset:48
	global_load_ushort v35, v[30:31], off offset:48
	s_getpc_b64 s[14:15]
	s_add_u32 s14, s14, _ZL13iq1s_grid_gpu@rel32@lo+4
	s_addc_u32 s15, s15, _ZL13iq1s_grid_gpu@rel32@hi+12
	v_mov_b32_e32 v43, 0
	v_add_u32_e32 v20, 8, v20
	v_cmp_le_u32_e32 vcc, s13, v20
	v_add_u32_e32 v24, 64, v24
	s_or_b64 s[4:5], vcc, s[4:5]
	s_waitcnt vmcnt(6)
	v_and_b32_e32 v29, 0xff, v27
	s_waitcnt vmcnt(5)
	v_lshlrev_b32_e32 v30, 8, v34
	v_lshrrev_b32_e32 v28, 24, v27
	v_bfe_u32 v31, v27, 8, 8
	v_lshlrev_b32_e32 v36, 4, v34
	v_bfe_u32 v27, v27, 16, 8
	v_lshlrev_b32_sdwa v37, v25, v34 dst_sel:DWORD dst_unused:UNUSED_PAD src0_sel:DWORD src1_sel:BYTE_1
	v_lshlrev_b32_sdwa v39, v26, v34 dst_sel:DWORD dst_unused:UNUSED_PAD src0_sel:DWORD src1_sel:BYTE_1
	v_and_or_b32 v29, v30, s7, v29
	v_and_or_b32 v30, v36, s7, v31
	;; [unrolled: 1-line block ×4, first 2 shown]
	v_lshlrev_b32_e32 v29, 3, v29
	v_lshlrev_b32_e32 v30, 3, v30
	;; [unrolled: 1-line block ×4, first 2 shown]
	global_load_dword v39, v29, s[14:15]
	global_load_dword v40, v30, s[14:15]
	;; [unrolled: 1-line block ×4, first 2 shown]
	v_mov_b32_e32 v28, 0
	v_mov_b32_e32 v29, 0
	s_waitcnt vmcnt(8)
	v_dot4c_i32_i8_e32 v28, 0x1010101, v1
	v_dot4c_i32_i8_e32 v29, 0x1010101, v3
	v_dot4c_i32_i8_e32 v28, 0x1010101, v2
	s_waitcnt vmcnt(7)
	v_dot4c_i32_i8_e32 v29, 0x1010101, v4
	v_mov_b32_e32 v30, 0
	v_mov_b32_e32 v31, 0
	v_bfe_u32 v36, v34, 4, 4
	v_cvt_f32_i32_e32 v29, v29
	v_cvt_f32_i32_e32 v28, v28
	v_dot4c_i32_i8_e32 v30, 0x1010101, v5
	v_dot4c_i32_i8_e32 v31, 0x1010101, v7
	v_and_b32_sdwa v37, v34, v25 dst_sel:DWORD dst_unused:UNUSED_PAD src0_sel:BYTE_0 src1_sel:DWORD
	s_waitcnt vmcnt(5)
	v_pk_lshrrev_b16 v33, 4, v33
	v_and_b32_e32 v36, 8, v36
	v_dot4c_i32_i8_e32 v30, 0x1010101, v6
	v_dot4c_i32_i8_e32 v31, 0x1010101, v38
	v_pk_lshrrev_b16 v45, s9, v32
	v_cvt_f32_ubyte0_e32 v32, v37
	v_and_b32_e32 v46, 0xf0000f00, v33
	v_cvt_f32_ubyte0_e32 v33, v36
	v_lshrrev_b32_sdwa v44, v26, v34 dst_sel:DWORD dst_unused:UNUSED_PAD src0_sel:DWORD src1_sel:BYTE_1
	v_cvt_f32_i32_e32 v31, v31
	v_cvt_f32_i32_e32 v30, v30
	v_pk_fma_f32 v[32:33], v[32:33], s[12:13], v[14:15] op_sel_hi:[1,0,0] neg_lo:[1,0,0] neg_hi:[1,0,0]
	v_and_b32_sdwa v34, v34, v25 dst_sel:DWORD dst_unused:UNUSED_PAD src0_sel:BYTE_1 src1_sel:DWORD
	s_waitcnt vmcnt(4)
	v_lshrrev_b32_e32 v35, v23, v35
	v_and_b32_e32 v37, 8, v44
	v_pk_mul_f32 v[28:29], v[32:33], v[28:29]
	v_cvt_f32_ubyte0_e32 v34, v34
	v_lshlrev_b32_e32 v47, 1, v35
	v_lshrrev_b32_e32 v48, 2, v35
	v_cvt_f32_ubyte0_e32 v35, v37
	v_add_f32_e32 v28, 0, v28
	v_mov_b32_e32 v27, 0
	v_pk_fma_f32 v[34:35], v[34:35], s[12:13], v[14:15] op_sel_hi:[1,0,0] neg_lo:[1,0,0] neg_hi:[1,0,0]
	v_add_f32_e32 v28, v28, v29
	v_pk_mul_f32 v[30:31], v[34:35], v[30:31]
	v_lshrrev_b32_e32 v44, 16, v45
	v_bitop3_b16 v36, v44, v45, s16 bitop3:0xec
	v_lshrrev_b32_e32 v37, 16, v46
	v_bitop3_b16 v36, v36, v37, v46 bitop3:0xfe
	v_cvt_f32_f16_e32 v0, v0
	v_cvt_f32_f16_e32 v36, v36
	v_and_or_b32 v44, v47, 14, 1
	v_add_f32_e32 v30, 0, v30
	v_and_or_b32 v45, v48, 14, 1
	v_cvt_f32_ubyte0_e32 v37, v44
	v_cvt_f32_ubyte0_e32 v44, v45
	s_waitcnt vmcnt(3)
	v_and_b32_e32 v29, 0xf0f0f0f, v39
	v_lshrrev_b32_e32 v32, 4, v39
	s_waitcnt vmcnt(1)
	v_and_b32_e32 v35, 0xf0f0f0f, v41
	v_lshrrev_b32_e32 v39, 4, v41
	v_and_b32_e32 v32, 0xf0f0f0f, v32
	v_dot4c_i32_i8_e32 v27, v29, v1
	v_and_b32_e32 v33, 0xf0f0f0f, v40
	v_lshrrev_b32_e32 v34, 4, v40
	v_and_b32_e32 v29, 0xf0f0f0f, v39
	v_dot4c_i32_i8_e32 v43, v35, v5
	v_dot4c_i32_i8_e32 v27, v32, v2
	s_waitcnt vmcnt(0)
	v_and_b32_e32 v40, 0xf0f0f0f, v42
	v_lshrrev_b32_e32 v41, 4, v42
	v_and_b32_e32 v1, 0xf0f0f0f, v34
	v_dot4c_i32_i8_e32 v43, v29, v6
	v_dot4c_i32_i8_e32 v27, v33, v3
	v_and_b32_e32 v5, 0xf0f0f0f, v41
	v_dot4c_i32_i8_e32 v43, v40, v7
	v_dot4c_i32_i8_e32 v27, v1, v4
	;; [unrolled: 1-line block ×3, first 2 shown]
	v_add_f32_e32 v3, v30, v31
	s_nop 0
	v_cvt_f32_i32_e32 v1, v27
	v_cvt_f32_i32_e32 v2, v43
	v_add_f32_e32 v1, v28, v1
	v_add_f32_e32 v2, v3, v2
	v_pk_mul_f32 v[0:1], v[0:1], v[36:37]
	s_nop 0
	v_fma_f32 v1, v2, v44, v1
	v_fmac_f32_e32 v22, v0, v1
	s_andn2_b64 exec, exec, s[4:5]
	s_cbranch_execnz .LBB274_3
; %bb.4:
	s_or_b64 exec, exec, s[4:5]
.LBB274_5:
	s_or_b64 exec, exec, s[10:11]
	v_mbcnt_lo_u32_b32 v0, -1, 0
	v_mbcnt_hi_u32_b32 v1, -1, v0
	v_and_b32_e32 v0, 64, v1
	v_add_u32_e32 v2, 64, v0
	v_xor_b32_e32 v0, 32, v1
	v_cmp_lt_i32_e32 vcc, v0, v2
	v_xor_b32_e32 v3, 16, v1
	v_xor_b32_e32 v4, 8, v1
	v_cndmask_b32_e32 v0, v1, v0, vcc
	v_lshlrev_b32_e32 v0, 2, v0
	ds_bpermute_b32 v0, v0, v22
	v_cmp_lt_i32_e32 vcc, v3, v2
	s_waitcnt lgkmcnt(0)
	v_add_f32_e32 v0, v22, v0
	v_cndmask_b32_e32 v3, v1, v3, vcc
	v_lshlrev_b32_e32 v3, 2, v3
	ds_bpermute_b32 v3, v3, v0
	v_cmp_lt_i32_e32 vcc, v4, v2
	s_waitcnt lgkmcnt(0)
	v_add_f32_e32 v0, v0, v3
	v_cndmask_b32_e32 v3, v1, v4, vcc
	v_lshlrev_b32_e32 v3, 2, v3
	ds_bpermute_b32 v3, v3, v0
	v_xor_b32_e32 v4, 4, v1
	v_cmp_lt_i32_e32 vcc, v4, v2
	s_waitcnt lgkmcnt(0)
	v_add_f32_e32 v0, v0, v3
	v_cndmask_b32_e32 v3, v1, v4, vcc
	v_lshlrev_b32_e32 v3, 2, v3
	ds_bpermute_b32 v3, v3, v0
	v_xor_b32_e32 v4, 2, v1
	;; [unrolled: 7-line block ×3, first 2 shown]
	v_cmp_lt_i32_e32 vcc, v4, v2
	s_waitcnt lgkmcnt(0)
	v_add_f32_e32 v0, v0, v3
	v_cndmask_b32_e32 v1, v1, v4, vcc
	v_lshlrev_b32_e32 v1, 2, v1
	ds_bpermute_b32 v1, v1, v0
	v_cmp_eq_u32_e32 vcc, 0, v19
	s_and_b64 exec, exec, vcc
	s_cbranch_execz .LBB274_7
; %bb.6:
	s_waitcnt lgkmcnt(0)
	v_add_f32_e32 v0, v0, v1
	v_cvt_f16_f32_e32 v2, v0
	s_mul_i32 s0, s6, s8
	v_add_u32_e32 v0, s0, v18
	v_mov_b32_e32 v1, 0
	v_lshl_add_u64 v[0:1], v[0:1], 1, s[2:3]
	global_store_short v[0:1], v2, off
.LBB274_7:
	s_endpgm
	.section	.rodata,"a",@progbits
	.p2align	6, 0x0
	.amdhsa_kernel _ZL9moe_vec_qIN3c104HalfELi256ELi8E11block_iq1_mLi1EXadL_ZL18vec_dot_iq1_m_q8_1PKvPK10block_q8_1RKiEEEvS4_S4_PT_PS8_iiii
		.amdhsa_group_segment_fixed_size 0
		.amdhsa_private_segment_fixed_size 0
		.amdhsa_kernarg_size 304
		.amdhsa_user_sgpr_count 2
		.amdhsa_user_sgpr_dispatch_ptr 0
		.amdhsa_user_sgpr_queue_ptr 0
		.amdhsa_user_sgpr_kernarg_segment_ptr 1
		.amdhsa_user_sgpr_dispatch_id 0
		.amdhsa_user_sgpr_kernarg_preload_length 0
		.amdhsa_user_sgpr_kernarg_preload_offset 0
		.amdhsa_user_sgpr_private_segment_size 0
		.amdhsa_uses_dynamic_stack 0
		.amdhsa_enable_private_segment 0
		.amdhsa_system_sgpr_workgroup_id_x 1
		.amdhsa_system_sgpr_workgroup_id_y 0
		.amdhsa_system_sgpr_workgroup_id_z 1
		.amdhsa_system_sgpr_workgroup_info 0
		.amdhsa_system_vgpr_workitem_id 1
		.amdhsa_next_free_vgpr 49
		.amdhsa_next_free_sgpr 20
		.amdhsa_accum_offset 52
		.amdhsa_reserve_vcc 1
		.amdhsa_float_round_mode_32 0
		.amdhsa_float_round_mode_16_64 0
		.amdhsa_float_denorm_mode_32 3
		.amdhsa_float_denorm_mode_16_64 3
		.amdhsa_dx10_clamp 1
		.amdhsa_ieee_mode 1
		.amdhsa_fp16_overflow 0
		.amdhsa_tg_split 0
		.amdhsa_exception_fp_ieee_invalid_op 0
		.amdhsa_exception_fp_denorm_src 0
		.amdhsa_exception_fp_ieee_div_zero 0
		.amdhsa_exception_fp_ieee_overflow 0
		.amdhsa_exception_fp_ieee_underflow 0
		.amdhsa_exception_fp_ieee_inexact 0
		.amdhsa_exception_int_div_zero 0
	.end_amdhsa_kernel
	.section	.text._ZL9moe_vec_qIN3c104HalfELi256ELi8E11block_iq1_mLi1EXadL_ZL18vec_dot_iq1_m_q8_1PKvPK10block_q8_1RKiEEEvS4_S4_PT_PS8_iiii,"axG",@progbits,_ZL9moe_vec_qIN3c104HalfELi256ELi8E11block_iq1_mLi1EXadL_ZL18vec_dot_iq1_m_q8_1PKvPK10block_q8_1RKiEEEvS4_S4_PT_PS8_iiii,comdat
.Lfunc_end274:
	.size	_ZL9moe_vec_qIN3c104HalfELi256ELi8E11block_iq1_mLi1EXadL_ZL18vec_dot_iq1_m_q8_1PKvPK10block_q8_1RKiEEEvS4_S4_PT_PS8_iiii, .Lfunc_end274-_ZL9moe_vec_qIN3c104HalfELi256ELi8E11block_iq1_mLi1EXadL_ZL18vec_dot_iq1_m_q8_1PKvPK10block_q8_1RKiEEEvS4_S4_PT_PS8_iiii
                                        ; -- End function
	.set _ZL9moe_vec_qIN3c104HalfELi256ELi8E11block_iq1_mLi1EXadL_ZL18vec_dot_iq1_m_q8_1PKvPK10block_q8_1RKiEEEvS4_S4_PT_PS8_iiii.num_vgpr, 49
	.set _ZL9moe_vec_qIN3c104HalfELi256ELi8E11block_iq1_mLi1EXadL_ZL18vec_dot_iq1_m_q8_1PKvPK10block_q8_1RKiEEEvS4_S4_PT_PS8_iiii.num_agpr, 0
	.set _ZL9moe_vec_qIN3c104HalfELi256ELi8E11block_iq1_mLi1EXadL_ZL18vec_dot_iq1_m_q8_1PKvPK10block_q8_1RKiEEEvS4_S4_PT_PS8_iiii.numbered_sgpr, 20
	.set _ZL9moe_vec_qIN3c104HalfELi256ELi8E11block_iq1_mLi1EXadL_ZL18vec_dot_iq1_m_q8_1PKvPK10block_q8_1RKiEEEvS4_S4_PT_PS8_iiii.num_named_barrier, 0
	.set _ZL9moe_vec_qIN3c104HalfELi256ELi8E11block_iq1_mLi1EXadL_ZL18vec_dot_iq1_m_q8_1PKvPK10block_q8_1RKiEEEvS4_S4_PT_PS8_iiii.private_seg_size, 0
	.set _ZL9moe_vec_qIN3c104HalfELi256ELi8E11block_iq1_mLi1EXadL_ZL18vec_dot_iq1_m_q8_1PKvPK10block_q8_1RKiEEEvS4_S4_PT_PS8_iiii.uses_vcc, 1
	.set _ZL9moe_vec_qIN3c104HalfELi256ELi8E11block_iq1_mLi1EXadL_ZL18vec_dot_iq1_m_q8_1PKvPK10block_q8_1RKiEEEvS4_S4_PT_PS8_iiii.uses_flat_scratch, 0
	.set _ZL9moe_vec_qIN3c104HalfELi256ELi8E11block_iq1_mLi1EXadL_ZL18vec_dot_iq1_m_q8_1PKvPK10block_q8_1RKiEEEvS4_S4_PT_PS8_iiii.has_dyn_sized_stack, 0
	.set _ZL9moe_vec_qIN3c104HalfELi256ELi8E11block_iq1_mLi1EXadL_ZL18vec_dot_iq1_m_q8_1PKvPK10block_q8_1RKiEEEvS4_S4_PT_PS8_iiii.has_recursion, 0
	.set _ZL9moe_vec_qIN3c104HalfELi256ELi8E11block_iq1_mLi1EXadL_ZL18vec_dot_iq1_m_q8_1PKvPK10block_q8_1RKiEEEvS4_S4_PT_PS8_iiii.has_indirect_call, 0
	.section	.AMDGPU.csdata,"",@progbits
; Kernel info:
; codeLenInByte = 1452
; TotalNumSgprs: 26
; NumVgprs: 49
; NumAgprs: 0
; TotalNumVgprs: 49
; ScratchSize: 0
; MemoryBound: 0
; FloatMode: 240
; IeeeMode: 1
; LDSByteSize: 0 bytes/workgroup (compile time only)
; SGPRBlocks: 3
; VGPRBlocks: 6
; NumSGPRsForWavesPerEU: 26
; NumVGPRsForWavesPerEU: 49
; AccumOffset: 52
; Occupancy: 8
; WaveLimiterHint : 1
; COMPUTE_PGM_RSRC2:SCRATCH_EN: 0
; COMPUTE_PGM_RSRC2:USER_SGPR: 2
; COMPUTE_PGM_RSRC2:TRAP_HANDLER: 0
; COMPUTE_PGM_RSRC2:TGID_X_EN: 1
; COMPUTE_PGM_RSRC2:TGID_Y_EN: 0
; COMPUTE_PGM_RSRC2:TGID_Z_EN: 1
; COMPUTE_PGM_RSRC2:TIDIG_COMP_CNT: 1
; COMPUTE_PGM_RSRC3_GFX90A:ACCUM_OFFSET: 12
; COMPUTE_PGM_RSRC3_GFX90A:TG_SPLIT: 0
	.section	.text._ZL9moe_vec_qIN3c108BFloat16ELi32ELi4E10block_q4_0Li2EXadL_ZL17vec_dot_q4_0_q8_1PKvPK10block_q8_1RKiEEEvS4_S4_PT_PS8_iiii,"axG",@progbits,_ZL9moe_vec_qIN3c108BFloat16ELi32ELi4E10block_q4_0Li2EXadL_ZL17vec_dot_q4_0_q8_1PKvPK10block_q8_1RKiEEEvS4_S4_PT_PS8_iiii,comdat
	.globl	_ZL9moe_vec_qIN3c108BFloat16ELi32ELi4E10block_q4_0Li2EXadL_ZL17vec_dot_q4_0_q8_1PKvPK10block_q8_1RKiEEEvS4_S4_PT_PS8_iiii ; -- Begin function _ZL9moe_vec_qIN3c108BFloat16ELi32ELi4E10block_q4_0Li2EXadL_ZL17vec_dot_q4_0_q8_1PKvPK10block_q8_1RKiEEEvS4_S4_PT_PS8_iiii
	.p2align	8
	.type	_ZL9moe_vec_qIN3c108BFloat16ELi32ELi4E10block_q4_0Li2EXadL_ZL17vec_dot_q4_0_q8_1PKvPK10block_q8_1RKiEEEvS4_S4_PT_PS8_iiii,@function
_ZL9moe_vec_qIN3c108BFloat16ELi32ELi4E10block_q4_0Li2EXadL_ZL17vec_dot_q4_0_q8_1PKvPK10block_q8_1RKiEEEvS4_S4_PT_PS8_iiii: ; @_ZL9moe_vec_qIN3c108BFloat16ELi32ELi4E10block_q4_0Li2EXadL_ZL17vec_dot_q4_0_q8_1PKvPK10block_q8_1RKiEEEvS4_S4_PT_PS8_iiii
; %bb.0:
	s_mov_b32 s8, s3
	s_load_dword s3, s[0:1], 0x3c
	s_load_dwordx4 s[4:7], s[0:1], 0x20
	v_bfe_u32 v1, v0, 10, 10
	s_waitcnt lgkmcnt(0)
	s_lshr_b32 s3, s3, 16
	s_mul_i32 s2, s2, s3
	v_add_u32_e32 v4, s2, v1
	v_cmp_gt_u32_e32 vcc, s6, v4
	s_and_saveexec_b64 s[2:3], vcc
	s_cbranch_execz .LBB275_7
; %bb.1:
	v_cvt_f32_u32_e32 v1, s4
	v_and_b32_e32 v5, 0x3ff, v0
	v_bfe_u32 v6, v0, 1, 9
	s_load_dwordx2 s[2:3], s[0:1], 0x10
	v_rcp_iflag_f32_e32 v1, v1
	s_ashr_i32 s9, s5, 31
	s_lshr_b32 s9, s9, 27
	s_add_i32 s5, s5, s9
	v_mul_f32_e32 v0, 0x4f7ffffe, v1
	v_cvt_u32_f32_e32 v0, v0
	s_ashr_i32 s14, s5, 5
	v_cmp_gt_u32_e32 vcc, s14, v6
	v_mov_b32_e32 v7, 0
	v_readfirstlane_b32 s5, v0
	s_and_saveexec_b64 s[10:11], vcc
	s_cbranch_execz .LBB275_5
; %bb.2:
	s_sub_i32 s12, 0, s4
	s_mul_i32 s15, s12, s5
	s_load_dwordx4 s[16:19], s[0:1], 0x0
	s_load_dwordx2 s[12:13], s[0:1], 0x18
	s_mov_b32 s9, 0
	s_mul_hi_u32 s0, s5, s15
	s_add_i32 s5, s5, s0
	s_lshl_b64 s[0:1], s[8:9], 2
	s_waitcnt lgkmcnt(0)
	s_add_u32 s0, s12, s0
	s_mul_hi_u32 s5, s8, s5
	s_addc_u32 s1, s13, s1
	s_load_dword s0, s[0:1], 0x0
	s_mul_i32 s1, s5, s4
	s_sub_i32 s1, s8, s1
	s_add_i32 s12, s5, 1
	s_sub_i32 s13, s1, s4
	s_cmp_ge_u32 s1, s4
	s_cselect_b32 s5, s12, s5
	s_cselect_b32 s1, s13, s1
	s_add_i32 s12, s5, 1
	s_cmp_ge_u32 s1, s4
	s_mul_i32 s1, s14, s6
	s_waitcnt lgkmcnt(0)
	s_mul_i32 s0, s1, s0
	s_cselect_b32 s4, s12, s5
	s_mul_hi_i32 s1, s0, 18
	s_mul_i32 s0, s0, 18
	s_add_u32 s0, s16, s0
	s_mul_i32 s4, s4, s7
	s_mov_b32 s5, s9
	s_addc_u32 s1, s17, s1
	s_lshl_b64 s[4:5], s[4:5], 2
	s_add_u32 s4, s18, s4
	v_lshlrev_b32_e32 v0, 3, v5
	v_mov_b32_e32 v1, 0
	s_addc_u32 s5, s19, s5
	v_mul_lo_u32 v8, v4, s14
	v_and_b32_e32 v0, 8, v0
	s_mov_b64 s[12:13], 0
	v_mov_b32_e32 v3, 4.0
	v_mov_b32_e32 v7, v1
.LBB275_3:                              ; =>This Inner Loop Header: Depth=1
	v_add_u32_e32 v2, v8, v6
	v_mad_i64_i32 v[10:11], s[16:17], v6, 36, s[4:5]
	v_mad_i64_i32 v[12:13], s[16:17], v2, 18, s[0:1]
	v_lshl_add_u64 v[14:15], v[10:11], 0, v[0:1]
	v_lshl_add_u64 v[16:17], v[12:13], 0, v[0:1]
	global_load_dwordx2 v[18:19], v[14:15], off offset:4
	global_load_dwordx2 v[20:21], v[14:15], off offset:20
	;; [unrolled: 1-line block ×3, first 2 shown]
	global_load_dword v2, v[10:11], off
	global_load_ushort v9, v[12:13], off
	v_mov_b32_e32 v12, 0
	v_add_u32_e32 v6, 32, v6
	v_cmp_le_u32_e32 vcc, s14, v6
	s_or_b64 s[12:13], vcc, s[12:13]
	s_waitcnt vmcnt(2)
	v_lshrrev_b32_e32 v13, 4, v22
	s_waitcnt vmcnt(1)
	v_cvt_f32_f16_e32 v10, v2
	v_cvt_f32_f16_sdwa v11, v2 dst_sel:DWORD dst_unused:UNUSED_PAD src0_sel:WORD_1
	v_and_b32_e32 v2, 0xf0f0f0f, v22
	v_and_b32_e32 v13, 0xf0f0f0f, v13
	v_dot4c_i32_i8_e32 v12, v2, v18
	v_and_b32_e32 v14, 0xf0f0f0f, v23
	v_lshrrev_b32_e32 v15, 4, v23
	v_dot4c_i32_i8_e32 v12, v13, v20
	v_and_b32_e32 v2, 0xf0f0f0f, v15
	v_dot4c_i32_i8_e32 v12, v14, v19
	v_dot4c_i32_i8_e32 v12, v2, v21
	s_nop 2
	v_cvt_f32_i32_e32 v2, v12
	v_pk_mul_f32 v[10:11], v[2:3], v[10:11]
	s_nop 0
	v_sub_f32_e32 v2, v10, v11
	s_waitcnt vmcnt(0)
	v_fma_mix_f32 v7, v2, v9, v7 op_sel_hi:[0,1,0]
	s_andn2_b64 exec, exec, s[12:13]
	s_cbranch_execnz .LBB275_3
; %bb.4:
	s_or_b64 exec, exec, s[12:13]
.LBB275_5:
	s_or_b64 exec, exec, s[10:11]
	v_mbcnt_lo_u32_b32 v0, -1, 0
	v_mbcnt_hi_u32_b32 v1, -1, v0
	v_and_b32_e32 v0, 64, v1
	v_add_u32_e32 v2, 64, v0
	v_xor_b32_e32 v0, 32, v1
	v_cmp_lt_i32_e32 vcc, v0, v2
	v_xor_b32_e32 v3, 16, v1
	v_xor_b32_e32 v6, 8, v1
	v_cndmask_b32_e32 v0, v1, v0, vcc
	v_lshlrev_b32_e32 v0, 2, v0
	ds_bpermute_b32 v0, v0, v7
	v_cmp_lt_i32_e32 vcc, v3, v2
	s_waitcnt lgkmcnt(0)
	v_add_f32_e32 v0, v7, v0
	v_cndmask_b32_e32 v3, v1, v3, vcc
	v_lshlrev_b32_e32 v3, 2, v3
	ds_bpermute_b32 v3, v3, v0
	v_cmp_lt_i32_e32 vcc, v6, v2
	s_waitcnt lgkmcnt(0)
	v_add_f32_e32 v0, v0, v3
	v_cndmask_b32_e32 v3, v1, v6, vcc
	v_lshlrev_b32_e32 v3, 2, v3
	ds_bpermute_b32 v3, v3, v0
	v_xor_b32_e32 v6, 4, v1
	v_cmp_lt_i32_e32 vcc, v6, v2
	s_waitcnt lgkmcnt(0)
	v_add_f32_e32 v0, v0, v3
	v_cndmask_b32_e32 v3, v1, v6, vcc
	v_lshlrev_b32_e32 v3, 2, v3
	ds_bpermute_b32 v3, v3, v0
	v_xor_b32_e32 v6, 2, v1
	;; [unrolled: 7-line block ×3, first 2 shown]
	v_cmp_lt_i32_e32 vcc, v6, v2
	s_waitcnt lgkmcnt(0)
	v_add_f32_e32 v0, v0, v3
	v_cndmask_b32_e32 v1, v1, v6, vcc
	v_lshlrev_b32_e32 v1, 2, v1
	ds_bpermute_b32 v1, v1, v0
	v_cmp_eq_u32_e32 vcc, 0, v5
	s_and_b64 exec, exec, vcc
	s_cbranch_execz .LBB275_7
; %bb.6:
	s_waitcnt lgkmcnt(0)
	v_add_f32_e32 v0, v0, v1
	v_bfe_u32 v1, v0, 16, 1
	s_movk_i32 s0, 0x7fff
	v_add3_u32 v1, v0, v1, s0
	v_cmp_o_f32_e32 vcc, v0, v0
	v_mov_b32_e32 v0, 0x7fc0
	s_mul_i32 s0, s6, s8
	v_cndmask_b32_sdwa v2, v0, v1, vcc dst_sel:DWORD dst_unused:UNUSED_PAD src0_sel:DWORD src1_sel:WORD_1
	v_add_u32_e32 v0, s0, v4
	v_mov_b32_e32 v1, 0
	v_lshl_add_u64 v[0:1], v[0:1], 1, s[2:3]
	global_store_short v[0:1], v2, off
.LBB275_7:
	s_endpgm
	.section	.rodata,"a",@progbits
	.p2align	6, 0x0
	.amdhsa_kernel _ZL9moe_vec_qIN3c108BFloat16ELi32ELi4E10block_q4_0Li2EXadL_ZL17vec_dot_q4_0_q8_1PKvPK10block_q8_1RKiEEEvS4_S4_PT_PS8_iiii
		.amdhsa_group_segment_fixed_size 0
		.amdhsa_private_segment_fixed_size 0
		.amdhsa_kernarg_size 304
		.amdhsa_user_sgpr_count 2
		.amdhsa_user_sgpr_dispatch_ptr 0
		.amdhsa_user_sgpr_queue_ptr 0
		.amdhsa_user_sgpr_kernarg_segment_ptr 1
		.amdhsa_user_sgpr_dispatch_id 0
		.amdhsa_user_sgpr_kernarg_preload_length 0
		.amdhsa_user_sgpr_kernarg_preload_offset 0
		.amdhsa_user_sgpr_private_segment_size 0
		.amdhsa_uses_dynamic_stack 0
		.amdhsa_enable_private_segment 0
		.amdhsa_system_sgpr_workgroup_id_x 1
		.amdhsa_system_sgpr_workgroup_id_y 0
		.amdhsa_system_sgpr_workgroup_id_z 1
		.amdhsa_system_sgpr_workgroup_info 0
		.amdhsa_system_vgpr_workitem_id 1
		.amdhsa_next_free_vgpr 24
		.amdhsa_next_free_sgpr 20
		.amdhsa_accum_offset 24
		.amdhsa_reserve_vcc 1
		.amdhsa_float_round_mode_32 0
		.amdhsa_float_round_mode_16_64 0
		.amdhsa_float_denorm_mode_32 3
		.amdhsa_float_denorm_mode_16_64 3
		.amdhsa_dx10_clamp 1
		.amdhsa_ieee_mode 1
		.amdhsa_fp16_overflow 0
		.amdhsa_tg_split 0
		.amdhsa_exception_fp_ieee_invalid_op 0
		.amdhsa_exception_fp_denorm_src 0
		.amdhsa_exception_fp_ieee_div_zero 0
		.amdhsa_exception_fp_ieee_overflow 0
		.amdhsa_exception_fp_ieee_underflow 0
		.amdhsa_exception_fp_ieee_inexact 0
		.amdhsa_exception_int_div_zero 0
	.end_amdhsa_kernel
	.section	.text._ZL9moe_vec_qIN3c108BFloat16ELi32ELi4E10block_q4_0Li2EXadL_ZL17vec_dot_q4_0_q8_1PKvPK10block_q8_1RKiEEEvS4_S4_PT_PS8_iiii,"axG",@progbits,_ZL9moe_vec_qIN3c108BFloat16ELi32ELi4E10block_q4_0Li2EXadL_ZL17vec_dot_q4_0_q8_1PKvPK10block_q8_1RKiEEEvS4_S4_PT_PS8_iiii,comdat
.Lfunc_end275:
	.size	_ZL9moe_vec_qIN3c108BFloat16ELi32ELi4E10block_q4_0Li2EXadL_ZL17vec_dot_q4_0_q8_1PKvPK10block_q8_1RKiEEEvS4_S4_PT_PS8_iiii, .Lfunc_end275-_ZL9moe_vec_qIN3c108BFloat16ELi32ELi4E10block_q4_0Li2EXadL_ZL17vec_dot_q4_0_q8_1PKvPK10block_q8_1RKiEEEvS4_S4_PT_PS8_iiii
                                        ; -- End function
	.set _ZL9moe_vec_qIN3c108BFloat16ELi32ELi4E10block_q4_0Li2EXadL_ZL17vec_dot_q4_0_q8_1PKvPK10block_q8_1RKiEEEvS4_S4_PT_PS8_iiii.num_vgpr, 24
	.set _ZL9moe_vec_qIN3c108BFloat16ELi32ELi4E10block_q4_0Li2EXadL_ZL17vec_dot_q4_0_q8_1PKvPK10block_q8_1RKiEEEvS4_S4_PT_PS8_iiii.num_agpr, 0
	.set _ZL9moe_vec_qIN3c108BFloat16ELi32ELi4E10block_q4_0Li2EXadL_ZL17vec_dot_q4_0_q8_1PKvPK10block_q8_1RKiEEEvS4_S4_PT_PS8_iiii.numbered_sgpr, 20
	.set _ZL9moe_vec_qIN3c108BFloat16ELi32ELi4E10block_q4_0Li2EXadL_ZL17vec_dot_q4_0_q8_1PKvPK10block_q8_1RKiEEEvS4_S4_PT_PS8_iiii.num_named_barrier, 0
	.set _ZL9moe_vec_qIN3c108BFloat16ELi32ELi4E10block_q4_0Li2EXadL_ZL17vec_dot_q4_0_q8_1PKvPK10block_q8_1RKiEEEvS4_S4_PT_PS8_iiii.private_seg_size, 0
	.set _ZL9moe_vec_qIN3c108BFloat16ELi32ELi4E10block_q4_0Li2EXadL_ZL17vec_dot_q4_0_q8_1PKvPK10block_q8_1RKiEEEvS4_S4_PT_PS8_iiii.uses_vcc, 1
	.set _ZL9moe_vec_qIN3c108BFloat16ELi32ELi4E10block_q4_0Li2EXadL_ZL17vec_dot_q4_0_q8_1PKvPK10block_q8_1RKiEEEvS4_S4_PT_PS8_iiii.uses_flat_scratch, 0
	.set _ZL9moe_vec_qIN3c108BFloat16ELi32ELi4E10block_q4_0Li2EXadL_ZL17vec_dot_q4_0_q8_1PKvPK10block_q8_1RKiEEEvS4_S4_PT_PS8_iiii.has_dyn_sized_stack, 0
	.set _ZL9moe_vec_qIN3c108BFloat16ELi32ELi4E10block_q4_0Li2EXadL_ZL17vec_dot_q4_0_q8_1PKvPK10block_q8_1RKiEEEvS4_S4_PT_PS8_iiii.has_recursion, 0
	.set _ZL9moe_vec_qIN3c108BFloat16ELi32ELi4E10block_q4_0Li2EXadL_ZL17vec_dot_q4_0_q8_1PKvPK10block_q8_1RKiEEEvS4_S4_PT_PS8_iiii.has_indirect_call, 0
	.section	.AMDGPU.csdata,"",@progbits
; Kernel info:
; codeLenInByte = 840
; TotalNumSgprs: 26
; NumVgprs: 24
; NumAgprs: 0
; TotalNumVgprs: 24
; ScratchSize: 0
; MemoryBound: 0
; FloatMode: 240
; IeeeMode: 1
; LDSByteSize: 0 bytes/workgroup (compile time only)
; SGPRBlocks: 3
; VGPRBlocks: 2
; NumSGPRsForWavesPerEU: 26
; NumVGPRsForWavesPerEU: 24
; AccumOffset: 24
; Occupancy: 8
; WaveLimiterHint : 1
; COMPUTE_PGM_RSRC2:SCRATCH_EN: 0
; COMPUTE_PGM_RSRC2:USER_SGPR: 2
; COMPUTE_PGM_RSRC2:TRAP_HANDLER: 0
; COMPUTE_PGM_RSRC2:TGID_X_EN: 1
; COMPUTE_PGM_RSRC2:TGID_Y_EN: 0
; COMPUTE_PGM_RSRC2:TGID_Z_EN: 1
; COMPUTE_PGM_RSRC2:TIDIG_COMP_CNT: 1
; COMPUTE_PGM_RSRC3_GFX90A:ACCUM_OFFSET: 5
; COMPUTE_PGM_RSRC3_GFX90A:TG_SPLIT: 0
	.section	.text._ZL9moe_vec_qIN3c108BFloat16ELi32ELi4E10block_q4_1Li2EXadL_ZL17vec_dot_q4_1_q8_1PKvPK10block_q8_1RKiEEEvS4_S4_PT_PS8_iiii,"axG",@progbits,_ZL9moe_vec_qIN3c108BFloat16ELi32ELi4E10block_q4_1Li2EXadL_ZL17vec_dot_q4_1_q8_1PKvPK10block_q8_1RKiEEEvS4_S4_PT_PS8_iiii,comdat
	.globl	_ZL9moe_vec_qIN3c108BFloat16ELi32ELi4E10block_q4_1Li2EXadL_ZL17vec_dot_q4_1_q8_1PKvPK10block_q8_1RKiEEEvS4_S4_PT_PS8_iiii ; -- Begin function _ZL9moe_vec_qIN3c108BFloat16ELi32ELi4E10block_q4_1Li2EXadL_ZL17vec_dot_q4_1_q8_1PKvPK10block_q8_1RKiEEEvS4_S4_PT_PS8_iiii
	.p2align	8
	.type	_ZL9moe_vec_qIN3c108BFloat16ELi32ELi4E10block_q4_1Li2EXadL_ZL17vec_dot_q4_1_q8_1PKvPK10block_q8_1RKiEEEvS4_S4_PT_PS8_iiii,@function
_ZL9moe_vec_qIN3c108BFloat16ELi32ELi4E10block_q4_1Li2EXadL_ZL17vec_dot_q4_1_q8_1PKvPK10block_q8_1RKiEEEvS4_S4_PT_PS8_iiii: ; @_ZL9moe_vec_qIN3c108BFloat16ELi32ELi4E10block_q4_1Li2EXadL_ZL17vec_dot_q4_1_q8_1PKvPK10block_q8_1RKiEEEvS4_S4_PT_PS8_iiii
; %bb.0:
	s_mov_b32 s8, s3
	s_load_dword s3, s[0:1], 0x3c
	s_load_dwordx4 s[4:7], s[0:1], 0x20
	v_bfe_u32 v1, v0, 10, 10
	s_waitcnt lgkmcnt(0)
	s_lshr_b32 s3, s3, 16
	s_mul_i32 s2, s2, s3
	v_add_u32_e32 v4, s2, v1
	v_cmp_gt_u32_e32 vcc, s6, v4
	s_and_saveexec_b64 s[2:3], vcc
	s_cbranch_execz .LBB276_7
; %bb.1:
	v_cvt_f32_u32_e32 v1, s4
	v_and_b32_e32 v5, 0x3ff, v0
	v_bfe_u32 v6, v0, 1, 9
	s_load_dwordx2 s[2:3], s[0:1], 0x10
	v_rcp_iflag_f32_e32 v1, v1
	s_ashr_i32 s9, s5, 31
	s_lshr_b32 s9, s9, 27
	s_add_i32 s5, s5, s9
	v_mul_f32_e32 v0, 0x4f7ffffe, v1
	v_cvt_u32_f32_e32 v0, v0
	s_ashr_i32 s14, s5, 5
	v_cmp_gt_u32_e32 vcc, s14, v6
	v_mov_b32_e32 v7, 0
	v_readfirstlane_b32 s5, v0
	s_and_saveexec_b64 s[10:11], vcc
	s_cbranch_execz .LBB276_5
; %bb.2:
	s_sub_i32 s12, 0, s4
	s_mul_i32 s15, s12, s5
	s_load_dwordx4 s[16:19], s[0:1], 0x0
	s_load_dwordx2 s[12:13], s[0:1], 0x18
	s_mov_b32 s9, 0
	s_mul_hi_u32 s0, s5, s15
	s_add_i32 s5, s5, s0
	s_lshl_b64 s[0:1], s[8:9], 2
	s_waitcnt lgkmcnt(0)
	s_add_u32 s0, s12, s0
	s_mul_hi_u32 s5, s8, s5
	s_addc_u32 s1, s13, s1
	s_load_dword s0, s[0:1], 0x0
	s_mul_i32 s1, s5, s4
	s_sub_i32 s1, s8, s1
	s_add_i32 s12, s5, 1
	s_sub_i32 s13, s1, s4
	s_cmp_ge_u32 s1, s4
	s_cselect_b32 s5, s12, s5
	s_cselect_b32 s1, s13, s1
	s_add_i32 s12, s5, 1
	s_cmp_ge_u32 s1, s4
	s_mul_i32 s1, s14, s6
	s_waitcnt lgkmcnt(0)
	s_mul_i32 s0, s1, s0
	s_cselect_b32 s4, s12, s5
	s_mul_hi_i32 s1, s0, 20
	s_mul_i32 s0, s0, 20
	s_add_u32 s0, s16, s0
	s_mul_i32 s4, s4, s7
	s_mov_b32 s5, s9
	s_addc_u32 s1, s17, s1
	s_lshl_b64 s[4:5], s[4:5], 2
	s_add_u32 s4, s18, s4
	v_lshlrev_b32_e32 v0, 3, v5
	v_mov_b32_e32 v1, 0
	s_addc_u32 s5, s19, s5
	v_mul_lo_u32 v8, v4, s14
	v_and_b32_e32 v0, 8, v0
	s_mov_b64 s[12:13], 0
	v_mov_b32_e32 v3, 0.5
	v_mov_b32_e32 v7, v1
.LBB276_3:                              ; =>This Inner Loop Header: Depth=1
	v_add_u32_e32 v2, v8, v6
	v_mad_i64_i32 v[10:11], s[16:17], v6, 36, s[4:5]
	v_mad_i64_i32 v[12:13], s[16:17], v2, 20, s[0:1]
	v_lshl_add_u64 v[14:15], v[10:11], 0, v[0:1]
	global_load_dword v2, v[10:11], off
	v_lshl_add_u64 v[10:11], v[12:13], 0, v[0:1]
	global_load_dwordx2 v[16:17], v[14:15], off offset:4
	global_load_dwordx2 v[18:19], v[14:15], off offset:20
	;; [unrolled: 1-line block ×3, first 2 shown]
	global_load_dword v9, v[12:13], off
	v_mov_b32_e32 v12, 0
	v_add_u32_e32 v6, 32, v6
	v_cmp_le_u32_e32 vcc, s14, v6
	s_or_b64 s[12:13], vcc, s[12:13]
	s_waitcnt vmcnt(1)
	v_lshrrev_b32_e32 v13, 4, v20
	s_waitcnt vmcnt(0)
	v_pk_mul_f16 v2, v9, v2
	v_and_b32_e32 v9, 0xf0f0f0f, v20
	v_cvt_f32_f16_e32 v10, v2
	v_cvt_f32_f16_sdwa v11, v2 dst_sel:DWORD dst_unused:UNUSED_PAD src0_sel:WORD_1
	v_and_b32_e32 v2, 0xf0f0f0f, v13
	v_dot4c_i32_i8_e32 v12, v9, v16
	v_and_b32_e32 v14, 0xf0f0f0f, v21
	v_lshrrev_b32_e32 v15, 4, v21
	v_dot4c_i32_i8_e32 v12, v2, v18
	v_and_b32_e32 v9, 0xf0f0f0f, v15
	v_dot4c_i32_i8_e32 v12, v14, v17
	v_dot4c_i32_i8_e32 v12, v9, v19
	s_nop 2
	v_cvt_f32_i32_e32 v2, v12
	v_pk_mul_f32 v[10:11], v[2:3], v[10:11]
	s_nop 0
	v_add_f32_e32 v2, v11, v10
	v_add_f32_e32 v7, v7, v2
	s_andn2_b64 exec, exec, s[12:13]
	s_cbranch_execnz .LBB276_3
; %bb.4:
	s_or_b64 exec, exec, s[12:13]
.LBB276_5:
	s_or_b64 exec, exec, s[10:11]
	v_mbcnt_lo_u32_b32 v0, -1, 0
	v_mbcnt_hi_u32_b32 v1, -1, v0
	v_and_b32_e32 v0, 64, v1
	v_add_u32_e32 v2, 64, v0
	v_xor_b32_e32 v0, 32, v1
	v_cmp_lt_i32_e32 vcc, v0, v2
	v_xor_b32_e32 v3, 16, v1
	v_xor_b32_e32 v6, 8, v1
	v_cndmask_b32_e32 v0, v1, v0, vcc
	v_lshlrev_b32_e32 v0, 2, v0
	ds_bpermute_b32 v0, v0, v7
	v_cmp_lt_i32_e32 vcc, v3, v2
	s_waitcnt lgkmcnt(0)
	v_add_f32_e32 v0, v7, v0
	v_cndmask_b32_e32 v3, v1, v3, vcc
	v_lshlrev_b32_e32 v3, 2, v3
	ds_bpermute_b32 v3, v3, v0
	v_cmp_lt_i32_e32 vcc, v6, v2
	s_waitcnt lgkmcnt(0)
	v_add_f32_e32 v0, v0, v3
	v_cndmask_b32_e32 v3, v1, v6, vcc
	v_lshlrev_b32_e32 v3, 2, v3
	ds_bpermute_b32 v3, v3, v0
	v_xor_b32_e32 v6, 4, v1
	v_cmp_lt_i32_e32 vcc, v6, v2
	s_waitcnt lgkmcnt(0)
	v_add_f32_e32 v0, v0, v3
	v_cndmask_b32_e32 v3, v1, v6, vcc
	v_lshlrev_b32_e32 v3, 2, v3
	ds_bpermute_b32 v3, v3, v0
	v_xor_b32_e32 v6, 2, v1
	;; [unrolled: 7-line block ×3, first 2 shown]
	v_cmp_lt_i32_e32 vcc, v6, v2
	s_waitcnt lgkmcnt(0)
	v_add_f32_e32 v0, v0, v3
	v_cndmask_b32_e32 v1, v1, v6, vcc
	v_lshlrev_b32_e32 v1, 2, v1
	ds_bpermute_b32 v1, v1, v0
	v_cmp_eq_u32_e32 vcc, 0, v5
	s_and_b64 exec, exec, vcc
	s_cbranch_execz .LBB276_7
; %bb.6:
	s_waitcnt lgkmcnt(0)
	v_add_f32_e32 v0, v0, v1
	v_bfe_u32 v1, v0, 16, 1
	s_movk_i32 s0, 0x7fff
	v_add3_u32 v1, v0, v1, s0
	v_cmp_o_f32_e32 vcc, v0, v0
	v_mov_b32_e32 v0, 0x7fc0
	s_mul_i32 s0, s6, s8
	v_cndmask_b32_sdwa v2, v0, v1, vcc dst_sel:DWORD dst_unused:UNUSED_PAD src0_sel:DWORD src1_sel:WORD_1
	v_add_u32_e32 v0, s0, v4
	v_mov_b32_e32 v1, 0
	v_lshl_add_u64 v[0:1], v[0:1], 1, s[2:3]
	global_store_short v[0:1], v2, off
.LBB276_7:
	s_endpgm
	.section	.rodata,"a",@progbits
	.p2align	6, 0x0
	.amdhsa_kernel _ZL9moe_vec_qIN3c108BFloat16ELi32ELi4E10block_q4_1Li2EXadL_ZL17vec_dot_q4_1_q8_1PKvPK10block_q8_1RKiEEEvS4_S4_PT_PS8_iiii
		.amdhsa_group_segment_fixed_size 0
		.amdhsa_private_segment_fixed_size 0
		.amdhsa_kernarg_size 304
		.amdhsa_user_sgpr_count 2
		.amdhsa_user_sgpr_dispatch_ptr 0
		.amdhsa_user_sgpr_queue_ptr 0
		.amdhsa_user_sgpr_kernarg_segment_ptr 1
		.amdhsa_user_sgpr_dispatch_id 0
		.amdhsa_user_sgpr_kernarg_preload_length 0
		.amdhsa_user_sgpr_kernarg_preload_offset 0
		.amdhsa_user_sgpr_private_segment_size 0
		.amdhsa_uses_dynamic_stack 0
		.amdhsa_enable_private_segment 0
		.amdhsa_system_sgpr_workgroup_id_x 1
		.amdhsa_system_sgpr_workgroup_id_y 0
		.amdhsa_system_sgpr_workgroup_id_z 1
		.amdhsa_system_sgpr_workgroup_info 0
		.amdhsa_system_vgpr_workitem_id 1
		.amdhsa_next_free_vgpr 22
		.amdhsa_next_free_sgpr 20
		.amdhsa_accum_offset 24
		.amdhsa_reserve_vcc 1
		.amdhsa_float_round_mode_32 0
		.amdhsa_float_round_mode_16_64 0
		.amdhsa_float_denorm_mode_32 3
		.amdhsa_float_denorm_mode_16_64 3
		.amdhsa_dx10_clamp 1
		.amdhsa_ieee_mode 1
		.amdhsa_fp16_overflow 0
		.amdhsa_tg_split 0
		.amdhsa_exception_fp_ieee_invalid_op 0
		.amdhsa_exception_fp_denorm_src 0
		.amdhsa_exception_fp_ieee_div_zero 0
		.amdhsa_exception_fp_ieee_overflow 0
		.amdhsa_exception_fp_ieee_underflow 0
		.amdhsa_exception_fp_ieee_inexact 0
		.amdhsa_exception_int_div_zero 0
	.end_amdhsa_kernel
	.section	.text._ZL9moe_vec_qIN3c108BFloat16ELi32ELi4E10block_q4_1Li2EXadL_ZL17vec_dot_q4_1_q8_1PKvPK10block_q8_1RKiEEEvS4_S4_PT_PS8_iiii,"axG",@progbits,_ZL9moe_vec_qIN3c108BFloat16ELi32ELi4E10block_q4_1Li2EXadL_ZL17vec_dot_q4_1_q8_1PKvPK10block_q8_1RKiEEEvS4_S4_PT_PS8_iiii,comdat
.Lfunc_end276:
	.size	_ZL9moe_vec_qIN3c108BFloat16ELi32ELi4E10block_q4_1Li2EXadL_ZL17vec_dot_q4_1_q8_1PKvPK10block_q8_1RKiEEEvS4_S4_PT_PS8_iiii, .Lfunc_end276-_ZL9moe_vec_qIN3c108BFloat16ELi32ELi4E10block_q4_1Li2EXadL_ZL17vec_dot_q4_1_q8_1PKvPK10block_q8_1RKiEEEvS4_S4_PT_PS8_iiii
                                        ; -- End function
	.set _ZL9moe_vec_qIN3c108BFloat16ELi32ELi4E10block_q4_1Li2EXadL_ZL17vec_dot_q4_1_q8_1PKvPK10block_q8_1RKiEEEvS4_S4_PT_PS8_iiii.num_vgpr, 22
	.set _ZL9moe_vec_qIN3c108BFloat16ELi32ELi4E10block_q4_1Li2EXadL_ZL17vec_dot_q4_1_q8_1PKvPK10block_q8_1RKiEEEvS4_S4_PT_PS8_iiii.num_agpr, 0
	.set _ZL9moe_vec_qIN3c108BFloat16ELi32ELi4E10block_q4_1Li2EXadL_ZL17vec_dot_q4_1_q8_1PKvPK10block_q8_1RKiEEEvS4_S4_PT_PS8_iiii.numbered_sgpr, 20
	.set _ZL9moe_vec_qIN3c108BFloat16ELi32ELi4E10block_q4_1Li2EXadL_ZL17vec_dot_q4_1_q8_1PKvPK10block_q8_1RKiEEEvS4_S4_PT_PS8_iiii.num_named_barrier, 0
	.set _ZL9moe_vec_qIN3c108BFloat16ELi32ELi4E10block_q4_1Li2EXadL_ZL17vec_dot_q4_1_q8_1PKvPK10block_q8_1RKiEEEvS4_S4_PT_PS8_iiii.private_seg_size, 0
	.set _ZL9moe_vec_qIN3c108BFloat16ELi32ELi4E10block_q4_1Li2EXadL_ZL17vec_dot_q4_1_q8_1PKvPK10block_q8_1RKiEEEvS4_S4_PT_PS8_iiii.uses_vcc, 1
	.set _ZL9moe_vec_qIN3c108BFloat16ELi32ELi4E10block_q4_1Li2EXadL_ZL17vec_dot_q4_1_q8_1PKvPK10block_q8_1RKiEEEvS4_S4_PT_PS8_iiii.uses_flat_scratch, 0
	.set _ZL9moe_vec_qIN3c108BFloat16ELi32ELi4E10block_q4_1Li2EXadL_ZL17vec_dot_q4_1_q8_1PKvPK10block_q8_1RKiEEEvS4_S4_PT_PS8_iiii.has_dyn_sized_stack, 0
	.set _ZL9moe_vec_qIN3c108BFloat16ELi32ELi4E10block_q4_1Li2EXadL_ZL17vec_dot_q4_1_q8_1PKvPK10block_q8_1RKiEEEvS4_S4_PT_PS8_iiii.has_recursion, 0
	.set _ZL9moe_vec_qIN3c108BFloat16ELi32ELi4E10block_q4_1Li2EXadL_ZL17vec_dot_q4_1_q8_1PKvPK10block_q8_1RKiEEEvS4_S4_PT_PS8_iiii.has_indirect_call, 0
	.section	.AMDGPU.csdata,"",@progbits
; Kernel info:
; codeLenInByte = 840
; TotalNumSgprs: 26
; NumVgprs: 22
; NumAgprs: 0
; TotalNumVgprs: 22
; ScratchSize: 0
; MemoryBound: 0
; FloatMode: 240
; IeeeMode: 1
; LDSByteSize: 0 bytes/workgroup (compile time only)
; SGPRBlocks: 3
; VGPRBlocks: 2
; NumSGPRsForWavesPerEU: 26
; NumVGPRsForWavesPerEU: 22
; AccumOffset: 24
; Occupancy: 8
; WaveLimiterHint : 1
; COMPUTE_PGM_RSRC2:SCRATCH_EN: 0
; COMPUTE_PGM_RSRC2:USER_SGPR: 2
; COMPUTE_PGM_RSRC2:TRAP_HANDLER: 0
; COMPUTE_PGM_RSRC2:TGID_X_EN: 1
; COMPUTE_PGM_RSRC2:TGID_Y_EN: 0
; COMPUTE_PGM_RSRC2:TGID_Z_EN: 1
; COMPUTE_PGM_RSRC2:TIDIG_COMP_CNT: 1
; COMPUTE_PGM_RSRC3_GFX90A:ACCUM_OFFSET: 5
; COMPUTE_PGM_RSRC3_GFX90A:TG_SPLIT: 0
	.section	.text._ZL9moe_vec_qIN3c108BFloat16ELi32ELi4E10block_q5_0Li2EXadL_ZL17vec_dot_q5_0_q8_1PKvPK10block_q8_1RKiEEEvS4_S4_PT_PS8_iiii,"axG",@progbits,_ZL9moe_vec_qIN3c108BFloat16ELi32ELi4E10block_q5_0Li2EXadL_ZL17vec_dot_q5_0_q8_1PKvPK10block_q8_1RKiEEEvS4_S4_PT_PS8_iiii,comdat
	.globl	_ZL9moe_vec_qIN3c108BFloat16ELi32ELi4E10block_q5_0Li2EXadL_ZL17vec_dot_q5_0_q8_1PKvPK10block_q8_1RKiEEEvS4_S4_PT_PS8_iiii ; -- Begin function _ZL9moe_vec_qIN3c108BFloat16ELi32ELi4E10block_q5_0Li2EXadL_ZL17vec_dot_q5_0_q8_1PKvPK10block_q8_1RKiEEEvS4_S4_PT_PS8_iiii
	.p2align	8
	.type	_ZL9moe_vec_qIN3c108BFloat16ELi32ELi4E10block_q5_0Li2EXadL_ZL17vec_dot_q5_0_q8_1PKvPK10block_q8_1RKiEEEvS4_S4_PT_PS8_iiii,@function
_ZL9moe_vec_qIN3c108BFloat16ELi32ELi4E10block_q5_0Li2EXadL_ZL17vec_dot_q5_0_q8_1PKvPK10block_q8_1RKiEEEvS4_S4_PT_PS8_iiii: ; @_ZL9moe_vec_qIN3c108BFloat16ELi32ELi4E10block_q5_0Li2EXadL_ZL17vec_dot_q5_0_q8_1PKvPK10block_q8_1RKiEEEvS4_S4_PT_PS8_iiii
; %bb.0:
	s_mov_b32 s8, s3
	s_load_dword s3, s[0:1], 0x3c
	s_load_dwordx4 s[4:7], s[0:1], 0x20
	v_bfe_u32 v1, v0, 10, 10
	s_waitcnt lgkmcnt(0)
	s_lshr_b32 s3, s3, 16
	s_mul_i32 s2, s2, s3
	v_add_u32_e32 v4, s2, v1
	v_cmp_gt_u32_e32 vcc, s6, v4
	s_and_saveexec_b64 s[2:3], vcc
	s_cbranch_execz .LBB277_7
; %bb.1:
	v_cvt_f32_u32_e32 v1, s4
	v_and_b32_e32 v5, 0x3ff, v0
	v_bfe_u32 v6, v0, 1, 9
	s_load_dwordx2 s[2:3], s[0:1], 0x10
	v_rcp_iflag_f32_e32 v1, v1
	s_ashr_i32 s9, s5, 31
	s_lshr_b32 s9, s9, 27
	s_add_i32 s5, s5, s9
	v_mul_f32_e32 v0, 0x4f7ffffe, v1
	v_cvt_u32_f32_e32 v0, v0
	s_ashr_i32 s14, s5, 5
	v_cmp_gt_u32_e32 vcc, s14, v6
	v_mov_b32_e32 v7, 0
	v_readfirstlane_b32 s5, v0
	s_and_saveexec_b64 s[10:11], vcc
	s_cbranch_execz .LBB277_5
; %bb.2:
	s_sub_i32 s12, 0, s4
	s_mul_i32 s15, s12, s5
	s_load_dwordx4 s[16:19], s[0:1], 0x0
	s_load_dwordx2 s[12:13], s[0:1], 0x18
	s_mov_b32 s9, 0
	s_mul_hi_u32 s0, s5, s15
	s_add_i32 s5, s5, s0
	s_lshl_b64 s[0:1], s[8:9], 2
	s_waitcnt lgkmcnt(0)
	s_add_u32 s0, s12, s0
	s_mul_hi_u32 s5, s8, s5
	s_addc_u32 s1, s13, s1
	s_load_dword s0, s[0:1], 0x0
	s_mul_i32 s1, s5, s4
	s_sub_i32 s1, s8, s1
	s_add_i32 s12, s5, 1
	s_sub_i32 s13, s1, s4
	s_cmp_ge_u32 s1, s4
	s_cselect_b32 s5, s12, s5
	s_cselect_b32 s1, s13, s1
	s_add_i32 s12, s5, 1
	s_cmp_ge_u32 s1, s4
	s_mul_i32 s1, s14, s6
	s_waitcnt lgkmcnt(0)
	s_mul_i32 s0, s1, s0
	s_cselect_b32 s4, s12, s5
	s_mul_hi_i32 s1, s0, 22
	s_mul_i32 s0, s0, 22
	s_add_u32 s0, s16, s0
	s_mul_i32 s4, s4, s7
	s_mov_b32 s5, s9
	s_addc_u32 s1, s17, s1
	s_lshl_b64 s[4:5], s[4:5], 2
	v_lshlrev_b32_e32 v0, 3, v5
	s_add_u32 s4, s18, s4
	v_and_b32_e32 v0, 8, v0
	v_mov_b32_e32 v1, 0
	s_addc_u32 s5, s19, s5
	v_mul_lo_u32 v8, v4, s14
	v_or_b32_e32 v9, 4, v0
	s_mov_b64 s[12:13], 0
	v_mov_b32_e32 v3, 0x41000000
	v_mov_b32_e32 v7, v1
.LBB277_3:                              ; =>This Inner Loop Header: Depth=1
	v_add_u32_e32 v2, v8, v6
	v_mad_i64_i32 v[12:13], s[16:17], v2, 22, s[0:1]
	global_load_dword v2, v[12:13], off offset:2
	v_mad_i64_i32 v[10:11], s[16:17], v6, 36, s[4:5]
	v_lshl_add_u64 v[14:15], v[10:11], 0, v[0:1]
	v_lshl_add_u64 v[16:17], v[12:13], 0, v[0:1]
	global_load_dwordx2 v[18:19], v[14:15], off offset:4
	global_load_dwordx2 v[20:21], v[14:15], off offset:20
	global_load_dwordx2 v[22:23], v[16:17], off offset:6
	global_load_dword v24, v[10:11], off
	global_load_ushort v25, v[12:13], off
	v_mov_b32_e32 v12, 0
	v_add_u32_e32 v6, 32, v6
	v_cmp_le_u32_e32 vcc, s14, v6
	s_or_b64 s[12:13], vcc, s[12:13]
	s_waitcnt vmcnt(5)
	v_ashrrev_i32_e32 v13, v0, v2
	v_lshlrev_b32_e32 v15, 4, v13
	v_lshlrev_b32_e32 v16, 11, v13
	v_ashrrev_i32_e32 v2, v9, v2
	s_waitcnt vmcnt(1)
	v_cvt_f32_f16_e32 v10, v24
	v_cvt_f32_f16_sdwa v11, v24 dst_sel:DWORD dst_unused:UNUSED_PAD src0_sel:WORD_1
	v_and_b32_e32 v14, 0xf0f0f0f, v22
	v_lshlrev_b32_e32 v17, 18, v13
	v_lshlrev_b32_e32 v24, 25, v13
	v_lshrrev_b32_e32 v26, 12, v13
	v_lshrrev_b32_e32 v27, 5, v13
	v_lshlrev_b32_e32 v28, 2, v13
	v_and_b32_e32 v15, 16, v15
	v_and_b32_e32 v16, 0x1000, v16
	v_lshrrev_b32_e32 v22, 4, v22
	v_lshlrev_b32_e32 v13, 9, v13
	v_lshlrev_b32_e32 v30, 4, v2
	;; [unrolled: 1-line block ×4, first 2 shown]
	v_and_b32_e32 v17, 0x100000, v17
	v_and_b32_e32 v24, 0x10000000, v24
	v_and_b32_e32 v26, 16, v26
	v_and_b32_e32 v27, 0x1000, v27
	v_and_b32_e32 v28, 0x100000, v28
	v_or3_b32 v14, v15, v14, v16
	v_lshlrev_b32_e32 v33, 25, v2
	v_lshrrev_b32_e32 v34, 12, v2
	v_lshrrev_b32_e32 v35, 5, v2
	v_lshlrev_b32_e32 v36, 2, v2
	v_and_b32_e32 v22, 0xf0f0f0f, v22
	v_and_b32_e32 v13, 0x10000000, v13
	;; [unrolled: 1-line block ×5, first 2 shown]
	v_or3_b32 v15, v27, v26, v28
	v_or3_b32 v14, v14, v17, v24
	v_and_b32_e32 v29, 0xf0f0f0f, v23
	v_lshrrev_b32_e32 v23, 4, v23
	v_lshlrev_b32_e32 v2, 9, v2
	v_and_b32_e32 v33, 0x10000000, v33
	v_and_b32_e32 v34, 16, v34
	;; [unrolled: 1-line block ×4, first 2 shown]
	v_or3_b32 v16, v31, v30, v32
	v_or3_b32 v13, v15, v13, v22
	v_dot4c_i32_i8_e32 v12, v14, v18
	v_and_b32_e32 v23, 0xf0f0f0f, v23
	v_and_b32_e32 v2, 0x10000000, v2
	v_or3_b32 v26, v35, v34, v36
	v_or3_b32 v15, v16, v33, v29
	v_dot4c_i32_i8_e32 v12, v13, v20
	v_or3_b32 v2, v26, v2, v23
	v_dot4c_i32_i8_e32 v12, v15, v19
	v_dot4c_i32_i8_e32 v12, v2, v21
	s_nop 2
	v_cvt_f32_i32_e32 v2, v12
	v_pk_mul_f32 v[10:11], v[2:3], v[10:11]
	s_nop 0
	v_sub_f32_e32 v2, v10, v11
	s_waitcnt vmcnt(0)
	v_fma_mix_f32 v7, v2, v25, v7 op_sel_hi:[0,1,0]
	s_andn2_b64 exec, exec, s[12:13]
	s_cbranch_execnz .LBB277_3
; %bb.4:
	s_or_b64 exec, exec, s[12:13]
.LBB277_5:
	s_or_b64 exec, exec, s[10:11]
	v_mbcnt_lo_u32_b32 v0, -1, 0
	v_mbcnt_hi_u32_b32 v1, -1, v0
	v_and_b32_e32 v0, 64, v1
	v_add_u32_e32 v2, 64, v0
	v_xor_b32_e32 v0, 32, v1
	v_cmp_lt_i32_e32 vcc, v0, v2
	v_xor_b32_e32 v3, 16, v1
	v_xor_b32_e32 v6, 8, v1
	v_cndmask_b32_e32 v0, v1, v0, vcc
	v_lshlrev_b32_e32 v0, 2, v0
	ds_bpermute_b32 v0, v0, v7
	v_cmp_lt_i32_e32 vcc, v3, v2
	s_waitcnt lgkmcnt(0)
	v_add_f32_e32 v0, v7, v0
	v_cndmask_b32_e32 v3, v1, v3, vcc
	v_lshlrev_b32_e32 v3, 2, v3
	ds_bpermute_b32 v3, v3, v0
	v_cmp_lt_i32_e32 vcc, v6, v2
	s_waitcnt lgkmcnt(0)
	v_add_f32_e32 v0, v0, v3
	v_cndmask_b32_e32 v3, v1, v6, vcc
	v_lshlrev_b32_e32 v3, 2, v3
	ds_bpermute_b32 v3, v3, v0
	v_xor_b32_e32 v6, 4, v1
	v_cmp_lt_i32_e32 vcc, v6, v2
	s_waitcnt lgkmcnt(0)
	v_add_f32_e32 v0, v0, v3
	v_cndmask_b32_e32 v3, v1, v6, vcc
	v_lshlrev_b32_e32 v3, 2, v3
	ds_bpermute_b32 v3, v3, v0
	v_xor_b32_e32 v6, 2, v1
	v_cmp_lt_i32_e32 vcc, v6, v2
	s_waitcnt lgkmcnt(0)
	v_add_f32_e32 v0, v0, v3
	v_cndmask_b32_e32 v3, v1, v6, vcc
	v_lshlrev_b32_e32 v3, 2, v3
	ds_bpermute_b32 v3, v3, v0
	v_xor_b32_e32 v6, 1, v1
	v_cmp_lt_i32_e32 vcc, v6, v2
	s_waitcnt lgkmcnt(0)
	v_add_f32_e32 v0, v0, v3
	v_cndmask_b32_e32 v1, v1, v6, vcc
	v_lshlrev_b32_e32 v1, 2, v1
	ds_bpermute_b32 v1, v1, v0
	v_cmp_eq_u32_e32 vcc, 0, v5
	s_and_b64 exec, exec, vcc
	s_cbranch_execz .LBB277_7
; %bb.6:
	s_waitcnt lgkmcnt(0)
	v_add_f32_e32 v0, v0, v1
	v_bfe_u32 v1, v0, 16, 1
	s_movk_i32 s0, 0x7fff
	v_add3_u32 v1, v0, v1, s0
	v_cmp_o_f32_e32 vcc, v0, v0
	v_mov_b32_e32 v0, 0x7fc0
	s_mul_i32 s0, s6, s8
	v_cndmask_b32_sdwa v2, v0, v1, vcc dst_sel:DWORD dst_unused:UNUSED_PAD src0_sel:DWORD src1_sel:WORD_1
	v_add_u32_e32 v0, s0, v4
	v_mov_b32_e32 v1, 0
	v_lshl_add_u64 v[0:1], v[0:1], 1, s[2:3]
	global_store_short v[0:1], v2, off
.LBB277_7:
	s_endpgm
	.section	.rodata,"a",@progbits
	.p2align	6, 0x0
	.amdhsa_kernel _ZL9moe_vec_qIN3c108BFloat16ELi32ELi4E10block_q5_0Li2EXadL_ZL17vec_dot_q5_0_q8_1PKvPK10block_q8_1RKiEEEvS4_S4_PT_PS8_iiii
		.amdhsa_group_segment_fixed_size 0
		.amdhsa_private_segment_fixed_size 0
		.amdhsa_kernarg_size 304
		.amdhsa_user_sgpr_count 2
		.amdhsa_user_sgpr_dispatch_ptr 0
		.amdhsa_user_sgpr_queue_ptr 0
		.amdhsa_user_sgpr_kernarg_segment_ptr 1
		.amdhsa_user_sgpr_dispatch_id 0
		.amdhsa_user_sgpr_kernarg_preload_length 0
		.amdhsa_user_sgpr_kernarg_preload_offset 0
		.amdhsa_user_sgpr_private_segment_size 0
		.amdhsa_uses_dynamic_stack 0
		.amdhsa_enable_private_segment 0
		.amdhsa_system_sgpr_workgroup_id_x 1
		.amdhsa_system_sgpr_workgroup_id_y 0
		.amdhsa_system_sgpr_workgroup_id_z 1
		.amdhsa_system_sgpr_workgroup_info 0
		.amdhsa_system_vgpr_workitem_id 1
		.amdhsa_next_free_vgpr 37
		.amdhsa_next_free_sgpr 20
		.amdhsa_accum_offset 40
		.amdhsa_reserve_vcc 1
		.amdhsa_float_round_mode_32 0
		.amdhsa_float_round_mode_16_64 0
		.amdhsa_float_denorm_mode_32 3
		.amdhsa_float_denorm_mode_16_64 3
		.amdhsa_dx10_clamp 1
		.amdhsa_ieee_mode 1
		.amdhsa_fp16_overflow 0
		.amdhsa_tg_split 0
		.amdhsa_exception_fp_ieee_invalid_op 0
		.amdhsa_exception_fp_denorm_src 0
		.amdhsa_exception_fp_ieee_div_zero 0
		.amdhsa_exception_fp_ieee_overflow 0
		.amdhsa_exception_fp_ieee_underflow 0
		.amdhsa_exception_fp_ieee_inexact 0
		.amdhsa_exception_int_div_zero 0
	.end_amdhsa_kernel
	.section	.text._ZL9moe_vec_qIN3c108BFloat16ELi32ELi4E10block_q5_0Li2EXadL_ZL17vec_dot_q5_0_q8_1PKvPK10block_q8_1RKiEEEvS4_S4_PT_PS8_iiii,"axG",@progbits,_ZL9moe_vec_qIN3c108BFloat16ELi32ELi4E10block_q5_0Li2EXadL_ZL17vec_dot_q5_0_q8_1PKvPK10block_q8_1RKiEEEvS4_S4_PT_PS8_iiii,comdat
.Lfunc_end277:
	.size	_ZL9moe_vec_qIN3c108BFloat16ELi32ELi4E10block_q5_0Li2EXadL_ZL17vec_dot_q5_0_q8_1PKvPK10block_q8_1RKiEEEvS4_S4_PT_PS8_iiii, .Lfunc_end277-_ZL9moe_vec_qIN3c108BFloat16ELi32ELi4E10block_q5_0Li2EXadL_ZL17vec_dot_q5_0_q8_1PKvPK10block_q8_1RKiEEEvS4_S4_PT_PS8_iiii
                                        ; -- End function
	.set _ZL9moe_vec_qIN3c108BFloat16ELi32ELi4E10block_q5_0Li2EXadL_ZL17vec_dot_q5_0_q8_1PKvPK10block_q8_1RKiEEEvS4_S4_PT_PS8_iiii.num_vgpr, 37
	.set _ZL9moe_vec_qIN3c108BFloat16ELi32ELi4E10block_q5_0Li2EXadL_ZL17vec_dot_q5_0_q8_1PKvPK10block_q8_1RKiEEEvS4_S4_PT_PS8_iiii.num_agpr, 0
	.set _ZL9moe_vec_qIN3c108BFloat16ELi32ELi4E10block_q5_0Li2EXadL_ZL17vec_dot_q5_0_q8_1PKvPK10block_q8_1RKiEEEvS4_S4_PT_PS8_iiii.numbered_sgpr, 20
	.set _ZL9moe_vec_qIN3c108BFloat16ELi32ELi4E10block_q5_0Li2EXadL_ZL17vec_dot_q5_0_q8_1PKvPK10block_q8_1RKiEEEvS4_S4_PT_PS8_iiii.num_named_barrier, 0
	.set _ZL9moe_vec_qIN3c108BFloat16ELi32ELi4E10block_q5_0Li2EXadL_ZL17vec_dot_q5_0_q8_1PKvPK10block_q8_1RKiEEEvS4_S4_PT_PS8_iiii.private_seg_size, 0
	.set _ZL9moe_vec_qIN3c108BFloat16ELi32ELi4E10block_q5_0Li2EXadL_ZL17vec_dot_q5_0_q8_1PKvPK10block_q8_1RKiEEEvS4_S4_PT_PS8_iiii.uses_vcc, 1
	.set _ZL9moe_vec_qIN3c108BFloat16ELi32ELi4E10block_q5_0Li2EXadL_ZL17vec_dot_q5_0_q8_1PKvPK10block_q8_1RKiEEEvS4_S4_PT_PS8_iiii.uses_flat_scratch, 0
	.set _ZL9moe_vec_qIN3c108BFloat16ELi32ELi4E10block_q5_0Li2EXadL_ZL17vec_dot_q5_0_q8_1PKvPK10block_q8_1RKiEEEvS4_S4_PT_PS8_iiii.has_dyn_sized_stack, 0
	.set _ZL9moe_vec_qIN3c108BFloat16ELi32ELi4E10block_q5_0Li2EXadL_ZL17vec_dot_q5_0_q8_1PKvPK10block_q8_1RKiEEEvS4_S4_PT_PS8_iiii.has_recursion, 0
	.set _ZL9moe_vec_qIN3c108BFloat16ELi32ELi4E10block_q5_0Li2EXadL_ZL17vec_dot_q5_0_q8_1PKvPK10block_q8_1RKiEEEvS4_S4_PT_PS8_iiii.has_indirect_call, 0
	.section	.AMDGPU.csdata,"",@progbits
; Kernel info:
; codeLenInByte = 1104
; TotalNumSgprs: 26
; NumVgprs: 37
; NumAgprs: 0
; TotalNumVgprs: 37
; ScratchSize: 0
; MemoryBound: 0
; FloatMode: 240
; IeeeMode: 1
; LDSByteSize: 0 bytes/workgroup (compile time only)
; SGPRBlocks: 3
; VGPRBlocks: 4
; NumSGPRsForWavesPerEU: 26
; NumVGPRsForWavesPerEU: 37
; AccumOffset: 40
; Occupancy: 8
; WaveLimiterHint : 1
; COMPUTE_PGM_RSRC2:SCRATCH_EN: 0
; COMPUTE_PGM_RSRC2:USER_SGPR: 2
; COMPUTE_PGM_RSRC2:TRAP_HANDLER: 0
; COMPUTE_PGM_RSRC2:TGID_X_EN: 1
; COMPUTE_PGM_RSRC2:TGID_Y_EN: 0
; COMPUTE_PGM_RSRC2:TGID_Z_EN: 1
; COMPUTE_PGM_RSRC2:TIDIG_COMP_CNT: 1
; COMPUTE_PGM_RSRC3_GFX90A:ACCUM_OFFSET: 9
; COMPUTE_PGM_RSRC3_GFX90A:TG_SPLIT: 0
	.section	.text._ZL9moe_vec_qIN3c108BFloat16ELi32ELi4E10block_q5_1Li2EXadL_ZL17vec_dot_q5_1_q8_1PKvPK10block_q8_1RKiEEEvS4_S4_PT_PS8_iiii,"axG",@progbits,_ZL9moe_vec_qIN3c108BFloat16ELi32ELi4E10block_q5_1Li2EXadL_ZL17vec_dot_q5_1_q8_1PKvPK10block_q8_1RKiEEEvS4_S4_PT_PS8_iiii,comdat
	.globl	_ZL9moe_vec_qIN3c108BFloat16ELi32ELi4E10block_q5_1Li2EXadL_ZL17vec_dot_q5_1_q8_1PKvPK10block_q8_1RKiEEEvS4_S4_PT_PS8_iiii ; -- Begin function _ZL9moe_vec_qIN3c108BFloat16ELi32ELi4E10block_q5_1Li2EXadL_ZL17vec_dot_q5_1_q8_1PKvPK10block_q8_1RKiEEEvS4_S4_PT_PS8_iiii
	.p2align	8
	.type	_ZL9moe_vec_qIN3c108BFloat16ELi32ELi4E10block_q5_1Li2EXadL_ZL17vec_dot_q5_1_q8_1PKvPK10block_q8_1RKiEEEvS4_S4_PT_PS8_iiii,@function
_ZL9moe_vec_qIN3c108BFloat16ELi32ELi4E10block_q5_1Li2EXadL_ZL17vec_dot_q5_1_q8_1PKvPK10block_q8_1RKiEEEvS4_S4_PT_PS8_iiii: ; @_ZL9moe_vec_qIN3c108BFloat16ELi32ELi4E10block_q5_1Li2EXadL_ZL17vec_dot_q5_1_q8_1PKvPK10block_q8_1RKiEEEvS4_S4_PT_PS8_iiii
; %bb.0:
	s_mov_b32 s8, s3
	s_load_dword s3, s[0:1], 0x3c
	s_load_dwordx4 s[4:7], s[0:1], 0x20
	v_bfe_u32 v1, v0, 10, 10
	s_waitcnt lgkmcnt(0)
	s_lshr_b32 s3, s3, 16
	s_mul_i32 s2, s2, s3
	v_add_u32_e32 v4, s2, v1
	v_cmp_gt_u32_e32 vcc, s6, v4
	s_and_saveexec_b64 s[2:3], vcc
	s_cbranch_execz .LBB278_7
; %bb.1:
	v_cvt_f32_u32_e32 v1, s4
	v_and_b32_e32 v5, 0x3ff, v0
	v_bfe_u32 v6, v0, 1, 9
	s_load_dwordx2 s[2:3], s[0:1], 0x10
	v_rcp_iflag_f32_e32 v1, v1
	s_ashr_i32 s9, s5, 31
	s_lshr_b32 s9, s9, 27
	s_add_i32 s5, s5, s9
	v_mul_f32_e32 v0, 0x4f7ffffe, v1
	v_cvt_u32_f32_e32 v0, v0
	s_ashr_i32 s14, s5, 5
	v_cmp_gt_u32_e32 vcc, s14, v6
	v_mov_b32_e32 v7, 0
	v_readfirstlane_b32 s5, v0
	s_and_saveexec_b64 s[10:11], vcc
	s_cbranch_execz .LBB278_5
; %bb.2:
	s_sub_i32 s12, 0, s4
	s_mul_i32 s15, s12, s5
	s_load_dwordx4 s[16:19], s[0:1], 0x0
	s_load_dwordx2 s[12:13], s[0:1], 0x18
	s_mov_b32 s9, 0
	s_mul_hi_u32 s0, s5, s15
	s_add_i32 s5, s5, s0
	s_lshl_b64 s[0:1], s[8:9], 2
	s_waitcnt lgkmcnt(0)
	s_add_u32 s0, s12, s0
	s_mul_hi_u32 s5, s8, s5
	s_addc_u32 s1, s13, s1
	s_load_dword s0, s[0:1], 0x0
	s_mul_i32 s1, s5, s4
	s_sub_i32 s1, s8, s1
	s_add_i32 s12, s5, 1
	s_sub_i32 s13, s1, s4
	s_cmp_ge_u32 s1, s4
	s_cselect_b32 s5, s12, s5
	s_cselect_b32 s1, s13, s1
	s_add_i32 s12, s5, 1
	s_cmp_ge_u32 s1, s4
	s_mul_i32 s1, s14, s6
	s_waitcnt lgkmcnt(0)
	s_mul_i32 s0, s1, s0
	s_cselect_b32 s4, s12, s5
	s_mul_hi_i32 s1, s0, 24
	s_mul_i32 s0, s0, 24
	s_add_u32 s0, s16, s0
	s_mul_i32 s4, s4, s7
	s_mov_b32 s5, s9
	s_addc_u32 s1, s17, s1
	s_lshl_b64 s[4:5], s[4:5], 2
	v_lshlrev_b32_e32 v0, 3, v5
	s_add_u32 s4, s18, s4
	v_and_b32_e32 v0, 8, v0
	v_mov_b32_e32 v1, 0
	s_addc_u32 s5, s19, s5
	v_mul_lo_u32 v8, v4, s14
	v_or_b32_e32 v9, 4, v0
	s_mov_b64 s[12:13], 0
	v_mov_b32_e32 v3, 0.5
	v_mov_b32_e32 v7, v1
.LBB278_3:                              ; =>This Inner Loop Header: Depth=1
	v_add_u32_e32 v2, v8, v6
	v_mad_i64_i32 v[10:11], s[16:17], v6, 36, s[4:5]
	v_mad_i64_i32 v[12:13], s[16:17], v2, 24, s[0:1]
	v_lshl_add_u64 v[14:15], v[10:11], 0, v[0:1]
	global_load_dwordx2 v[16:17], v[12:13], off
	v_lshl_add_u64 v[12:13], v[12:13], 0, v[0:1]
	global_load_dwordx2 v[18:19], v[14:15], off offset:4
	global_load_dwordx2 v[20:21], v[14:15], off offset:20
	;; [unrolled: 1-line block ×3, first 2 shown]
	global_load_dword v2, v[10:11], off
	v_mov_b32_e32 v12, 0
	v_add_u32_e32 v6, 32, v6
	v_cmp_le_u32_e32 vcc, s14, v6
	s_or_b64 s[12:13], vcc, s[12:13]
	s_waitcnt vmcnt(4)
	v_ashrrev_i32_e32 v10, v0, v17
	v_ashrrev_i32_e32 v11, v9, v17
	s_waitcnt vmcnt(0)
	v_pk_mul_f16 v2, v16, v2
	v_lshlrev_b32_e32 v14, 4, v10
	v_lshlrev_b32_e32 v15, 11, v10
	v_and_b32_e32 v13, 0xf0f0f0f, v22
	v_lshlrev_b32_e32 v16, 18, v10
	v_lshlrev_b32_e32 v17, 25, v10
	v_lshrrev_b32_e32 v22, 4, v22
	v_lshrrev_b32_e32 v24, 12, v10
	;; [unrolled: 1-line block ×3, first 2 shown]
	v_lshlrev_b32_e32 v26, 2, v10
	v_lshlrev_b32_e32 v27, 9, v10
	;; [unrolled: 1-line block ×6, first 2 shown]
	v_lshrrev_b32_e32 v33, 12, v11
	v_lshrrev_b32_e32 v34, 5, v11
	v_lshlrev_b32_e32 v35, 2, v11
	v_lshlrev_b32_e32 v36, 9, v11
	v_cvt_f32_f16_e32 v10, v2
	v_cvt_f32_f16_sdwa v11, v2 dst_sel:DWORD dst_unused:UNUSED_PAD src0_sel:WORD_1
	v_and_b32_e32 v2, 16, v14
	v_and_b32_e32 v14, 0x1000, v15
	;; [unrolled: 1-line block ×8, first 2 shown]
	v_or3_b32 v2, v2, v13, v14
	v_and_b32_e32 v26, 0x10000000, v27
	v_and_b32_e32 v27, 16, v29
	;; [unrolled: 1-line block ×4, first 2 shown]
	v_or3_b32 v13, v24, v22, v25
	v_or3_b32 v2, v2, v15, v16
	v_and_b32_e32 v28, 0xf0f0f0f, v23
	v_lshrrev_b32_e32 v23, 4, v23
	v_and_b32_e32 v31, 0x10000000, v32
	v_and_b32_e32 v32, 16, v33
	v_and_b32_e32 v33, 0x1000, v34
	v_and_b32_e32 v34, 0x100000, v35
	v_or3_b32 v14, v29, v27, v30
	v_or3_b32 v13, v13, v26, v17
	v_dot4c_i32_i8_e32 v12, v2, v18
	v_and_b32_e32 v23, 0xf0f0f0f, v23
	v_and_b32_e32 v35, 0x10000000, v36
	v_or3_b32 v22, v33, v32, v34
	v_or3_b32 v14, v14, v31, v28
	v_dot4c_i32_i8_e32 v12, v13, v20
	v_or3_b32 v15, v22, v35, v23
	v_dot4c_i32_i8_e32 v12, v14, v19
	v_dot4c_i32_i8_e32 v12, v15, v21
	s_nop 2
	v_cvt_f32_i32_e32 v2, v12
	v_pk_mul_f32 v[10:11], v[2:3], v[10:11]
	s_nop 0
	v_add_f32_e32 v2, v11, v10
	v_add_f32_e32 v7, v7, v2
	s_andn2_b64 exec, exec, s[12:13]
	s_cbranch_execnz .LBB278_3
; %bb.4:
	s_or_b64 exec, exec, s[12:13]
.LBB278_5:
	s_or_b64 exec, exec, s[10:11]
	v_mbcnt_lo_u32_b32 v0, -1, 0
	v_mbcnt_hi_u32_b32 v1, -1, v0
	v_and_b32_e32 v0, 64, v1
	v_add_u32_e32 v2, 64, v0
	v_xor_b32_e32 v0, 32, v1
	v_cmp_lt_i32_e32 vcc, v0, v2
	v_xor_b32_e32 v3, 16, v1
	v_xor_b32_e32 v6, 8, v1
	v_cndmask_b32_e32 v0, v1, v0, vcc
	v_lshlrev_b32_e32 v0, 2, v0
	ds_bpermute_b32 v0, v0, v7
	v_cmp_lt_i32_e32 vcc, v3, v2
	s_waitcnt lgkmcnt(0)
	v_add_f32_e32 v0, v7, v0
	v_cndmask_b32_e32 v3, v1, v3, vcc
	v_lshlrev_b32_e32 v3, 2, v3
	ds_bpermute_b32 v3, v3, v0
	v_cmp_lt_i32_e32 vcc, v6, v2
	s_waitcnt lgkmcnt(0)
	v_add_f32_e32 v0, v0, v3
	v_cndmask_b32_e32 v3, v1, v6, vcc
	v_lshlrev_b32_e32 v3, 2, v3
	ds_bpermute_b32 v3, v3, v0
	v_xor_b32_e32 v6, 4, v1
	v_cmp_lt_i32_e32 vcc, v6, v2
	s_waitcnt lgkmcnt(0)
	v_add_f32_e32 v0, v0, v3
	v_cndmask_b32_e32 v3, v1, v6, vcc
	v_lshlrev_b32_e32 v3, 2, v3
	ds_bpermute_b32 v3, v3, v0
	v_xor_b32_e32 v6, 2, v1
	;; [unrolled: 7-line block ×3, first 2 shown]
	v_cmp_lt_i32_e32 vcc, v6, v2
	s_waitcnt lgkmcnt(0)
	v_add_f32_e32 v0, v0, v3
	v_cndmask_b32_e32 v1, v1, v6, vcc
	v_lshlrev_b32_e32 v1, 2, v1
	ds_bpermute_b32 v1, v1, v0
	v_cmp_eq_u32_e32 vcc, 0, v5
	s_and_b64 exec, exec, vcc
	s_cbranch_execz .LBB278_7
; %bb.6:
	s_waitcnt lgkmcnt(0)
	v_add_f32_e32 v0, v0, v1
	v_bfe_u32 v1, v0, 16, 1
	s_movk_i32 s0, 0x7fff
	v_add3_u32 v1, v0, v1, s0
	v_cmp_o_f32_e32 vcc, v0, v0
	v_mov_b32_e32 v0, 0x7fc0
	s_mul_i32 s0, s6, s8
	v_cndmask_b32_sdwa v2, v0, v1, vcc dst_sel:DWORD dst_unused:UNUSED_PAD src0_sel:DWORD src1_sel:WORD_1
	v_add_u32_e32 v0, s0, v4
	v_mov_b32_e32 v1, 0
	v_lshl_add_u64 v[0:1], v[0:1], 1, s[2:3]
	global_store_short v[0:1], v2, off
.LBB278_7:
	s_endpgm
	.section	.rodata,"a",@progbits
	.p2align	6, 0x0
	.amdhsa_kernel _ZL9moe_vec_qIN3c108BFloat16ELi32ELi4E10block_q5_1Li2EXadL_ZL17vec_dot_q5_1_q8_1PKvPK10block_q8_1RKiEEEvS4_S4_PT_PS8_iiii
		.amdhsa_group_segment_fixed_size 0
		.amdhsa_private_segment_fixed_size 0
		.amdhsa_kernarg_size 304
		.amdhsa_user_sgpr_count 2
		.amdhsa_user_sgpr_dispatch_ptr 0
		.amdhsa_user_sgpr_queue_ptr 0
		.amdhsa_user_sgpr_kernarg_segment_ptr 1
		.amdhsa_user_sgpr_dispatch_id 0
		.amdhsa_user_sgpr_kernarg_preload_length 0
		.amdhsa_user_sgpr_kernarg_preload_offset 0
		.amdhsa_user_sgpr_private_segment_size 0
		.amdhsa_uses_dynamic_stack 0
		.amdhsa_enable_private_segment 0
		.amdhsa_system_sgpr_workgroup_id_x 1
		.amdhsa_system_sgpr_workgroup_id_y 0
		.amdhsa_system_sgpr_workgroup_id_z 1
		.amdhsa_system_sgpr_workgroup_info 0
		.amdhsa_system_vgpr_workitem_id 1
		.amdhsa_next_free_vgpr 37
		.amdhsa_next_free_sgpr 20
		.amdhsa_accum_offset 40
		.amdhsa_reserve_vcc 1
		.amdhsa_float_round_mode_32 0
		.amdhsa_float_round_mode_16_64 0
		.amdhsa_float_denorm_mode_32 3
		.amdhsa_float_denorm_mode_16_64 3
		.amdhsa_dx10_clamp 1
		.amdhsa_ieee_mode 1
		.amdhsa_fp16_overflow 0
		.amdhsa_tg_split 0
		.amdhsa_exception_fp_ieee_invalid_op 0
		.amdhsa_exception_fp_denorm_src 0
		.amdhsa_exception_fp_ieee_div_zero 0
		.amdhsa_exception_fp_ieee_overflow 0
		.amdhsa_exception_fp_ieee_underflow 0
		.amdhsa_exception_fp_ieee_inexact 0
		.amdhsa_exception_int_div_zero 0
	.end_amdhsa_kernel
	.section	.text._ZL9moe_vec_qIN3c108BFloat16ELi32ELi4E10block_q5_1Li2EXadL_ZL17vec_dot_q5_1_q8_1PKvPK10block_q8_1RKiEEEvS4_S4_PT_PS8_iiii,"axG",@progbits,_ZL9moe_vec_qIN3c108BFloat16ELi32ELi4E10block_q5_1Li2EXadL_ZL17vec_dot_q5_1_q8_1PKvPK10block_q8_1RKiEEEvS4_S4_PT_PS8_iiii,comdat
.Lfunc_end278:
	.size	_ZL9moe_vec_qIN3c108BFloat16ELi32ELi4E10block_q5_1Li2EXadL_ZL17vec_dot_q5_1_q8_1PKvPK10block_q8_1RKiEEEvS4_S4_PT_PS8_iiii, .Lfunc_end278-_ZL9moe_vec_qIN3c108BFloat16ELi32ELi4E10block_q5_1Li2EXadL_ZL17vec_dot_q5_1_q8_1PKvPK10block_q8_1RKiEEEvS4_S4_PT_PS8_iiii
                                        ; -- End function
	.set _ZL9moe_vec_qIN3c108BFloat16ELi32ELi4E10block_q5_1Li2EXadL_ZL17vec_dot_q5_1_q8_1PKvPK10block_q8_1RKiEEEvS4_S4_PT_PS8_iiii.num_vgpr, 37
	.set _ZL9moe_vec_qIN3c108BFloat16ELi32ELi4E10block_q5_1Li2EXadL_ZL17vec_dot_q5_1_q8_1PKvPK10block_q8_1RKiEEEvS4_S4_PT_PS8_iiii.num_agpr, 0
	.set _ZL9moe_vec_qIN3c108BFloat16ELi32ELi4E10block_q5_1Li2EXadL_ZL17vec_dot_q5_1_q8_1PKvPK10block_q8_1RKiEEEvS4_S4_PT_PS8_iiii.numbered_sgpr, 20
	.set _ZL9moe_vec_qIN3c108BFloat16ELi32ELi4E10block_q5_1Li2EXadL_ZL17vec_dot_q5_1_q8_1PKvPK10block_q8_1RKiEEEvS4_S4_PT_PS8_iiii.num_named_barrier, 0
	.set _ZL9moe_vec_qIN3c108BFloat16ELi32ELi4E10block_q5_1Li2EXadL_ZL17vec_dot_q5_1_q8_1PKvPK10block_q8_1RKiEEEvS4_S4_PT_PS8_iiii.private_seg_size, 0
	.set _ZL9moe_vec_qIN3c108BFloat16ELi32ELi4E10block_q5_1Li2EXadL_ZL17vec_dot_q5_1_q8_1PKvPK10block_q8_1RKiEEEvS4_S4_PT_PS8_iiii.uses_vcc, 1
	.set _ZL9moe_vec_qIN3c108BFloat16ELi32ELi4E10block_q5_1Li2EXadL_ZL17vec_dot_q5_1_q8_1PKvPK10block_q8_1RKiEEEvS4_S4_PT_PS8_iiii.uses_flat_scratch, 0
	.set _ZL9moe_vec_qIN3c108BFloat16ELi32ELi4E10block_q5_1Li2EXadL_ZL17vec_dot_q5_1_q8_1PKvPK10block_q8_1RKiEEEvS4_S4_PT_PS8_iiii.has_dyn_sized_stack, 0
	.set _ZL9moe_vec_qIN3c108BFloat16ELi32ELi4E10block_q5_1Li2EXadL_ZL17vec_dot_q5_1_q8_1PKvPK10block_q8_1RKiEEEvS4_S4_PT_PS8_iiii.has_recursion, 0
	.set _ZL9moe_vec_qIN3c108BFloat16ELi32ELi4E10block_q5_1Li2EXadL_ZL17vec_dot_q5_1_q8_1PKvPK10block_q8_1RKiEEEvS4_S4_PT_PS8_iiii.has_indirect_call, 0
	.section	.AMDGPU.csdata,"",@progbits
; Kernel info:
; codeLenInByte = 1092
; TotalNumSgprs: 26
; NumVgprs: 37
; NumAgprs: 0
; TotalNumVgprs: 37
; ScratchSize: 0
; MemoryBound: 0
; FloatMode: 240
; IeeeMode: 1
; LDSByteSize: 0 bytes/workgroup (compile time only)
; SGPRBlocks: 3
; VGPRBlocks: 4
; NumSGPRsForWavesPerEU: 26
; NumVGPRsForWavesPerEU: 37
; AccumOffset: 40
; Occupancy: 8
; WaveLimiterHint : 1
; COMPUTE_PGM_RSRC2:SCRATCH_EN: 0
; COMPUTE_PGM_RSRC2:USER_SGPR: 2
; COMPUTE_PGM_RSRC2:TRAP_HANDLER: 0
; COMPUTE_PGM_RSRC2:TGID_X_EN: 1
; COMPUTE_PGM_RSRC2:TGID_Y_EN: 0
; COMPUTE_PGM_RSRC2:TGID_Z_EN: 1
; COMPUTE_PGM_RSRC2:TIDIG_COMP_CNT: 1
; COMPUTE_PGM_RSRC3_GFX90A:ACCUM_OFFSET: 9
; COMPUTE_PGM_RSRC3_GFX90A:TG_SPLIT: 0
	.section	.text._ZL9moe_vec_qIN3c108BFloat16ELi32ELi8E10block_q8_0Li2EXadL_ZL17vec_dot_q8_0_q8_1PKvPK10block_q8_1RKiEEEvS4_S4_PT_PS8_iiii,"axG",@progbits,_ZL9moe_vec_qIN3c108BFloat16ELi32ELi8E10block_q8_0Li2EXadL_ZL17vec_dot_q8_0_q8_1PKvPK10block_q8_1RKiEEEvS4_S4_PT_PS8_iiii,comdat
	.globl	_ZL9moe_vec_qIN3c108BFloat16ELi32ELi8E10block_q8_0Li2EXadL_ZL17vec_dot_q8_0_q8_1PKvPK10block_q8_1RKiEEEvS4_S4_PT_PS8_iiii ; -- Begin function _ZL9moe_vec_qIN3c108BFloat16ELi32ELi8E10block_q8_0Li2EXadL_ZL17vec_dot_q8_0_q8_1PKvPK10block_q8_1RKiEEEvS4_S4_PT_PS8_iiii
	.p2align	8
	.type	_ZL9moe_vec_qIN3c108BFloat16ELi32ELi8E10block_q8_0Li2EXadL_ZL17vec_dot_q8_0_q8_1PKvPK10block_q8_1RKiEEEvS4_S4_PT_PS8_iiii,@function
_ZL9moe_vec_qIN3c108BFloat16ELi32ELi8E10block_q8_0Li2EXadL_ZL17vec_dot_q8_0_q8_1PKvPK10block_q8_1RKiEEEvS4_S4_PT_PS8_iiii: ; @_ZL9moe_vec_qIN3c108BFloat16ELi32ELi8E10block_q8_0Li2EXadL_ZL17vec_dot_q8_0_q8_1PKvPK10block_q8_1RKiEEEvS4_S4_PT_PS8_iiii
; %bb.0:
	s_mov_b32 s8, s3
	s_load_dword s3, s[0:1], 0x3c
	s_load_dwordx4 s[4:7], s[0:1], 0x20
	v_bfe_u32 v1, v0, 10, 10
	s_waitcnt lgkmcnt(0)
	s_lshr_b32 s3, s3, 16
	s_mul_i32 s2, s2, s3
	v_add_u32_e32 v2, s2, v1
	v_cmp_gt_u32_e32 vcc, s6, v2
	s_and_saveexec_b64 s[2:3], vcc
	s_cbranch_execz .LBB279_7
; %bb.1:
	v_cvt_f32_u32_e32 v1, s4
	v_and_b32_e32 v3, 0x3ff, v0
	v_bfe_u32 v4, v0, 2, 8
	s_load_dwordx2 s[2:3], s[0:1], 0x10
	v_rcp_iflag_f32_e32 v1, v1
	s_ashr_i32 s9, s5, 31
	s_lshr_b32 s9, s9, 27
	s_add_i32 s5, s5, s9
	v_mul_f32_e32 v0, 0x4f7ffffe, v1
	v_cvt_u32_f32_e32 v0, v0
	s_ashr_i32 s14, s5, 5
	v_cmp_gt_u32_e32 vcc, s14, v4
	v_mov_b32_e32 v5, 0
	v_readfirstlane_b32 s5, v0
	s_and_saveexec_b64 s[10:11], vcc
	s_cbranch_execz .LBB279_5
; %bb.2:
	s_sub_i32 s12, 0, s4
	s_mul_i32 s15, s12, s5
	s_load_dwordx4 s[16:19], s[0:1], 0x0
	s_load_dwordx2 s[12:13], s[0:1], 0x18
	s_mov_b32 s9, 0
	s_mul_hi_u32 s0, s5, s15
	s_add_i32 s5, s5, s0
	s_lshl_b64 s[0:1], s[8:9], 2
	s_waitcnt lgkmcnt(0)
	s_add_u32 s0, s12, s0
	s_mul_hi_u32 s5, s8, s5
	s_addc_u32 s1, s13, s1
	s_load_dword s0, s[0:1], 0x0
	s_mul_i32 s1, s5, s4
	s_sub_i32 s1, s8, s1
	s_add_i32 s12, s5, 1
	s_sub_i32 s13, s1, s4
	s_cmp_ge_u32 s1, s4
	s_cselect_b32 s5, s12, s5
	s_cselect_b32 s1, s13, s1
	s_add_i32 s12, s5, 1
	s_cmp_ge_u32 s1, s4
	s_mul_i32 s1, s14, s6
	s_waitcnt lgkmcnt(0)
	s_mul_i32 s0, s1, s0
	s_cselect_b32 s4, s12, s5
	s_mul_hi_i32 s1, s0, 34
	s_mul_i32 s0, s0, 34
	s_add_u32 s0, s16, s0
	s_mul_i32 s4, s4, s7
	s_mov_b32 s5, s9
	s_addc_u32 s1, s17, s1
	s_lshl_b64 s[4:5], s[4:5], 2
	s_add_u32 s4, s18, s4
	v_lshlrev_b32_e32 v0, 3, v3
	v_mov_b32_e32 v1, 0
	s_addc_u32 s5, s19, s5
	v_mul_lo_u32 v6, v2, s14
	v_and_b32_e32 v0, 24, v0
	s_mov_b64 s[12:13], 0
	v_mov_b32_e32 v5, v1
.LBB279_3:                              ; =>This Inner Loop Header: Depth=1
	v_add_u32_e32 v7, v6, v4
	v_mad_i64_i32 v[8:9], s[16:17], v4, 36, s[4:5]
	v_mad_i64_i32 v[10:11], s[16:17], v7, 34, s[0:1]
	v_lshl_add_u64 v[12:13], v[8:9], 0, v[0:1]
	global_load_dword v7, v[8:9], off
	v_lshl_add_u64 v[8:9], v[10:11], 0, v[0:1]
	global_load_dwordx2 v[14:15], v[12:13], off offset:4
	global_load_dwordx2 v[16:17], v[8:9], off offset:2
	global_load_ushort v18, v[10:11], off
	v_mov_b32_e32 v8, 0
	v_add_u32_e32 v4, 16, v4
	v_cmp_le_u32_e32 vcc, s14, v4
	s_or_b64 s[12:13], vcc, s[12:13]
	s_waitcnt vmcnt(3)
	v_cvt_f32_f16_e32 v7, v7
	s_waitcnt vmcnt(1)
	v_dot4c_i32_i8_e32 v8, v16, v14
	s_waitcnt vmcnt(0)
	v_cvt_f32_f16_e32 v9, v18
	v_dot4c_i32_i8_e32 v8, v17, v15
	v_mul_f32_e32 v7, v9, v7
	s_nop 1
	v_cvt_f32_i32_e32 v8, v8
	v_fmac_f32_e32 v5, v7, v8
	s_andn2_b64 exec, exec, s[12:13]
	s_cbranch_execnz .LBB279_3
; %bb.4:
	s_or_b64 exec, exec, s[12:13]
.LBB279_5:
	s_or_b64 exec, exec, s[10:11]
	v_mbcnt_lo_u32_b32 v0, -1, 0
	v_mbcnt_hi_u32_b32 v1, -1, v0
	v_and_b32_e32 v0, 64, v1
	v_add_u32_e32 v4, 64, v0
	v_xor_b32_e32 v0, 32, v1
	v_cmp_lt_i32_e32 vcc, v0, v4
	v_xor_b32_e32 v6, 16, v1
	s_nop 0
	v_cndmask_b32_e32 v0, v1, v0, vcc
	v_lshlrev_b32_e32 v0, 2, v0
	ds_bpermute_b32 v0, v0, v5
	v_cmp_lt_i32_e32 vcc, v6, v4
	s_waitcnt lgkmcnt(0)
	v_add_f32_e32 v0, v5, v0
	v_cndmask_b32_e32 v5, v1, v6, vcc
	v_lshlrev_b32_e32 v5, 2, v5
	ds_bpermute_b32 v5, v5, v0
	v_xor_b32_e32 v6, 8, v1
	v_cmp_lt_i32_e32 vcc, v6, v4
	s_waitcnt lgkmcnt(0)
	v_add_f32_e32 v0, v0, v5
	v_cndmask_b32_e32 v5, v1, v6, vcc
	v_lshlrev_b32_e32 v5, 2, v5
	ds_bpermute_b32 v5, v5, v0
	v_xor_b32_e32 v6, 4, v1
	;; [unrolled: 7-line block ×4, first 2 shown]
	v_cmp_lt_i32_e32 vcc, v6, v4
	s_waitcnt lgkmcnt(0)
	v_add_f32_e32 v0, v0, v5
	v_cndmask_b32_e32 v1, v1, v6, vcc
	v_lshlrev_b32_e32 v1, 2, v1
	ds_bpermute_b32 v1, v1, v0
	v_cmp_eq_u32_e32 vcc, 0, v3
	s_and_b64 exec, exec, vcc
	s_cbranch_execz .LBB279_7
; %bb.6:
	s_waitcnt lgkmcnt(0)
	v_add_f32_e32 v0, v0, v1
	v_bfe_u32 v1, v0, 16, 1
	s_movk_i32 s0, 0x7fff
	v_add3_u32 v1, v0, v1, s0
	v_cmp_o_f32_e32 vcc, v0, v0
	v_mov_b32_e32 v0, 0x7fc0
	s_mul_i32 s0, s6, s8
	v_cndmask_b32_sdwa v3, v0, v1, vcc dst_sel:DWORD dst_unused:UNUSED_PAD src0_sel:DWORD src1_sel:WORD_1
	v_add_u32_e32 v0, s0, v2
	v_mov_b32_e32 v1, 0
	v_lshl_add_u64 v[0:1], v[0:1], 1, s[2:3]
	global_store_short v[0:1], v3, off
.LBB279_7:
	s_endpgm
	.section	.rodata,"a",@progbits
	.p2align	6, 0x0
	.amdhsa_kernel _ZL9moe_vec_qIN3c108BFloat16ELi32ELi8E10block_q8_0Li2EXadL_ZL17vec_dot_q8_0_q8_1PKvPK10block_q8_1RKiEEEvS4_S4_PT_PS8_iiii
		.amdhsa_group_segment_fixed_size 0
		.amdhsa_private_segment_fixed_size 0
		.amdhsa_kernarg_size 304
		.amdhsa_user_sgpr_count 2
		.amdhsa_user_sgpr_dispatch_ptr 0
		.amdhsa_user_sgpr_queue_ptr 0
		.amdhsa_user_sgpr_kernarg_segment_ptr 1
		.amdhsa_user_sgpr_dispatch_id 0
		.amdhsa_user_sgpr_kernarg_preload_length 0
		.amdhsa_user_sgpr_kernarg_preload_offset 0
		.amdhsa_user_sgpr_private_segment_size 0
		.amdhsa_uses_dynamic_stack 0
		.amdhsa_enable_private_segment 0
		.amdhsa_system_sgpr_workgroup_id_x 1
		.amdhsa_system_sgpr_workgroup_id_y 0
		.amdhsa_system_sgpr_workgroup_id_z 1
		.amdhsa_system_sgpr_workgroup_info 0
		.amdhsa_system_vgpr_workitem_id 1
		.amdhsa_next_free_vgpr 19
		.amdhsa_next_free_sgpr 20
		.amdhsa_accum_offset 20
		.amdhsa_reserve_vcc 1
		.amdhsa_float_round_mode_32 0
		.amdhsa_float_round_mode_16_64 0
		.amdhsa_float_denorm_mode_32 3
		.amdhsa_float_denorm_mode_16_64 3
		.amdhsa_dx10_clamp 1
		.amdhsa_ieee_mode 1
		.amdhsa_fp16_overflow 0
		.amdhsa_tg_split 0
		.amdhsa_exception_fp_ieee_invalid_op 0
		.amdhsa_exception_fp_denorm_src 0
		.amdhsa_exception_fp_ieee_div_zero 0
		.amdhsa_exception_fp_ieee_overflow 0
		.amdhsa_exception_fp_ieee_underflow 0
		.amdhsa_exception_fp_ieee_inexact 0
		.amdhsa_exception_int_div_zero 0
	.end_amdhsa_kernel
	.section	.text._ZL9moe_vec_qIN3c108BFloat16ELi32ELi8E10block_q8_0Li2EXadL_ZL17vec_dot_q8_0_q8_1PKvPK10block_q8_1RKiEEEvS4_S4_PT_PS8_iiii,"axG",@progbits,_ZL9moe_vec_qIN3c108BFloat16ELi32ELi8E10block_q8_0Li2EXadL_ZL17vec_dot_q8_0_q8_1PKvPK10block_q8_1RKiEEEvS4_S4_PT_PS8_iiii,comdat
.Lfunc_end279:
	.size	_ZL9moe_vec_qIN3c108BFloat16ELi32ELi8E10block_q8_0Li2EXadL_ZL17vec_dot_q8_0_q8_1PKvPK10block_q8_1RKiEEEvS4_S4_PT_PS8_iiii, .Lfunc_end279-_ZL9moe_vec_qIN3c108BFloat16ELi32ELi8E10block_q8_0Li2EXadL_ZL17vec_dot_q8_0_q8_1PKvPK10block_q8_1RKiEEEvS4_S4_PT_PS8_iiii
                                        ; -- End function
	.set _ZL9moe_vec_qIN3c108BFloat16ELi32ELi8E10block_q8_0Li2EXadL_ZL17vec_dot_q8_0_q8_1PKvPK10block_q8_1RKiEEEvS4_S4_PT_PS8_iiii.num_vgpr, 19
	.set _ZL9moe_vec_qIN3c108BFloat16ELi32ELi8E10block_q8_0Li2EXadL_ZL17vec_dot_q8_0_q8_1PKvPK10block_q8_1RKiEEEvS4_S4_PT_PS8_iiii.num_agpr, 0
	.set _ZL9moe_vec_qIN3c108BFloat16ELi32ELi8E10block_q8_0Li2EXadL_ZL17vec_dot_q8_0_q8_1PKvPK10block_q8_1RKiEEEvS4_S4_PT_PS8_iiii.numbered_sgpr, 20
	.set _ZL9moe_vec_qIN3c108BFloat16ELi32ELi8E10block_q8_0Li2EXadL_ZL17vec_dot_q8_0_q8_1PKvPK10block_q8_1RKiEEEvS4_S4_PT_PS8_iiii.num_named_barrier, 0
	.set _ZL9moe_vec_qIN3c108BFloat16ELi32ELi8E10block_q8_0Li2EXadL_ZL17vec_dot_q8_0_q8_1PKvPK10block_q8_1RKiEEEvS4_S4_PT_PS8_iiii.private_seg_size, 0
	.set _ZL9moe_vec_qIN3c108BFloat16ELi32ELi8E10block_q8_0Li2EXadL_ZL17vec_dot_q8_0_q8_1PKvPK10block_q8_1RKiEEEvS4_S4_PT_PS8_iiii.uses_vcc, 1
	.set _ZL9moe_vec_qIN3c108BFloat16ELi32ELi8E10block_q8_0Li2EXadL_ZL17vec_dot_q8_0_q8_1PKvPK10block_q8_1RKiEEEvS4_S4_PT_PS8_iiii.uses_flat_scratch, 0
	.set _ZL9moe_vec_qIN3c108BFloat16ELi32ELi8E10block_q8_0Li2EXadL_ZL17vec_dot_q8_0_q8_1PKvPK10block_q8_1RKiEEEvS4_S4_PT_PS8_iiii.has_dyn_sized_stack, 0
	.set _ZL9moe_vec_qIN3c108BFloat16ELi32ELi8E10block_q8_0Li2EXadL_ZL17vec_dot_q8_0_q8_1PKvPK10block_q8_1RKiEEEvS4_S4_PT_PS8_iiii.has_recursion, 0
	.set _ZL9moe_vec_qIN3c108BFloat16ELi32ELi8E10block_q8_0Li2EXadL_ZL17vec_dot_q8_0_q8_1PKvPK10block_q8_1RKiEEEvS4_S4_PT_PS8_iiii.has_indirect_call, 0
	.section	.AMDGPU.csdata,"",@progbits
; Kernel info:
; codeLenInByte = 764
; TotalNumSgprs: 26
; NumVgprs: 19
; NumAgprs: 0
; TotalNumVgprs: 19
; ScratchSize: 0
; MemoryBound: 0
; FloatMode: 240
; IeeeMode: 1
; LDSByteSize: 0 bytes/workgroup (compile time only)
; SGPRBlocks: 3
; VGPRBlocks: 2
; NumSGPRsForWavesPerEU: 26
; NumVGPRsForWavesPerEU: 19
; AccumOffset: 20
; Occupancy: 8
; WaveLimiterHint : 1
; COMPUTE_PGM_RSRC2:SCRATCH_EN: 0
; COMPUTE_PGM_RSRC2:USER_SGPR: 2
; COMPUTE_PGM_RSRC2:TRAP_HANDLER: 0
; COMPUTE_PGM_RSRC2:TGID_X_EN: 1
; COMPUTE_PGM_RSRC2:TGID_Y_EN: 0
; COMPUTE_PGM_RSRC2:TGID_Z_EN: 1
; COMPUTE_PGM_RSRC2:TIDIG_COMP_CNT: 1
; COMPUTE_PGM_RSRC3_GFX90A:ACCUM_OFFSET: 4
; COMPUTE_PGM_RSRC3_GFX90A:TG_SPLIT: 0
	.section	.text._ZL9moe_vec_qIN3c108BFloat16ELi256ELi16E10block_q2_KLi1EXadL_ZL17vec_dot_q2_K_q8_1PKvPK10block_q8_1RKiEEEvS4_S4_PT_PS8_iiii,"axG",@progbits,_ZL9moe_vec_qIN3c108BFloat16ELi256ELi16E10block_q2_KLi1EXadL_ZL17vec_dot_q2_K_q8_1PKvPK10block_q8_1RKiEEEvS4_S4_PT_PS8_iiii,comdat
	.globl	_ZL9moe_vec_qIN3c108BFloat16ELi256ELi16E10block_q2_KLi1EXadL_ZL17vec_dot_q2_K_q8_1PKvPK10block_q8_1RKiEEEvS4_S4_PT_PS8_iiii ; -- Begin function _ZL9moe_vec_qIN3c108BFloat16ELi256ELi16E10block_q2_KLi1EXadL_ZL17vec_dot_q2_K_q8_1PKvPK10block_q8_1RKiEEEvS4_S4_PT_PS8_iiii
	.p2align	8
	.type	_ZL9moe_vec_qIN3c108BFloat16ELi256ELi16E10block_q2_KLi1EXadL_ZL17vec_dot_q2_K_q8_1PKvPK10block_q8_1RKiEEEvS4_S4_PT_PS8_iiii,@function
_ZL9moe_vec_qIN3c108BFloat16ELi256ELi16E10block_q2_KLi1EXadL_ZL17vec_dot_q2_K_q8_1PKvPK10block_q8_1RKiEEEvS4_S4_PT_PS8_iiii: ; @_ZL9moe_vec_qIN3c108BFloat16ELi256ELi16E10block_q2_KLi1EXadL_ZL17vec_dot_q2_K_q8_1PKvPK10block_q8_1RKiEEEvS4_S4_PT_PS8_iiii
; %bb.0:
	s_mov_b32 s8, s3
	s_load_dword s3, s[0:1], 0x3c
	s_load_dwordx4 s[4:7], s[0:1], 0x20
	v_bfe_u32 v1, v0, 10, 10
	s_waitcnt lgkmcnt(0)
	s_lshr_b32 s3, s3, 16
	s_mul_i32 s2, s2, s3
	v_add_u32_e32 v10, s2, v1
	v_cmp_gt_u32_e32 vcc, s6, v10
	s_and_saveexec_b64 s[2:3], vcc
	s_cbranch_execz .LBB280_7
; %bb.1:
	s_load_dwordx2 s[2:3], s[0:1], 0x10
	s_ashr_i32 s9, s5, 31
	s_lshr_b32 s9, s9, 24
	s_add_i32 s5, s5, s9
	s_ashr_i32 s5, s5, 8
	v_bfe_u32 v12, v0, 4, 6
	v_and_b32_e32 v11, 0x3ff, v0
	v_cmp_gt_u32_e32 vcc, s5, v12
	v_mov_b32_e32 v13, 0
	s_and_saveexec_b64 s[10:11], vcc
	s_cbranch_execz .LBB280_5
; %bb.2:
	s_load_dwordx2 s[12:13], s[0:1], 0x18
	v_cvt_f32_u32_e32 v0, s4
	s_mov_b32 s9, 0
	s_lshl_b64 s[14:15], s[8:9], 2
	v_and_b32_e32 v8, 15, v11
	s_waitcnt lgkmcnt(0)
	s_add_u32 s12, s12, s14
	v_rcp_iflag_f32_e32 v0, v0
	s_addc_u32 s13, s13, s15
	s_load_dword s14, s[12:13], 0x0
	s_load_dwordx4 s[16:19], s[0:1], 0x0
	s_mul_i32 s0, s5, s6
	v_mul_f32_e32 v0, 0x4f7ffffe, v0
	v_cvt_u32_f32_e32 v0, v0
	s_waitcnt lgkmcnt(0)
	s_mul_i32 s0, s0, s14
	s_mul_hi_i32 s1, s0, 0x54
	s_mulk_i32 s0, 0x54
	s_add_u32 s14, s16, s0
	s_addc_u32 s15, s17, s1
	s_sub_i32 s0, 0, s4
	v_readfirstlane_b32 s1, v0
	s_mul_i32 s0, s0, s1
	s_mul_hi_u32 s0, s1, s0
	s_add_i32 s1, s1, s0
	s_mul_hi_u32 s0, s8, s1
	s_mul_i32 s1, s0, s4
	s_sub_i32 s1, s8, s1
	s_add_i32 s13, s0, 1
	s_sub_i32 s16, s1, s4
	s_cmp_ge_u32 s1, s4
	s_cselect_b32 s0, s13, s0
	s_cselect_b32 s1, s16, s1
	s_add_i32 s13, s0, 1
	s_cmp_ge_u32 s1, s4
	s_cselect_b32 s0, s13, s0
	s_mul_i32 s0, s0, s7
	s_mov_b32 s1, s9
	s_lshl_b64 s[0:1], s[0:1], 2
	v_mov_b32_e32 v1, 0
	v_subrev_co_u32_e32 v2, vcc, 8, v8
	s_add_u32 s0, s18, s0
	v_lshrrev_b32_e32 v0, 1, v11
	v_cndmask_b32_e32 v6, v2, v8, vcc
	v_mov_b32_e32 v7, v1
	s_addc_u32 s1, s19, s1
	v_and_b32_e32 v4, 4, v0
	v_lshlrev_b64 v[2:3], 2, v[6:7]
	v_sub_u32_e32 v7, v8, v6
	v_cmp_lt_u32_e32 vcc, 3, v6
	v_mad_u64_u32 v[4:5], s[0:1], v4, 36, s[0:1]
	s_nop 0
	v_addc_co_u32_e32 v6, vcc, 0, v7, vcc
	s_movk_i32 s12, 0x54
	v_mul_lo_u32 v14, v10, s5
	v_lshlrev_b32_e32 v0, 2, v8
	v_ashrrev_i32_e32 v7, 31, v6
	v_lshlrev_b32_e32 v15, 3, v12
	s_mov_b64 s[0:1], 0
	v_mov_b64_e32 v[8:9], s[14:15]
	s_mov_b32 s4, 0x1010101
	v_mov_b32_e32 v13, v1
.LBB280_3:                              ; =>This Inner Loop Header: Depth=1
	v_mad_i64_i32 v[16:17], s[14:15], v15, 36, v[4:5]
	v_add_u32_e32 v18, v14, v12
	v_lshl_add_u64 v[20:21], v[16:17], 0, v[2:3]
	v_mad_i64_i32 v[18:19], s[14:15], v18, s12, v[8:9]
	global_load_dword v24, v[16:17], off
	global_load_dword v25, v[16:17], off offset:36
	global_load_dword v26, v[16:17], off offset:72
	global_load_dword v27, v[20:21], off offset:4
	global_load_dword v28, v[20:21], off offset:40
	global_load_dword v29, v[20:21], off offset:76
	global_load_dword v30, v[20:21], off offset:112
	global_load_dword v31, v[16:17], off offset:108
	v_lshl_add_u64 v[22:23], v[18:19], 0, v[0:1]
	v_lshl_add_u64 v[16:17], v[18:19], 0, v[6:7]
	global_load_dword v21, v[22:23], off offset:16
	global_load_ubyte v32, v[16:17], off
	global_load_ubyte v33, v[16:17], off offset:2
	global_load_ubyte v34, v[16:17], off offset:4
	;; [unrolled: 1-line block ×3, first 2 shown]
	global_load_dword v36, v[18:19], off offset:80
	v_mov_b32_e32 v17, 0
	v_mov_b32_e32 v19, 0
	;; [unrolled: 1-line block ×8, first 2 shown]
	v_add_u32_e32 v12, 4, v12
	v_cmp_le_u32_e32 vcc, s5, v12
	v_add_u32_e32 v15, 32, v15
	s_or_b64 s[0:1], vcc, s[0:1]
	s_waitcnt vmcnt(13)
	v_cvt_f32_f16_e32 v16, v24
	s_waitcnt vmcnt(5)
	v_lshrrev_b32_e32 v42, 2, v21
	v_cvt_f32_f16_e32 v20, v26
	v_cvt_f32_f16_e32 v22, v31
	v_and_b32_e32 v26, 0x3030303, v21
	s_waitcnt vmcnt(4)
	v_and_b32_e32 v31, 15, v32
	v_lshrrev_b32_e32 v32, 4, v32
	s_waitcnt vmcnt(3)
	v_and_b32_e32 v43, 15, v33
	v_lshrrev_b32_e32 v33, 4, v33
	v_lshrrev_b32_e32 v44, 4, v21
	;; [unrolled: 1-line block ×3, first 2 shown]
	v_dot4c_i32_i8_e32 v17, v26, v27
	v_mul_lo_u32 v26, v32, s4
	v_and_b32_e32 v32, 0x3030303, v42
	v_cvt_f32_f16_e32 v18, v25
	s_waitcnt vmcnt(2)
	v_and_b32_e32 v45, 15, v34
	v_lshrrev_b32_e32 v34, 4, v34
	s_waitcnt vmcnt(0)
	v_cvt_f32_f16_e32 v24, v36
	v_cvt_f32_f16_sdwa v25, v36 dst_sel:DWORD dst_unused:UNUSED_PAD src0_sel:WORD_1
	v_mul_lo_u32 v33, v33, s4
	v_and_b32_e32 v36, 0x3030303, v44
	v_and_b32_e32 v21, 0x3030303, v21
	v_mul_lo_u32 v17, v31, v17
	v_dot4c_i32_i8_e32 v19, v26, v27
	v_dot4c_i32_i8_e32 v23, v32, v28
	v_and_b32_e32 v46, 15, v35
	v_lshrrev_b32_e32 v35, 4, v35
	v_mul_lo_u32 v34, v34, s4
	v_dot4c_i32_i8_e32 v37, v33, v28
	v_dot4c_i32_i8_e32 v38, v36, v29
	;; [unrolled: 1-line block ×3, first 2 shown]
	v_mul_lo_u32 v21, v43, v23
	v_cvt_f32_i32_e32 v27, v19
	v_cvt_f32_i32_e32 v26, v17
	v_mul_lo_u32 v35, v35, s4
	v_dot4c_i32_i8_e32 v39, v34, v29
	v_mul_lo_u32 v23, v45, v38
	v_cvt_f32_i32_e32 v29, v37
	v_cvt_f32_i32_e32 v28, v21
	v_dot4c_i32_i8_e32 v41, v35, v30
	v_mul_lo_u32 v32, v46, v40
	v_cvt_f32_i32_e32 v31, v39
	v_cvt_f32_i32_e32 v30, v23
	;; [unrolled: 1-line block ×4, first 2 shown]
	v_pk_fma_f32 v[16:17], v[16:17], v[26:27], 0 op_sel_hi:[0,1,0]
	v_pk_fma_f32 v[16:17], v[18:19], v[28:29], v[16:17] op_sel_hi:[0,1,1]
	;; [unrolled: 1-line block ×4, first 2 shown]
	v_pk_mul_f32 v[16:17], v[16:17], v[24:25]
	s_nop 0
	v_sub_f32_e32 v16, v16, v17
	v_add_f32_e32 v13, v13, v16
	s_andn2_b64 exec, exec, s[0:1]
	s_cbranch_execnz .LBB280_3
; %bb.4:
	s_or_b64 exec, exec, s[0:1]
.LBB280_5:
	s_or_b64 exec, exec, s[10:11]
	v_mbcnt_lo_u32_b32 v0, -1, 0
	v_mbcnt_hi_u32_b32 v1, -1, v0
	v_and_b32_e32 v0, 64, v1
	v_add_u32_e32 v2, 64, v0
	v_xor_b32_e32 v0, 32, v1
	v_cmp_lt_i32_e32 vcc, v0, v2
	v_xor_b32_e32 v3, 16, v1
	v_xor_b32_e32 v4, 8, v1
	v_cndmask_b32_e32 v0, v1, v0, vcc
	v_lshlrev_b32_e32 v0, 2, v0
	ds_bpermute_b32 v0, v0, v13
	v_cmp_lt_i32_e32 vcc, v3, v2
	s_waitcnt lgkmcnt(0)
	v_add_f32_e32 v0, v13, v0
	v_cndmask_b32_e32 v3, v1, v3, vcc
	v_lshlrev_b32_e32 v3, 2, v3
	ds_bpermute_b32 v3, v3, v0
	v_cmp_lt_i32_e32 vcc, v4, v2
	s_waitcnt lgkmcnt(0)
	v_add_f32_e32 v0, v0, v3
	v_cndmask_b32_e32 v3, v1, v4, vcc
	v_lshlrev_b32_e32 v3, 2, v3
	ds_bpermute_b32 v3, v3, v0
	v_xor_b32_e32 v4, 4, v1
	v_cmp_lt_i32_e32 vcc, v4, v2
	s_waitcnt lgkmcnt(0)
	v_add_f32_e32 v0, v0, v3
	v_cndmask_b32_e32 v3, v1, v4, vcc
	v_lshlrev_b32_e32 v3, 2, v3
	ds_bpermute_b32 v3, v3, v0
	v_xor_b32_e32 v4, 2, v1
	v_cmp_lt_i32_e32 vcc, v4, v2
	s_waitcnt lgkmcnt(0)
	v_add_f32_e32 v0, v0, v3
	v_cndmask_b32_e32 v3, v1, v4, vcc
	v_lshlrev_b32_e32 v3, 2, v3
	ds_bpermute_b32 v3, v3, v0
	v_xor_b32_e32 v4, 1, v1
	v_cmp_lt_i32_e32 vcc, v4, v2
	s_waitcnt lgkmcnt(0)
	v_add_f32_e32 v0, v0, v3
	v_cndmask_b32_e32 v1, v1, v4, vcc
	v_lshlrev_b32_e32 v1, 2, v1
	ds_bpermute_b32 v1, v1, v0
	v_cmp_eq_u32_e32 vcc, 0, v11
	s_and_b64 exec, exec, vcc
	s_cbranch_execz .LBB280_7
; %bb.6:
	s_waitcnt lgkmcnt(0)
	v_add_f32_e32 v0, v0, v1
	v_bfe_u32 v1, v0, 16, 1
	s_movk_i32 s0, 0x7fff
	v_add3_u32 v1, v0, v1, s0
	v_cmp_o_f32_e32 vcc, v0, v0
	v_mov_b32_e32 v0, 0x7fc0
	s_mul_i32 s0, s6, s8
	v_cndmask_b32_sdwa v2, v0, v1, vcc dst_sel:DWORD dst_unused:UNUSED_PAD src0_sel:DWORD src1_sel:WORD_1
	v_add_u32_e32 v0, s0, v10
	v_mov_b32_e32 v1, 0
	v_lshl_add_u64 v[0:1], v[0:1], 1, s[2:3]
	global_store_short v[0:1], v2, off
.LBB280_7:
	s_endpgm
	.section	.rodata,"a",@progbits
	.p2align	6, 0x0
	.amdhsa_kernel _ZL9moe_vec_qIN3c108BFloat16ELi256ELi16E10block_q2_KLi1EXadL_ZL17vec_dot_q2_K_q8_1PKvPK10block_q8_1RKiEEEvS4_S4_PT_PS8_iiii
		.amdhsa_group_segment_fixed_size 0
		.amdhsa_private_segment_fixed_size 0
		.amdhsa_kernarg_size 304
		.amdhsa_user_sgpr_count 2
		.amdhsa_user_sgpr_dispatch_ptr 0
		.amdhsa_user_sgpr_queue_ptr 0
		.amdhsa_user_sgpr_kernarg_segment_ptr 1
		.amdhsa_user_sgpr_dispatch_id 0
		.amdhsa_user_sgpr_kernarg_preload_length 0
		.amdhsa_user_sgpr_kernarg_preload_offset 0
		.amdhsa_user_sgpr_private_segment_size 0
		.amdhsa_uses_dynamic_stack 0
		.amdhsa_enable_private_segment 0
		.amdhsa_system_sgpr_workgroup_id_x 1
		.amdhsa_system_sgpr_workgroup_id_y 0
		.amdhsa_system_sgpr_workgroup_id_z 1
		.amdhsa_system_sgpr_workgroup_info 0
		.amdhsa_system_vgpr_workitem_id 1
		.amdhsa_next_free_vgpr 47
		.amdhsa_next_free_sgpr 20
		.amdhsa_accum_offset 48
		.amdhsa_reserve_vcc 1
		.amdhsa_float_round_mode_32 0
		.amdhsa_float_round_mode_16_64 0
		.amdhsa_float_denorm_mode_32 3
		.amdhsa_float_denorm_mode_16_64 3
		.amdhsa_dx10_clamp 1
		.amdhsa_ieee_mode 1
		.amdhsa_fp16_overflow 0
		.amdhsa_tg_split 0
		.amdhsa_exception_fp_ieee_invalid_op 0
		.amdhsa_exception_fp_denorm_src 0
		.amdhsa_exception_fp_ieee_div_zero 0
		.amdhsa_exception_fp_ieee_overflow 0
		.amdhsa_exception_fp_ieee_underflow 0
		.amdhsa_exception_fp_ieee_inexact 0
		.amdhsa_exception_int_div_zero 0
	.end_amdhsa_kernel
	.section	.text._ZL9moe_vec_qIN3c108BFloat16ELi256ELi16E10block_q2_KLi1EXadL_ZL17vec_dot_q2_K_q8_1PKvPK10block_q8_1RKiEEEvS4_S4_PT_PS8_iiii,"axG",@progbits,_ZL9moe_vec_qIN3c108BFloat16ELi256ELi16E10block_q2_KLi1EXadL_ZL17vec_dot_q2_K_q8_1PKvPK10block_q8_1RKiEEEvS4_S4_PT_PS8_iiii,comdat
.Lfunc_end280:
	.size	_ZL9moe_vec_qIN3c108BFloat16ELi256ELi16E10block_q2_KLi1EXadL_ZL17vec_dot_q2_K_q8_1PKvPK10block_q8_1RKiEEEvS4_S4_PT_PS8_iiii, .Lfunc_end280-_ZL9moe_vec_qIN3c108BFloat16ELi256ELi16E10block_q2_KLi1EXadL_ZL17vec_dot_q2_K_q8_1PKvPK10block_q8_1RKiEEEvS4_S4_PT_PS8_iiii
                                        ; -- End function
	.set _ZL9moe_vec_qIN3c108BFloat16ELi256ELi16E10block_q2_KLi1EXadL_ZL17vec_dot_q2_K_q8_1PKvPK10block_q8_1RKiEEEvS4_S4_PT_PS8_iiii.num_vgpr, 47
	.set _ZL9moe_vec_qIN3c108BFloat16ELi256ELi16E10block_q2_KLi1EXadL_ZL17vec_dot_q2_K_q8_1PKvPK10block_q8_1RKiEEEvS4_S4_PT_PS8_iiii.num_agpr, 0
	.set _ZL9moe_vec_qIN3c108BFloat16ELi256ELi16E10block_q2_KLi1EXadL_ZL17vec_dot_q2_K_q8_1PKvPK10block_q8_1RKiEEEvS4_S4_PT_PS8_iiii.numbered_sgpr, 20
	.set _ZL9moe_vec_qIN3c108BFloat16ELi256ELi16E10block_q2_KLi1EXadL_ZL17vec_dot_q2_K_q8_1PKvPK10block_q8_1RKiEEEvS4_S4_PT_PS8_iiii.num_named_barrier, 0
	.set _ZL9moe_vec_qIN3c108BFloat16ELi256ELi16E10block_q2_KLi1EXadL_ZL17vec_dot_q2_K_q8_1PKvPK10block_q8_1RKiEEEvS4_S4_PT_PS8_iiii.private_seg_size, 0
	.set _ZL9moe_vec_qIN3c108BFloat16ELi256ELi16E10block_q2_KLi1EXadL_ZL17vec_dot_q2_K_q8_1PKvPK10block_q8_1RKiEEEvS4_S4_PT_PS8_iiii.uses_vcc, 1
	.set _ZL9moe_vec_qIN3c108BFloat16ELi256ELi16E10block_q2_KLi1EXadL_ZL17vec_dot_q2_K_q8_1PKvPK10block_q8_1RKiEEEvS4_S4_PT_PS8_iiii.uses_flat_scratch, 0
	.set _ZL9moe_vec_qIN3c108BFloat16ELi256ELi16E10block_q2_KLi1EXadL_ZL17vec_dot_q2_K_q8_1PKvPK10block_q8_1RKiEEEvS4_S4_PT_PS8_iiii.has_dyn_sized_stack, 0
	.set _ZL9moe_vec_qIN3c108BFloat16ELi256ELi16E10block_q2_KLi1EXadL_ZL17vec_dot_q2_K_q8_1PKvPK10block_q8_1RKiEEEvS4_S4_PT_PS8_iiii.has_recursion, 0
	.set _ZL9moe_vec_qIN3c108BFloat16ELi256ELi16E10block_q2_KLi1EXadL_ZL17vec_dot_q2_K_q8_1PKvPK10block_q8_1RKiEEEvS4_S4_PT_PS8_iiii.has_indirect_call, 0
	.section	.AMDGPU.csdata,"",@progbits
; Kernel info:
; codeLenInByte = 1224
; TotalNumSgprs: 26
; NumVgprs: 47
; NumAgprs: 0
; TotalNumVgprs: 47
; ScratchSize: 0
; MemoryBound: 0
; FloatMode: 240
; IeeeMode: 1
; LDSByteSize: 0 bytes/workgroup (compile time only)
; SGPRBlocks: 3
; VGPRBlocks: 5
; NumSGPRsForWavesPerEU: 26
; NumVGPRsForWavesPerEU: 47
; AccumOffset: 48
; Occupancy: 8
; WaveLimiterHint : 1
; COMPUTE_PGM_RSRC2:SCRATCH_EN: 0
; COMPUTE_PGM_RSRC2:USER_SGPR: 2
; COMPUTE_PGM_RSRC2:TRAP_HANDLER: 0
; COMPUTE_PGM_RSRC2:TGID_X_EN: 1
; COMPUTE_PGM_RSRC2:TGID_Y_EN: 0
; COMPUTE_PGM_RSRC2:TGID_Z_EN: 1
; COMPUTE_PGM_RSRC2:TIDIG_COMP_CNT: 1
; COMPUTE_PGM_RSRC3_GFX90A:ACCUM_OFFSET: 11
; COMPUTE_PGM_RSRC3_GFX90A:TG_SPLIT: 0
	.section	.text._ZL9moe_vec_qIN3c108BFloat16ELi256ELi16E10block_q3_KLi1EXadL_ZL17vec_dot_q3_K_q8_1PKvPK10block_q8_1RKiEEEvS4_S4_PT_PS8_iiii,"axG",@progbits,_ZL9moe_vec_qIN3c108BFloat16ELi256ELi16E10block_q3_KLi1EXadL_ZL17vec_dot_q3_K_q8_1PKvPK10block_q8_1RKiEEEvS4_S4_PT_PS8_iiii,comdat
	.globl	_ZL9moe_vec_qIN3c108BFloat16ELi256ELi16E10block_q3_KLi1EXadL_ZL17vec_dot_q3_K_q8_1PKvPK10block_q8_1RKiEEEvS4_S4_PT_PS8_iiii ; -- Begin function _ZL9moe_vec_qIN3c108BFloat16ELi256ELi16E10block_q3_KLi1EXadL_ZL17vec_dot_q3_K_q8_1PKvPK10block_q8_1RKiEEEvS4_S4_PT_PS8_iiii
	.p2align	8
	.type	_ZL9moe_vec_qIN3c108BFloat16ELi256ELi16E10block_q3_KLi1EXadL_ZL17vec_dot_q3_K_q8_1PKvPK10block_q8_1RKiEEEvS4_S4_PT_PS8_iiii,@function
_ZL9moe_vec_qIN3c108BFloat16ELi256ELi16E10block_q3_KLi1EXadL_ZL17vec_dot_q3_K_q8_1PKvPK10block_q8_1RKiEEEvS4_S4_PT_PS8_iiii: ; @_ZL9moe_vec_qIN3c108BFloat16ELi256ELi16E10block_q3_KLi1EXadL_ZL17vec_dot_q3_K_q8_1PKvPK10block_q8_1RKiEEEvS4_S4_PT_PS8_iiii
; %bb.0:
	s_mov_b32 s8, s3
	s_load_dword s3, s[0:1], 0x3c
	s_load_dwordx4 s[4:7], s[0:1], 0x20
	v_bfe_u32 v1, v0, 10, 10
	s_waitcnt lgkmcnt(0)
	s_lshr_b32 s3, s3, 16
	s_mul_i32 s2, s2, s3
	v_add_u32_e32 v22, s2, v1
	v_cmp_gt_u32_e32 vcc, s6, v22
	s_and_saveexec_b64 s[2:3], vcc
	s_cbranch_execz .LBB281_7
; %bb.1:
	s_load_dwordx2 s[2:3], s[0:1], 0x10
	s_ashr_i32 s9, s5, 31
	s_lshr_b32 s9, s9, 24
	s_add_i32 s5, s5, s9
	s_ashr_i32 s12, s5, 8
	v_bfe_u32 v24, v0, 4, 6
	v_and_b32_e32 v23, 0x3ff, v0
	v_cmp_gt_u32_e32 vcc, s12, v24
	v_mov_b32_e32 v33, 0
	s_and_saveexec_b64 s[10:11], vcc
	s_cbranch_execz .LBB281_5
; %bb.2:
	s_load_dwordx2 s[14:15], s[0:1], 0x18
	v_cvt_f32_u32_e32 v0, s4
	s_mov_b32 s9, 0
	s_lshl_b64 s[16:17], s[8:9], 2
	v_and_b32_e32 v8, 15, v23
	s_waitcnt lgkmcnt(0)
	s_add_u32 s14, s14, s16
	v_rcp_iflag_f32_e32 v0, v0
	s_addc_u32 s15, s15, s17
	s_load_dword s5, s[14:15], 0x0
	s_load_dwordx4 s[16:19], s[0:1], 0x0
	s_mul_i32 s0, s12, s6
	v_mul_f32_e32 v0, 0x4f7ffffe, v0
	v_cvt_u32_f32_e32 v0, v0
	s_waitcnt lgkmcnt(0)
	s_mul_i32 s0, s0, s5
	s_mul_hi_i32 s1, s0, 0x6e
	s_mulk_i32 s0, 0x6e
	s_add_u32 s0, s16, s0
	s_addc_u32 s1, s17, s1
	s_sub_i32 s5, 0, s4
	v_readfirstlane_b32 s14, v0
	s_mul_i32 s5, s5, s14
	s_mul_hi_u32 s5, s14, s5
	s_add_i32 s14, s14, s5
	v_lshrrev_b32_e32 v0, 1, v23
	s_mul_hi_u32 s5, s8, s14
	v_and_b32_e32 v26, 4, v0
	v_subrev_co_u32_e32 v0, vcc, 8, v8
	v_mov_b32_e32 v1, 0
	s_mul_i32 s14, s5, s4
	v_cndmask_b32_e32 v6, v0, v8, vcc
	v_mov_b32_e32 v7, v1
	s_sub_i32 s14, s8, s14
	v_lshlrev_b64 v[2:3], 2, v[6:7]
	v_sub_u32_e32 v7, v8, v6
	v_cmp_lt_u32_e32 vcc, 3, v6
	s_add_i32 s15, s5, 1
	s_sub_i32 s16, s14, s4
	v_addc_co_u32_e32 v18, vcc, 0, v7, vcc
	s_cmp_ge_u32 s14, s4
	v_mov_b32_e32 v19, 7
	v_add_u16_e32 v12, 2, v18
	s_cselect_b32 s5, s15, s5
	v_lshlrev_b32_e32 v0, 2, v8
	v_lshrrev_b16_sdwa v8, v19, sext(v18) dst_sel:DWORD dst_unused:UNUSED_PAD src0_sel:DWORD src1_sel:BYTE_0
	v_mov_b32_e32 v20, 5
	v_mov_b32_e32 v35, 6
	v_lshrrev_b16_sdwa v13, v19, sext(v12) dst_sel:DWORD dst_unused:UNUSED_PAD src0_sel:DWORD src1_sel:BYTE_0
	s_cselect_b32 s14, s16, s14
	s_add_i32 s15, s5, 1
	v_lshrrev_b16_sdwa v6, v20, v8 dst_sel:DWORD dst_unused:UNUSED_PAD src0_sel:DWORD src1_sel:BYTE_0
	v_lshrrev_b16_sdwa v8, v35, v8 dst_sel:DWORD dst_unused:UNUSED_PAD src0_sel:DWORD src1_sel:BYTE_0
	v_lshrrev_b16_sdwa v10, v20, v13 dst_sel:DWORD dst_unused:UNUSED_PAD src0_sel:DWORD src1_sel:BYTE_0
	v_lshrrev_b16_sdwa v13, v35, v13 dst_sel:DWORD dst_unused:UNUSED_PAD src0_sel:DWORD src1_sel:BYTE_0
	s_cmp_ge_u32 s14, s4
	v_add_u16_e32 v6, v18, v6
	v_mov_b32_e32 v21, 3
	v_mov_b32_e32 v33, 2
	v_add_u16_e32 v8, v18, v8
	v_add_u16_e32 v13, v12, v13
	;; [unrolled: 1-line block ×4, first 2 shown]
	s_cselect_b32 s4, s15, s5
	v_lshrrev_b16_sdwa v7, v21, sext(v6) dst_sel:DWORD dst_unused:UNUSED_PAD src0_sel:DWORD src1_sel:BYTE_0
	v_and_b32_e32 v6, 0xf8, v6
	v_ashrrev_i16_sdwa v9, v33, sext(v8) dst_sel:DWORD dst_unused:UNUSED_PAD src0_sel:DWORD src1_sel:BYTE_0
	v_and_b32_e32 v8, 0xfc, v8
	v_mov_b32_e32 v36, 1
	v_ashrrev_i16_sdwa v14, v33, sext(v13) dst_sel:DWORD dst_unused:UNUSED_PAD src0_sel:DWORD src1_sel:BYTE_0
	v_lshrrev_b16_sdwa v17, v19, sext(v16) dst_sel:DWORD dst_unused:UNUSED_PAD src0_sel:DWORD src1_sel:BYTE_0
	v_lshrrev_b16_sdwa v38, v19, sext(v37) dst_sel:DWORD dst_unused:UNUSED_PAD src0_sel:DWORD src1_sel:BYTE_0
	s_mul_i32 s4, s4, s7
	s_mov_b32 s5, s9
	v_sub_u16_e32 v6, v18, v6
	v_sub_u16_e32 v8, v18, v8
	v_lshlrev_b32_sdwa v30, v36, sext(v14) dst_sel:DWORD dst_unused:UNUSED_PAD src0_sel:DWORD src1_sel:WORD_0
	v_lshrrev_b16_sdwa v14, v20, v17 dst_sel:DWORD dst_unused:UNUSED_PAD src0_sel:DWORD src1_sel:BYTE_0
	v_lshrrev_b16_sdwa v17, v35, v17 dst_sel:DWORD dst_unused:UNUSED_PAD src0_sel:DWORD src1_sel:BYTE_0
	;; [unrolled: 1-line block ×4, first 2 shown]
	s_lshl_b64 s[4:5], s[4:5], 2
	v_add_u16_e32 v10, v12, v10
	v_add_u16_e32 v14, v16, v14
	v_add_u16_e32 v17, v16, v17
	v_add_u16_e32 v18, v37, v18
	v_add_u16_e32 v20, v37, v20
	s_add_u32 s4, s18, s4
	v_lshrrev_b16_sdwa v11, v21, sext(v10) dst_sel:DWORD dst_unused:UNUSED_PAD src0_sel:DWORD src1_sel:BYTE_0
	v_and_b32_e32 v10, 0xf8, v10
	v_and_b32_e32 v13, 0xfc, v13
	v_lshrrev_b16_sdwa v15, v21, sext(v14) dst_sel:DWORD dst_unused:UNUSED_PAD src0_sel:DWORD src1_sel:BYTE_0
	v_and_b32_e32 v14, 0xf8, v14
	v_lshrrev_b16_sdwa v32, v33, sext(v17) dst_sel:DWORD dst_unused:UNUSED_PAD src0_sel:DWORD src1_sel:BYTE_0
	;; [unrolled: 2-line block ×4, first 2 shown]
	v_and_b32_e32 v20, 0xfc, v20
	s_addc_u32 s5, s19, s5
	v_sub_u16_e32 v10, v12, v10
	v_sub_u16_e32 v12, v12, v13
	;; [unrolled: 1-line block ×6, first 2 shown]
	v_mad_u64_u32 v[4:5], s[4:5], v26, 36, s[4:5]
	v_bfe_i32 v6, v6, 0, 8
	v_bfe_i32 v8, v8, 0, 8
	;; [unrolled: 1-line block ×8, first 2 shown]
	s_movk_i32 s13, 0x6e
	v_mul_lo_u32 v25, v22, s12
	s_movk_i32 s7, 0xff
	v_lshlrev_b32_sdwa v27, v33, v7 dst_sel:DWORD dst_unused:UNUSED_PAD src0_sel:DWORD src1_sel:BYTE_0
	v_ashrrev_i32_e32 v7, 31, v6
	v_lshlrev_b32_sdwa v28, v36, sext(v9) dst_sel:DWORD dst_unused:UNUSED_PAD src0_sel:DWORD src1_sel:WORD_0
	v_ashrrev_i32_e32 v9, 31, v8
	v_lshlrev_b32_sdwa v29, v33, v11 dst_sel:DWORD dst_unused:UNUSED_PAD src0_sel:DWORD src1_sel:BYTE_0
	v_ashrrev_i32_e32 v11, 31, v10
	v_ashrrev_i32_e32 v13, 31, v12
	v_lshlrev_b32_sdwa v31, v33, v15 dst_sel:DWORD dst_unused:UNUSED_PAD src0_sel:DWORD src1_sel:BYTE_0
	v_ashrrev_i32_e32 v15, 31, v14
	v_lshlrev_b32_sdwa v32, v36, v32 dst_sel:DWORD dst_unused:UNUSED_PAD src0_sel:DWORD src1_sel:BYTE_0
	;; [unrolled: 2-line block ×4, first 2 shown]
	v_ashrrev_i32_e32 v21, 31, v20
	v_lshlrev_b32_e32 v36, 3, v24
	s_mov_b64 s[4:5], 0
	s_mov_b32 s9, 0x4040404
	v_mov_b32_e32 v33, v1
.LBB281_3:                              ; =>This Inner Loop Header: Depth=1
	v_add_u32_e32 v37, v25, v24
	v_mov_b64_e32 v[38:39], s[0:1]
	v_mad_i64_i32 v[46:47], s[14:15], v36, 36, v[4:5]
	v_mad_i64_i32 v[48:49], s[14:15], v37, s13, v[38:39]
	v_lshl_add_u64 v[50:51], v[46:47], 0, v[2:3]
	global_load_dword v37, v[46:47], off
	global_load_dword v38, v[46:47], off offset:36
	global_load_dword v39, v[46:47], off offset:72
	v_lshl_add_u64 v[54:55], v[48:49], 0, v[2:3]
	global_load_dword v41, v[50:51], off offset:4
	global_load_dword v42, v[50:51], off offset:40
	;; [unrolled: 1-line block ×5, first 2 shown]
	v_lshl_add_u64 v[46:47], v[48:49], 0, v[6:7]
	v_lshl_add_u64 v[52:53], v[48:49], 0, v[0:1]
	;; [unrolled: 1-line block ×5, first 2 shown]
	global_load_ushort v44, v[48:49], off offset:108
	global_load_dword v62, v[52:53], off offset:32
	global_load_dword v63, v[54:55], off
	s_nop 0
	global_load_ubyte v54, v[46:47], off offset:96
	global_load_ubyte v55, v[50:51], off offset:104
	v_lshl_add_u64 v[60:61], v[48:49], 0, v[14:15]
	v_lshl_add_u64 v[52:53], v[48:49], 0, v[16:17]
	;; [unrolled: 1-line block ×4, first 2 shown]
	global_load_ubyte v50, v[56:57], off offset:96
	global_load_ubyte v51, v[58:59], off offset:104
                                        ; kill: killed $vgpr56_vgpr57
                                        ; kill: killed $vgpr58_vgpr59
	s_nop 0
	global_load_ubyte v56, v[60:61], off offset:96
	global_load_ubyte v57, v[52:53], off offset:104
	;; [unrolled: 1-line block ×4, first 2 shown]
	v_add_u32_e32 v24, 4, v24
	v_cmp_le_u32_e32 vcc, s12, v24
	v_add_u32_e32 v36, 32, v36
	s_or_b64 s[4:5], vcc, s[4:5]
	s_waitcnt vmcnt(5)
	v_bfe_u32 v50, v50, v29, 4
	v_ashrrev_i32_e32 v46, v26, v63
	v_lshrrev_b32_e32 v48, v28, v55
	v_bfe_u32 v47, v54, v27, 4
	s_waitcnt vmcnt(4)
	v_lshrrev_b32_e32 v51, v30, v51
	s_waitcnt vmcnt(3)
	v_bfe_u32 v54, v56, v31, 4
	s_waitcnt vmcnt(2)
	v_lshrrev_b32_e32 v55, v32, v57
	v_lshrrev_b32_e32 v56, 4, v62
	s_waitcnt vmcnt(1)
	v_bfe_u32 v57, v58, v34, 4
	s_waitcnt vmcnt(0)
	v_lshrrev_b32_e32 v58, v35, v59
	v_lshlrev_b32_e32 v48, 4, v48
	v_not_b32_e32 v59, v46
	v_lshlrev_b32_e32 v51, 4, v51
	v_lshlrev_b32_e32 v55, 4, v55
	v_and_or_b32 v47, v48, 48, v47
	v_bfe_u32 v48, v56, 24, 2
	v_and_b32_e32 v56, 0x3030303, v56
	v_bitop3_b32 v46, v46, s9, v46 bitop3:0xc
	v_lshlrev_b32_e32 v58, 4, v58
	v_lshrrev_b32_e32 v53, 2, v62
	v_and_or_b32 v50, v51, 48, v50
	v_and_or_b32 v51, v55, 48, v54
	v_sub_u16_e32 v54, v56, v46
	v_sub_u16_sdwa v55, v56, v46 dst_sel:BYTE_1 dst_unused:UNUSED_PAD src0_sel:BYTE_1 src1_sel:BYTE_1
	v_sub_u16_sdwa v56, v56, v46 dst_sel:DWORD dst_unused:UNUSED_PAD src0_sel:WORD_1 src1_sel:WORD_1
	v_sub_u16_sdwa v46, v48, v46 dst_sel:BYTE_1 dst_unused:UNUSED_PAD src0_sel:DWORD src1_sel:BYTE_3
	v_lshlrev_b32_e32 v48, 2, v59
	v_and_or_b32 v57, v58, 48, v57
	v_lshlrev_b32_e32 v58, 1, v59
	v_bfe_u32 v49, v62, 24, 2
	v_and_b32_e32 v52, 0x3030303, v62
	v_bfe_u32 v60, v53, 24, 2
	v_and_b32_e32 v53, 0x3030303, v53
	v_and_b32_e32 v48, 0x4040404, v48
	;; [unrolled: 1-line block ×3, first 2 shown]
	v_bitop3_b16 v54, v54, v55, s7 bitop3:0xec
	v_bitop3_b16 v46, v56, v46, s7 bitop3:0xec
	v_sub_u16_e32 v55, v52, v48
	v_sub_u16_sdwa v56, v52, v48 dst_sel:BYTE_1 dst_unused:UNUSED_PAD src0_sel:BYTE_1 src1_sel:BYTE_1
	v_sub_u16_sdwa v52, v52, v48 dst_sel:DWORD dst_unused:UNUSED_PAD src0_sel:WORD_1 src1_sel:WORD_1
	v_sub_u16_sdwa v48, v49, v48 dst_sel:BYTE_1 dst_unused:UNUSED_PAD src0_sel:DWORD src1_sel:BYTE_3
	v_sub_u16_e32 v49, v53, v58
	v_sub_u16_sdwa v61, v53, v58 dst_sel:BYTE_1 dst_unused:UNUSED_PAD src0_sel:BYTE_1 src1_sel:BYTE_1
	v_sub_u16_sdwa v53, v53, v58 dst_sel:DWORD dst_unused:UNUSED_PAD src0_sel:WORD_1 src1_sel:WORD_1
	v_sub_u16_sdwa v58, v60, v58 dst_sel:BYTE_1 dst_unused:UNUSED_PAD src0_sel:DWORD src1_sel:BYTE_3
	v_lshrrev_b32_e32 v60, 6, v62
	v_lshrrev_b32_e32 v59, 1, v59
	;; [unrolled: 1-line block ×3, first 2 shown]
	v_and_b32_e32 v60, 0x3030303, v60
	v_and_b32_e32 v59, 0x4040404, v59
	v_bitop3_b16 v48, v52, v48, s7 bitop3:0xec
	v_lshlrev_b32_e32 v46, 16, v46
	v_sub_u16_e32 v63, v60, v59
	v_sub_u16_sdwa v64, v60, v59 dst_sel:BYTE_1 dst_unused:UNUSED_PAD src0_sel:BYTE_1 src1_sel:BYTE_1
	v_sub_u16_sdwa v60, v60, v59 dst_sel:DWORD dst_unused:UNUSED_PAD src0_sel:WORD_1 src1_sel:WORD_1
	v_sub_u16_sdwa v59, v62, v59 dst_sel:BYTE_1 dst_unused:UNUSED_PAD src0_sel:DWORD src1_sel:BYTE_3
	v_bitop3_b16 v55, v55, v56, s7 bitop3:0xec
	v_bitop3_b16 v53, v53, v58, s7 bitop3:0xec
	v_or_b32_sdwa v46, v54, v46 dst_sel:DWORD dst_unused:UNUSED_PAD src0_sel:WORD_0 src1_sel:DWORD
	v_mov_b32_e32 v54, 0
	v_lshlrev_b32_e32 v48, 16, v48
	v_bitop3_b16 v49, v49, v61, s7 bitop3:0xec
	v_mov_b32_e32 v52, 0
	v_bitop3_b16 v59, v60, v59, s7 bitop3:0xec
	v_lshlrev_b32_e32 v53, 16, v53
	v_dot4c_i32_i8_e32 v54, v46, v45
	v_or_b32_sdwa v46, v55, v48 dst_sel:DWORD dst_unused:UNUSED_PAD src0_sel:WORD_0 src1_sel:DWORD
	v_mov_b32_e32 v56, 0
	v_bitop3_b16 v58, v63, v64, s7 bitop3:0xec
	v_subrev_u32_e32 v47, 32, v47
	v_lshlrev_b32_e32 v45, 16, v59
	v_or_b32_sdwa v48, v49, v53 dst_sel:DWORD dst_unused:UNUSED_PAD src0_sel:WORD_0 src1_sel:DWORD
	v_dot4c_i32_i8_e32 v52, v46, v41
	v_mov_b32_e32 v61, 0
	v_subrev_u32_e32 v50, 32, v50
	v_or_b32_sdwa v45, v58, v45 dst_sel:DWORD dst_unused:UNUSED_PAD src0_sel:WORD_0 src1_sel:DWORD
	v_dot4c_i32_i8_e32 v56, v48, v42
	v_mul_lo_u32 v42, v47, v52
	v_subrev_u32_e32 v51, 32, v51
	v_dot4c_i32_i8_e32 v61, v45, v43
	v_mul_lo_u32 v43, v50, v56
	v_cvt_f32_i32_e32 v42, v42
	v_subrev_u32_e32 v57, 32, v57
	v_mul_lo_u32 v49, v51, v54
	v_cvt_f32_i32_e32 v43, v43
	v_cvt_f32_i32_e32 v41, v49
	v_mul_lo_u32 v45, v57, v61
	v_cvt_f32_i32_e32 v45, v45
	v_fma_mix_f32 v37, v37, v42, 0 op_sel_hi:[1,0,0]
	s_nop 0
	v_fma_mix_f32 v37, v38, v43, v37 op_sel_hi:[1,0,0]
	s_nop 0
	;; [unrolled: 2-line block ×4, first 2 shown]
	v_fma_mix_f32 v33, v37, v44, v33 op_sel_hi:[0,1,0]
	s_andn2_b64 exec, exec, s[4:5]
	s_cbranch_execnz .LBB281_3
; %bb.4:
	s_or_b64 exec, exec, s[4:5]
.LBB281_5:
	s_or_b64 exec, exec, s[10:11]
	v_mbcnt_lo_u32_b32 v0, -1, 0
	v_mbcnt_hi_u32_b32 v1, -1, v0
	v_and_b32_e32 v0, 64, v1
	v_add_u32_e32 v2, 64, v0
	v_xor_b32_e32 v0, 32, v1
	v_cmp_lt_i32_e32 vcc, v0, v2
	v_xor_b32_e32 v3, 16, v1
	v_xor_b32_e32 v4, 8, v1
	v_cndmask_b32_e32 v0, v1, v0, vcc
	v_lshlrev_b32_e32 v0, 2, v0
	ds_bpermute_b32 v0, v0, v33
	v_cmp_lt_i32_e32 vcc, v3, v2
	s_waitcnt lgkmcnt(0)
	v_add_f32_e32 v0, v33, v0
	v_cndmask_b32_e32 v3, v1, v3, vcc
	v_lshlrev_b32_e32 v3, 2, v3
	ds_bpermute_b32 v3, v3, v0
	v_cmp_lt_i32_e32 vcc, v4, v2
	s_waitcnt lgkmcnt(0)
	v_add_f32_e32 v0, v0, v3
	v_cndmask_b32_e32 v3, v1, v4, vcc
	v_lshlrev_b32_e32 v3, 2, v3
	ds_bpermute_b32 v3, v3, v0
	v_xor_b32_e32 v4, 4, v1
	v_cmp_lt_i32_e32 vcc, v4, v2
	s_waitcnt lgkmcnt(0)
	v_add_f32_e32 v0, v0, v3
	v_cndmask_b32_e32 v3, v1, v4, vcc
	v_lshlrev_b32_e32 v3, 2, v3
	ds_bpermute_b32 v3, v3, v0
	v_xor_b32_e32 v4, 2, v1
	v_cmp_lt_i32_e32 vcc, v4, v2
	s_waitcnt lgkmcnt(0)
	v_add_f32_e32 v0, v0, v3
	v_cndmask_b32_e32 v3, v1, v4, vcc
	v_lshlrev_b32_e32 v3, 2, v3
	ds_bpermute_b32 v3, v3, v0
	v_xor_b32_e32 v4, 1, v1
	v_cmp_lt_i32_e32 vcc, v4, v2
	s_waitcnt lgkmcnt(0)
	v_add_f32_e32 v0, v0, v3
	v_cndmask_b32_e32 v1, v1, v4, vcc
	v_lshlrev_b32_e32 v1, 2, v1
	ds_bpermute_b32 v1, v1, v0
	v_cmp_eq_u32_e32 vcc, 0, v23
	s_and_b64 exec, exec, vcc
	s_cbranch_execz .LBB281_7
; %bb.6:
	s_waitcnt lgkmcnt(0)
	v_add_f32_e32 v0, v0, v1
	v_bfe_u32 v1, v0, 16, 1
	s_movk_i32 s0, 0x7fff
	v_add3_u32 v1, v0, v1, s0
	v_cmp_o_f32_e32 vcc, v0, v0
	v_mov_b32_e32 v0, 0x7fc0
	s_mul_i32 s0, s6, s8
	v_cndmask_b32_sdwa v2, v0, v1, vcc dst_sel:DWORD dst_unused:UNUSED_PAD src0_sel:DWORD src1_sel:WORD_1
	v_add_u32_e32 v0, s0, v22
	v_mov_b32_e32 v1, 0
	v_lshl_add_u64 v[0:1], v[0:1], 1, s[2:3]
	global_store_short v[0:1], v2, off
.LBB281_7:
	s_endpgm
	.section	.rodata,"a",@progbits
	.p2align	6, 0x0
	.amdhsa_kernel _ZL9moe_vec_qIN3c108BFloat16ELi256ELi16E10block_q3_KLi1EXadL_ZL17vec_dot_q3_K_q8_1PKvPK10block_q8_1RKiEEEvS4_S4_PT_PS8_iiii
		.amdhsa_group_segment_fixed_size 0
		.amdhsa_private_segment_fixed_size 0
		.amdhsa_kernarg_size 304
		.amdhsa_user_sgpr_count 2
		.amdhsa_user_sgpr_dispatch_ptr 0
		.amdhsa_user_sgpr_queue_ptr 0
		.amdhsa_user_sgpr_kernarg_segment_ptr 1
		.amdhsa_user_sgpr_dispatch_id 0
		.amdhsa_user_sgpr_kernarg_preload_length 0
		.amdhsa_user_sgpr_kernarg_preload_offset 0
		.amdhsa_user_sgpr_private_segment_size 0
		.amdhsa_uses_dynamic_stack 0
		.amdhsa_enable_private_segment 0
		.amdhsa_system_sgpr_workgroup_id_x 1
		.amdhsa_system_sgpr_workgroup_id_y 0
		.amdhsa_system_sgpr_workgroup_id_z 1
		.amdhsa_system_sgpr_workgroup_info 0
		.amdhsa_system_vgpr_workitem_id 1
		.amdhsa_next_free_vgpr 65
		.amdhsa_next_free_sgpr 20
		.amdhsa_accum_offset 68
		.amdhsa_reserve_vcc 1
		.amdhsa_float_round_mode_32 0
		.amdhsa_float_round_mode_16_64 0
		.amdhsa_float_denorm_mode_32 3
		.amdhsa_float_denorm_mode_16_64 3
		.amdhsa_dx10_clamp 1
		.amdhsa_ieee_mode 1
		.amdhsa_fp16_overflow 0
		.amdhsa_tg_split 0
		.amdhsa_exception_fp_ieee_invalid_op 0
		.amdhsa_exception_fp_denorm_src 0
		.amdhsa_exception_fp_ieee_div_zero 0
		.amdhsa_exception_fp_ieee_overflow 0
		.amdhsa_exception_fp_ieee_underflow 0
		.amdhsa_exception_fp_ieee_inexact 0
		.amdhsa_exception_int_div_zero 0
	.end_amdhsa_kernel
	.section	.text._ZL9moe_vec_qIN3c108BFloat16ELi256ELi16E10block_q3_KLi1EXadL_ZL17vec_dot_q3_K_q8_1PKvPK10block_q8_1RKiEEEvS4_S4_PT_PS8_iiii,"axG",@progbits,_ZL9moe_vec_qIN3c108BFloat16ELi256ELi16E10block_q3_KLi1EXadL_ZL17vec_dot_q3_K_q8_1PKvPK10block_q8_1RKiEEEvS4_S4_PT_PS8_iiii,comdat
.Lfunc_end281:
	.size	_ZL9moe_vec_qIN3c108BFloat16ELi256ELi16E10block_q3_KLi1EXadL_ZL17vec_dot_q3_K_q8_1PKvPK10block_q8_1RKiEEEvS4_S4_PT_PS8_iiii, .Lfunc_end281-_ZL9moe_vec_qIN3c108BFloat16ELi256ELi16E10block_q3_KLi1EXadL_ZL17vec_dot_q3_K_q8_1PKvPK10block_q8_1RKiEEEvS4_S4_PT_PS8_iiii
                                        ; -- End function
	.set _ZL9moe_vec_qIN3c108BFloat16ELi256ELi16E10block_q3_KLi1EXadL_ZL17vec_dot_q3_K_q8_1PKvPK10block_q8_1RKiEEEvS4_S4_PT_PS8_iiii.num_vgpr, 65
	.set _ZL9moe_vec_qIN3c108BFloat16ELi256ELi16E10block_q3_KLi1EXadL_ZL17vec_dot_q3_K_q8_1PKvPK10block_q8_1RKiEEEvS4_S4_PT_PS8_iiii.num_agpr, 0
	.set _ZL9moe_vec_qIN3c108BFloat16ELi256ELi16E10block_q3_KLi1EXadL_ZL17vec_dot_q3_K_q8_1PKvPK10block_q8_1RKiEEEvS4_S4_PT_PS8_iiii.numbered_sgpr, 20
	.set _ZL9moe_vec_qIN3c108BFloat16ELi256ELi16E10block_q3_KLi1EXadL_ZL17vec_dot_q3_K_q8_1PKvPK10block_q8_1RKiEEEvS4_S4_PT_PS8_iiii.num_named_barrier, 0
	.set _ZL9moe_vec_qIN3c108BFloat16ELi256ELi16E10block_q3_KLi1EXadL_ZL17vec_dot_q3_K_q8_1PKvPK10block_q8_1RKiEEEvS4_S4_PT_PS8_iiii.private_seg_size, 0
	.set _ZL9moe_vec_qIN3c108BFloat16ELi256ELi16E10block_q3_KLi1EXadL_ZL17vec_dot_q3_K_q8_1PKvPK10block_q8_1RKiEEEvS4_S4_PT_PS8_iiii.uses_vcc, 1
	.set _ZL9moe_vec_qIN3c108BFloat16ELi256ELi16E10block_q3_KLi1EXadL_ZL17vec_dot_q3_K_q8_1PKvPK10block_q8_1RKiEEEvS4_S4_PT_PS8_iiii.uses_flat_scratch, 0
	.set _ZL9moe_vec_qIN3c108BFloat16ELi256ELi16E10block_q3_KLi1EXadL_ZL17vec_dot_q3_K_q8_1PKvPK10block_q8_1RKiEEEvS4_S4_PT_PS8_iiii.has_dyn_sized_stack, 0
	.set _ZL9moe_vec_qIN3c108BFloat16ELi256ELi16E10block_q3_KLi1EXadL_ZL17vec_dot_q3_K_q8_1PKvPK10block_q8_1RKiEEEvS4_S4_PT_PS8_iiii.has_recursion, 0
	.set _ZL9moe_vec_qIN3c108BFloat16ELi256ELi16E10block_q3_KLi1EXadL_ZL17vec_dot_q3_K_q8_1PKvPK10block_q8_1RKiEEEvS4_S4_PT_PS8_iiii.has_indirect_call, 0
	.section	.AMDGPU.csdata,"",@progbits
; Kernel info:
; codeLenInByte = 2096
; TotalNumSgprs: 26
; NumVgprs: 65
; NumAgprs: 0
; TotalNumVgprs: 65
; ScratchSize: 0
; MemoryBound: 0
; FloatMode: 240
; IeeeMode: 1
; LDSByteSize: 0 bytes/workgroup (compile time only)
; SGPRBlocks: 3
; VGPRBlocks: 8
; NumSGPRsForWavesPerEU: 26
; NumVGPRsForWavesPerEU: 65
; AccumOffset: 68
; Occupancy: 7
; WaveLimiterHint : 1
; COMPUTE_PGM_RSRC2:SCRATCH_EN: 0
; COMPUTE_PGM_RSRC2:USER_SGPR: 2
; COMPUTE_PGM_RSRC2:TRAP_HANDLER: 0
; COMPUTE_PGM_RSRC2:TGID_X_EN: 1
; COMPUTE_PGM_RSRC2:TGID_Y_EN: 0
; COMPUTE_PGM_RSRC2:TGID_Z_EN: 1
; COMPUTE_PGM_RSRC2:TIDIG_COMP_CNT: 1
; COMPUTE_PGM_RSRC3_GFX90A:ACCUM_OFFSET: 16
; COMPUTE_PGM_RSRC3_GFX90A:TG_SPLIT: 0
	.section	.text._ZL9moe_vec_qIN3c108BFloat16ELi256ELi32E10block_q4_KLi2EXadL_ZL17vec_dot_q4_K_q8_1PKvPK10block_q8_1RKiEEEvS4_S4_PT_PS8_iiii,"axG",@progbits,_ZL9moe_vec_qIN3c108BFloat16ELi256ELi32E10block_q4_KLi2EXadL_ZL17vec_dot_q4_K_q8_1PKvPK10block_q8_1RKiEEEvS4_S4_PT_PS8_iiii,comdat
	.globl	_ZL9moe_vec_qIN3c108BFloat16ELi256ELi32E10block_q4_KLi2EXadL_ZL17vec_dot_q4_K_q8_1PKvPK10block_q8_1RKiEEEvS4_S4_PT_PS8_iiii ; -- Begin function _ZL9moe_vec_qIN3c108BFloat16ELi256ELi32E10block_q4_KLi2EXadL_ZL17vec_dot_q4_K_q8_1PKvPK10block_q8_1RKiEEEvS4_S4_PT_PS8_iiii
	.p2align	8
	.type	_ZL9moe_vec_qIN3c108BFloat16ELi256ELi32E10block_q4_KLi2EXadL_ZL17vec_dot_q4_K_q8_1PKvPK10block_q8_1RKiEEEvS4_S4_PT_PS8_iiii,@function
_ZL9moe_vec_qIN3c108BFloat16ELi256ELi32E10block_q4_KLi2EXadL_ZL17vec_dot_q4_K_q8_1PKvPK10block_q8_1RKiEEEvS4_S4_PT_PS8_iiii: ; @_ZL9moe_vec_qIN3c108BFloat16ELi256ELi32E10block_q4_KLi2EXadL_ZL17vec_dot_q4_K_q8_1PKvPK10block_q8_1RKiEEEvS4_S4_PT_PS8_iiii
; %bb.0:
	s_mov_b32 s8, s3
	s_load_dword s3, s[0:1], 0x3c
	s_load_dwordx4 s[4:7], s[0:1], 0x20
	v_bfe_u32 v1, v0, 10, 10
	s_waitcnt lgkmcnt(0)
	s_lshr_b32 s3, s3, 16
	s_mul_i32 s2, s2, s3
	v_add_u32_e32 v16, s2, v1
	v_cmp_gt_u32_e32 vcc, s6, v16
	s_and_saveexec_b64 s[2:3], vcc
	s_cbranch_execz .LBB282_11
; %bb.1:
	s_load_dwordx2 s[2:3], s[0:1], 0x10
	s_ashr_i32 s9, s5, 31
	s_lshr_b32 s9, s9, 24
	s_add_i32 s5, s5, s9
	s_ashr_i32 s12, s5, 8
	v_bfe_u32 v18, v0, 4, 6
	v_and_b32_e32 v17, 0x3ff, v0
	v_cmp_gt_u32_e32 vcc, s12, v18
	v_mov_b32_e32 v20, 0
	s_and_saveexec_b64 s[10:11], vcc
	s_cbranch_execz .LBB282_9
; %bb.2:
	s_load_dwordx2 s[14:15], s[0:1], 0x18
	v_cvt_f32_u32_e32 v0, s4
	s_mov_b32 s9, 0
	s_lshl_b64 s[16:17], s[8:9], 2
	v_mov_b32_e32 v1, 0
	s_waitcnt lgkmcnt(0)
	s_add_u32 s14, s14, s16
	v_rcp_iflag_f32_e32 v0, v0
	s_addc_u32 s15, s15, s17
	s_load_dword s5, s[14:15], 0x0
	s_load_dwordx4 s[16:19], s[0:1], 0x0
	s_mul_i32 s0, s12, s6
	v_mul_f32_e32 v0, 0x4f7ffffe, v0
	v_cvt_u32_f32_e32 v0, v0
	s_waitcnt lgkmcnt(0)
	s_mul_i32 s0, s0, s5
	s_mul_hi_i32 s1, s0, 0x90
	s_mulk_i32 s0, 0x90
	s_add_u32 s0, s16, s0
	s_addc_u32 s1, s17, s1
	s_sub_i32 s5, 0, s4
	v_readfirstlane_b32 s14, v0
	s_mul_i32 s5, s5, s14
	s_mul_hi_u32 s5, s14, s5
	s_add_i32 s14, s14, s5
	s_mul_hi_u32 s5, s8, s14
	s_mul_i32 s14, s5, s4
	s_sub_i32 s14, s8, s14
	s_add_i32 s15, s5, 1
	s_sub_i32 s16, s14, s4
	s_cmp_ge_u32 s14, s4
	s_cselect_b32 s5, s15, s5
	s_cselect_b32 s14, s16, s14
	s_add_i32 s15, s5, 1
	s_cmp_ge_u32 s14, s4
	s_cselect_b32 s4, s15, s5
	s_mul_i32 s4, s4, s7
	s_mov_b32 s5, s9
	s_lshl_b64 s[4:5], s[4:5], 2
	v_lshlrev_b32_e32 v0, 1, v17
	s_add_u32 s4, s18, s4
	v_and_b32_e32 v4, 30, v0
	v_bfe_u32 v8, v0, 3, 2
	s_addc_u32 s5, s19, s5
	v_cmp_lt_u32_e32 vcc, 15, v4
	v_lshlrev_b32_e32 v4, 1, v8
	v_and_b32_e32 v10, 3, v17
	v_mad_u64_u32 v[4:5], s[4:5], v4, 36, s[4:5]
	s_movk_i32 s13, 0x90
	v_mul_lo_u32 v19, v16, s12
	v_lshlrev_b32_e32 v0, 5, v8
	v_lshlrev_b32_e32 v2, 2, v10
	v_mov_b32_e32 v3, v1
	v_lshlrev_b32_e32 v21, 3, v18
	s_mov_b64 s[4:5], 0
	v_mov_b64_e32 v[6:7], s[0:1]
	v_lshlrev_b32_e32 v8, 1, v8
	v_mov_b32_e32 v9, v1
	s_mov_b32 s7, 0x5040100
	s_mov_b32 s9, 0x30303030
	v_lshlrev_b32_e32 v10, 2, v10
	v_mov_b32_e32 v11, v1
	s_movk_i32 s14, 0xff
	v_mov_b32_e32 v22, 0xff00ff
	v_mov_b32_e32 v20, v1
	s_branch .LBB282_4
.LBB282_3:                              ;   in Loop: Header=BB282_4 Depth=1
	s_or_b64 exec, exec, s[0:1]
	v_mad_i64_i32 v[14:15], s[0:1], v21, 36, v[4:5]
	v_lshl_add_u64 v[26:27], v[14:15], 0, v[10:11]
	global_load_dword v30, v[12:13], off
	global_load_dword v28, v[14:15], off
	global_load_dword v29, v[26:27], off offset:20
	global_load_dword v31, v[26:27], off offset:40
	;; [unrolled: 1-line block ×5, first 2 shown]
	s_waitcnt vmcnt(8)
	v_and_b32_e32 v15, 0xf0f0f0f, v24
	v_mov_b32_e32 v27, 0
	v_mov_b32_e32 v35, 0
	v_lshrrev_b32_e32 v14, 4, v24
	s_waitcnt vmcnt(7)
	v_and_b32_e32 v26, 0xf0f0f0f, v23
	v_and_b32_e32 v13, 0xff00ff, v25
	v_lshrrev_b32_e32 v23, 4, v23
	v_mov_b32_e32 v36, 0
	v_mov_b32_e32 v37, 0
	v_and_b32_e32 v38, 0xf0f0f0f, v14
	v_pk_lshrrev_b16 v12, 8, v25 op_sel_hi:[0,1]
	v_bitop3_b32 v25, v25, s14, v22 bitop3:0x80
	v_and_b32_e32 v23, 0xf0f0f0f, v23
	v_lshrrev_b32_e32 v40, 16, v13
	v_lshrrev_b32_e32 v39, 16, v12
	v_and_b32_e32 v12, 0xff, v12
	v_add_u32_e32 v18, 4, v18
	v_cmp_le_u32_e64 s[0:1], s12, v18
	s_or_b64 s[4:5], s[0:1], s[4:5]
	v_add_u32_e32 v21, 32, v21
	s_waitcnt vmcnt(6)
	v_cvt_f32_f16_sdwa v13, v30 dst_sel:DWORD dst_unused:UNUSED_PAD src0_sel:WORD_1
	s_waitcnt vmcnt(5)
	v_cvt_f32_f16_e32 v14, v28
	s_waitcnt vmcnt(3)
	v_dot4c_i32_i8_e32 v36, v38, v31
	v_dot4c_i32_i8_e32 v37, 0x1010101, v31
	s_waitcnt vmcnt(2)
	v_dot4c_i32_i8_e32 v36, v23, v32
	s_waitcnt vmcnt(0)
	v_dot4c_i32_i8_e32 v27, v15, v34
	v_dot4c_i32_i8_e32 v35, 0x1010101, v34
	;; [unrolled: 1-line block ×5, first 2 shown]
	v_mul_lo_u32 v12, v36, v12
	v_mul_lo_u32 v15, v27, v25
	;; [unrolled: 1-line block ×4, first 2 shown]
	v_cvt_f32_i32_e32 v27, v23
	v_cvt_f32_i32_e32 v26, v15
	v_cvt_f32_f16_e32 v24, v33
	v_cvt_f32_i32_e32 v29, v25
	v_cvt_f32_i32_e32 v28, v12
	v_cvt_f32_f16_e32 v12, v30
	v_pk_fma_f32 v[14:15], v[14:15], v[26:27], 0 op_sel_hi:[0,1,0]
	v_pk_fma_f32 v[14:15], v[24:25], v[28:29], v[14:15] op_sel_hi:[0,1,1]
	v_pk_mul_f32 v[12:13], v[14:15], v[12:13]
	s_nop 0
	v_sub_f32_e32 v12, v12, v13
	v_add_f32_e32 v20, v20, v12
	s_andn2_b64 exec, exec, s[4:5]
	s_cbranch_execz .LBB282_8
.LBB282_4:                              ; =>This Inner Loop Header: Depth=1
	v_add_u32_e32 v12, v19, v18
	v_mad_i64_i32 v[12:13], s[0:1], v12, s13, v[6:7]
	v_lshl_add_u64 v[14:15], v[12:13], 0, v[0:1]
	v_lshl_add_u64 v[14:15], v[14:15], 0, v[2:3]
	global_load_dword v24, v[14:15], off offset:16
	global_load_dword v23, v[14:15], off offset:32
	v_lshl_add_u64 v[14:15], v[12:13], 0, v[8:9]
                                        ; implicit-def: $vgpr25
	s_and_saveexec_b64 s[0:1], vcc
	s_xor_b64 s[0:1], exec, s[0:1]
	s_cbranch_execz .LBB282_6
; %bb.5:                                ;   in Loop: Header=BB282_4 Depth=1
	global_load_ushort v25, v[14:15], off
	global_load_ushort v26, v[14:15], off offset:8
	global_load_ushort v27, v[14:15], off offset:4
	s_waitcnt vmcnt(1)
	v_pk_lshrrev_b16 v14, 4, v26 op_sel:[1,0] op_sel_hi:[0,0]
	s_waitcnt vmcnt(0)
	v_perm_b32 v15, v27, v25, s7
	v_and_b32_e32 v14, 0xf0f0f0f, v14
	v_pk_lshrrev_b16 v15, 2, v15 op_sel_hi:[0,1]
	v_and_or_b32 v25, v15, s9, v14
                                        ; implicit-def: $vgpr14_vgpr15
.LBB282_6:                              ;   in Loop: Header=BB282_4 Depth=1
	s_andn2_saveexec_b64 s[0:1], s[0:1]
	s_cbranch_execz .LBB282_3
; %bb.7:                                ;   in Loop: Header=BB282_4 Depth=1
	global_load_ushort v25, v[14:15], off offset:4
	global_load_ushort v26, v[14:15], off offset:8
	s_waitcnt vmcnt(0)
	v_perm_b32 v14, v26, v25, s7
	v_and_b32_e32 v25, 0x3f3f3f3f, v14
	s_branch .LBB282_3
.LBB282_8:
	s_or_b64 exec, exec, s[4:5]
.LBB282_9:
	s_or_b64 exec, exec, s[10:11]
	v_mbcnt_lo_u32_b32 v0, -1, 0
	v_mbcnt_hi_u32_b32 v1, -1, v0
	v_and_b32_e32 v0, 64, v1
	v_add_u32_e32 v2, 64, v0
	v_xor_b32_e32 v0, 32, v1
	v_cmp_lt_i32_e32 vcc, v0, v2
	v_xor_b32_e32 v3, 16, v1
	v_xor_b32_e32 v4, 8, v1
	v_cndmask_b32_e32 v0, v1, v0, vcc
	v_lshlrev_b32_e32 v0, 2, v0
	ds_bpermute_b32 v0, v0, v20
	v_cmp_lt_i32_e32 vcc, v3, v2
	s_waitcnt lgkmcnt(0)
	v_add_f32_e32 v0, v20, v0
	v_cndmask_b32_e32 v3, v1, v3, vcc
	v_lshlrev_b32_e32 v3, 2, v3
	ds_bpermute_b32 v3, v3, v0
	v_cmp_lt_i32_e32 vcc, v4, v2
	s_waitcnt lgkmcnt(0)
	v_add_f32_e32 v0, v0, v3
	v_cndmask_b32_e32 v3, v1, v4, vcc
	v_lshlrev_b32_e32 v3, 2, v3
	ds_bpermute_b32 v3, v3, v0
	v_xor_b32_e32 v4, 4, v1
	v_cmp_lt_i32_e32 vcc, v4, v2
	s_waitcnt lgkmcnt(0)
	v_add_f32_e32 v0, v0, v3
	v_cndmask_b32_e32 v3, v1, v4, vcc
	v_lshlrev_b32_e32 v3, 2, v3
	ds_bpermute_b32 v3, v3, v0
	v_xor_b32_e32 v4, 2, v1
	v_cmp_lt_i32_e32 vcc, v4, v2
	s_waitcnt lgkmcnt(0)
	v_add_f32_e32 v0, v0, v3
	v_cndmask_b32_e32 v3, v1, v4, vcc
	v_lshlrev_b32_e32 v3, 2, v3
	ds_bpermute_b32 v3, v3, v0
	v_xor_b32_e32 v4, 1, v1
	v_cmp_lt_i32_e32 vcc, v4, v2
	s_waitcnt lgkmcnt(0)
	v_add_f32_e32 v0, v0, v3
	v_cndmask_b32_e32 v1, v1, v4, vcc
	v_lshlrev_b32_e32 v1, 2, v1
	ds_bpermute_b32 v1, v1, v0
	v_cmp_eq_u32_e32 vcc, 0, v17
	s_and_b64 exec, exec, vcc
	s_cbranch_execz .LBB282_11
; %bb.10:
	s_waitcnt lgkmcnt(0)
	v_add_f32_e32 v0, v0, v1
	v_bfe_u32 v1, v0, 16, 1
	s_movk_i32 s0, 0x7fff
	v_add3_u32 v1, v0, v1, s0
	v_cmp_o_f32_e32 vcc, v0, v0
	v_mov_b32_e32 v0, 0x7fc0
	s_mul_i32 s0, s6, s8
	v_cndmask_b32_sdwa v2, v0, v1, vcc dst_sel:DWORD dst_unused:UNUSED_PAD src0_sel:DWORD src1_sel:WORD_1
	v_add_u32_e32 v0, s0, v16
	v_mov_b32_e32 v1, 0
	v_lshl_add_u64 v[0:1], v[0:1], 1, s[2:3]
	global_store_short v[0:1], v2, off
.LBB282_11:
	s_endpgm
	.section	.rodata,"a",@progbits
	.p2align	6, 0x0
	.amdhsa_kernel _ZL9moe_vec_qIN3c108BFloat16ELi256ELi32E10block_q4_KLi2EXadL_ZL17vec_dot_q4_K_q8_1PKvPK10block_q8_1RKiEEEvS4_S4_PT_PS8_iiii
		.amdhsa_group_segment_fixed_size 0
		.amdhsa_private_segment_fixed_size 0
		.amdhsa_kernarg_size 304
		.amdhsa_user_sgpr_count 2
		.amdhsa_user_sgpr_dispatch_ptr 0
		.amdhsa_user_sgpr_queue_ptr 0
		.amdhsa_user_sgpr_kernarg_segment_ptr 1
		.amdhsa_user_sgpr_dispatch_id 0
		.amdhsa_user_sgpr_kernarg_preload_length 0
		.amdhsa_user_sgpr_kernarg_preload_offset 0
		.amdhsa_user_sgpr_private_segment_size 0
		.amdhsa_uses_dynamic_stack 0
		.amdhsa_enable_private_segment 0
		.amdhsa_system_sgpr_workgroup_id_x 1
		.amdhsa_system_sgpr_workgroup_id_y 0
		.amdhsa_system_sgpr_workgroup_id_z 1
		.amdhsa_system_sgpr_workgroup_info 0
		.amdhsa_system_vgpr_workitem_id 1
		.amdhsa_next_free_vgpr 41
		.amdhsa_next_free_sgpr 20
		.amdhsa_accum_offset 44
		.amdhsa_reserve_vcc 1
		.amdhsa_float_round_mode_32 0
		.amdhsa_float_round_mode_16_64 0
		.amdhsa_float_denorm_mode_32 3
		.amdhsa_float_denorm_mode_16_64 3
		.amdhsa_dx10_clamp 1
		.amdhsa_ieee_mode 1
		.amdhsa_fp16_overflow 0
		.amdhsa_tg_split 0
		.amdhsa_exception_fp_ieee_invalid_op 0
		.amdhsa_exception_fp_denorm_src 0
		.amdhsa_exception_fp_ieee_div_zero 0
		.amdhsa_exception_fp_ieee_overflow 0
		.amdhsa_exception_fp_ieee_underflow 0
		.amdhsa_exception_fp_ieee_inexact 0
		.amdhsa_exception_int_div_zero 0
	.end_amdhsa_kernel
	.section	.text._ZL9moe_vec_qIN3c108BFloat16ELi256ELi32E10block_q4_KLi2EXadL_ZL17vec_dot_q4_K_q8_1PKvPK10block_q8_1RKiEEEvS4_S4_PT_PS8_iiii,"axG",@progbits,_ZL9moe_vec_qIN3c108BFloat16ELi256ELi32E10block_q4_KLi2EXadL_ZL17vec_dot_q4_K_q8_1PKvPK10block_q8_1RKiEEEvS4_S4_PT_PS8_iiii,comdat
.Lfunc_end282:
	.size	_ZL9moe_vec_qIN3c108BFloat16ELi256ELi32E10block_q4_KLi2EXadL_ZL17vec_dot_q4_K_q8_1PKvPK10block_q8_1RKiEEEvS4_S4_PT_PS8_iiii, .Lfunc_end282-_ZL9moe_vec_qIN3c108BFloat16ELi256ELi32E10block_q4_KLi2EXadL_ZL17vec_dot_q4_K_q8_1PKvPK10block_q8_1RKiEEEvS4_S4_PT_PS8_iiii
                                        ; -- End function
	.set _ZL9moe_vec_qIN3c108BFloat16ELi256ELi32E10block_q4_KLi2EXadL_ZL17vec_dot_q4_K_q8_1PKvPK10block_q8_1RKiEEEvS4_S4_PT_PS8_iiii.num_vgpr, 41
	.set _ZL9moe_vec_qIN3c108BFloat16ELi256ELi32E10block_q4_KLi2EXadL_ZL17vec_dot_q4_K_q8_1PKvPK10block_q8_1RKiEEEvS4_S4_PT_PS8_iiii.num_agpr, 0
	.set _ZL9moe_vec_qIN3c108BFloat16ELi256ELi32E10block_q4_KLi2EXadL_ZL17vec_dot_q4_K_q8_1PKvPK10block_q8_1RKiEEEvS4_S4_PT_PS8_iiii.numbered_sgpr, 20
	.set _ZL9moe_vec_qIN3c108BFloat16ELi256ELi32E10block_q4_KLi2EXadL_ZL17vec_dot_q4_K_q8_1PKvPK10block_q8_1RKiEEEvS4_S4_PT_PS8_iiii.num_named_barrier, 0
	.set _ZL9moe_vec_qIN3c108BFloat16ELi256ELi32E10block_q4_KLi2EXadL_ZL17vec_dot_q4_K_q8_1PKvPK10block_q8_1RKiEEEvS4_S4_PT_PS8_iiii.private_seg_size, 0
	.set _ZL9moe_vec_qIN3c108BFloat16ELi256ELi32E10block_q4_KLi2EXadL_ZL17vec_dot_q4_K_q8_1PKvPK10block_q8_1RKiEEEvS4_S4_PT_PS8_iiii.uses_vcc, 1
	.set _ZL9moe_vec_qIN3c108BFloat16ELi256ELi32E10block_q4_KLi2EXadL_ZL17vec_dot_q4_K_q8_1PKvPK10block_q8_1RKiEEEvS4_S4_PT_PS8_iiii.uses_flat_scratch, 0
	.set _ZL9moe_vec_qIN3c108BFloat16ELi256ELi32E10block_q4_KLi2EXadL_ZL17vec_dot_q4_K_q8_1PKvPK10block_q8_1RKiEEEvS4_S4_PT_PS8_iiii.has_dyn_sized_stack, 0
	.set _ZL9moe_vec_qIN3c108BFloat16ELi256ELi32E10block_q4_KLi2EXadL_ZL17vec_dot_q4_K_q8_1PKvPK10block_q8_1RKiEEEvS4_S4_PT_PS8_iiii.has_recursion, 0
	.set _ZL9moe_vec_qIN3c108BFloat16ELi256ELi32E10block_q4_KLi2EXadL_ZL17vec_dot_q4_K_q8_1PKvPK10block_q8_1RKiEEEvS4_S4_PT_PS8_iiii.has_indirect_call, 0
	.section	.AMDGPU.csdata,"",@progbits
; Kernel info:
; codeLenInByte = 1292
; TotalNumSgprs: 26
; NumVgprs: 41
; NumAgprs: 0
; TotalNumVgprs: 41
; ScratchSize: 0
; MemoryBound: 0
; FloatMode: 240
; IeeeMode: 1
; LDSByteSize: 0 bytes/workgroup (compile time only)
; SGPRBlocks: 3
; VGPRBlocks: 5
; NumSGPRsForWavesPerEU: 26
; NumVGPRsForWavesPerEU: 41
; AccumOffset: 44
; Occupancy: 8
; WaveLimiterHint : 1
; COMPUTE_PGM_RSRC2:SCRATCH_EN: 0
; COMPUTE_PGM_RSRC2:USER_SGPR: 2
; COMPUTE_PGM_RSRC2:TRAP_HANDLER: 0
; COMPUTE_PGM_RSRC2:TGID_X_EN: 1
; COMPUTE_PGM_RSRC2:TGID_Y_EN: 0
; COMPUTE_PGM_RSRC2:TGID_Z_EN: 1
; COMPUTE_PGM_RSRC2:TIDIG_COMP_CNT: 1
; COMPUTE_PGM_RSRC3_GFX90A:ACCUM_OFFSET: 10
; COMPUTE_PGM_RSRC3_GFX90A:TG_SPLIT: 0
	.section	.text._ZL9moe_vec_qIN3c108BFloat16ELi256ELi32E10block_q5_KLi2EXadL_ZL17vec_dot_q5_K_q8_1PKvPK10block_q8_1RKiEEEvS4_S4_PT_PS8_iiii,"axG",@progbits,_ZL9moe_vec_qIN3c108BFloat16ELi256ELi32E10block_q5_KLi2EXadL_ZL17vec_dot_q5_K_q8_1PKvPK10block_q8_1RKiEEEvS4_S4_PT_PS8_iiii,comdat
	.globl	_ZL9moe_vec_qIN3c108BFloat16ELi256ELi32E10block_q5_KLi2EXadL_ZL17vec_dot_q5_K_q8_1PKvPK10block_q8_1RKiEEEvS4_S4_PT_PS8_iiii ; -- Begin function _ZL9moe_vec_qIN3c108BFloat16ELi256ELi32E10block_q5_KLi2EXadL_ZL17vec_dot_q5_K_q8_1PKvPK10block_q8_1RKiEEEvS4_S4_PT_PS8_iiii
	.p2align	8
	.type	_ZL9moe_vec_qIN3c108BFloat16ELi256ELi32E10block_q5_KLi2EXadL_ZL17vec_dot_q5_K_q8_1PKvPK10block_q8_1RKiEEEvS4_S4_PT_PS8_iiii,@function
_ZL9moe_vec_qIN3c108BFloat16ELi256ELi32E10block_q5_KLi2EXadL_ZL17vec_dot_q5_K_q8_1PKvPK10block_q8_1RKiEEEvS4_S4_PT_PS8_iiii: ; @_ZL9moe_vec_qIN3c108BFloat16ELi256ELi32E10block_q5_KLi2EXadL_ZL17vec_dot_q5_K_q8_1PKvPK10block_q8_1RKiEEEvS4_S4_PT_PS8_iiii
; %bb.0:
	s_mov_b32 s8, s3
	s_load_dword s3, s[0:1], 0x3c
	s_load_dwordx4 s[4:7], s[0:1], 0x20
	v_bfe_u32 v1, v0, 10, 10
	s_waitcnt lgkmcnt(0)
	s_lshr_b32 s3, s3, 16
	s_mul_i32 s2, s2, s3
	v_add_u32_e32 v16, s2, v1
	v_cmp_gt_u32_e32 vcc, s6, v16
	s_and_saveexec_b64 s[2:3], vcc
	s_cbranch_execz .LBB283_11
; %bb.1:
	s_load_dwordx2 s[2:3], s[0:1], 0x10
	s_ashr_i32 s9, s5, 31
	s_lshr_b32 s9, s9, 24
	s_add_i32 s5, s5, s9
	s_ashr_i32 s12, s5, 8
	v_bfe_u32 v18, v0, 4, 6
	v_and_b32_e32 v17, 0x3ff, v0
	v_cmp_gt_u32_e32 vcc, s12, v18
	v_mov_b32_e32 v20, 0
	s_and_saveexec_b64 s[10:11], vcc
	s_cbranch_execz .LBB283_9
; %bb.2:
	s_load_dwordx2 s[14:15], s[0:1], 0x18
	v_cvt_f32_u32_e32 v0, s4
	s_mov_b32 s9, 0
	s_lshl_b64 s[16:17], s[8:9], 2
	v_mov_b32_e32 v1, 0
	s_waitcnt lgkmcnt(0)
	s_add_u32 s14, s14, s16
	v_rcp_iflag_f32_e32 v0, v0
	s_addc_u32 s15, s15, s17
	s_load_dword s5, s[14:15], 0x0
	s_load_dwordx4 s[16:19], s[0:1], 0x0
	s_mul_i32 s0, s12, s6
	v_mul_f32_e32 v0, 0x4f7ffffe, v0
	v_cvt_u32_f32_e32 v0, v0
	s_waitcnt lgkmcnt(0)
	s_mul_i32 s0, s0, s5
	s_mul_hi_i32 s1, s0, 0xb0
	s_mulk_i32 s0, 0xb0
	s_add_u32 s0, s16, s0
	s_addc_u32 s1, s17, s1
	s_sub_i32 s5, 0, s4
	v_readfirstlane_b32 s14, v0
	s_mul_i32 s5, s5, s14
	s_mul_hi_u32 s5, s14, s5
	s_add_i32 s14, s14, s5
	s_mul_hi_u32 s5, s8, s14
	s_mul_i32 s14, s5, s4
	s_sub_i32 s14, s8, s14
	s_add_i32 s15, s5, 1
	s_sub_i32 s16, s14, s4
	s_cmp_ge_u32 s14, s4
	s_cselect_b32 s5, s15, s5
	s_cselect_b32 s14, s16, s14
	s_add_i32 s15, s5, 1
	s_cmp_ge_u32 s14, s4
	s_cselect_b32 s4, s15, s5
	s_mul_i32 s4, s4, s7
	s_mov_b32 s5, s9
	s_lshl_b64 s[4:5], s[4:5], 2
	v_lshlrev_b32_e32 v0, 1, v17
	s_add_u32 s4, s18, s4
	v_bfe_u32 v8, v0, 3, 2
	s_addc_u32 s5, s19, s5
	v_and_b32_e32 v4, 30, v0
	v_lshlrev_b32_e32 v21, 1, v8
	v_and_b32_e32 v10, 3, v17
	v_cmp_lt_u32_e32 vcc, 15, v4
	v_mad_u64_u32 v[4:5], s[4:5], v21, 36, s[4:5]
	s_movk_i32 s13, 0xb0
	v_mul_lo_u32 v19, v16, s12
	v_lshlrev_b32_e32 v0, 5, v8
	v_lshlrev_b32_e32 v2, 2, v10
	v_mov_b32_e32 v3, v1
	v_lshlrev_b32_e32 v22, 3, v18
	s_mov_b64 s[4:5], 0
	v_mov_b64_e32 v[6:7], s[0:1]
	v_lshlrev_b32_e32 v8, 1, v8
	v_mov_b32_e32 v9, v1
	s_mov_b32 s7, 0x5040100
	s_mov_b32 s9, 0x30303030
	v_lshlrev_b32_e32 v10, 2, v10
	v_mov_b32_e32 v11, v1
	s_mov_b32 s14, 0x10101010
	s_movk_i32 s15, 0xff
	v_mov_b32_e32 v23, 0xff00ff
	v_mov_b32_e32 v20, v1
	s_branch .LBB283_4
.LBB283_3:                              ;   in Loop: Header=BB283_4 Depth=1
	s_or_b64 exec, exec, s[0:1]
	v_mad_i64_i32 v[14:15], s[0:1], v22, 36, v[4:5]
	v_lshl_add_u64 v[30:31], v[14:15], 0, v[10:11]
	global_load_dword v32, v[12:13], off
	global_load_dword v29, v[14:15], off
	global_load_dword v33, v[30:31], off offset:20
	global_load_dword v34, v[30:31], off offset:40
	;; [unrolled: 1-line block ×5, first 2 shown]
	s_waitcnt vmcnt(7)
	v_ashrrev_i32_e32 v13, v21, v28
	v_ashrrev_i32_e32 v14, v21, v27
	v_and_b32_e32 v27, 0xf0f0f0f, v24
	v_lshrrev_b32_e32 v24, 4, v24
	v_lshlrev_b32_e32 v41, 4, v13
	v_and_b32_e32 v15, 0xf0f0f0f, v25
	v_mov_b32_e32 v28, 0
	v_mov_b32_e32 v30, 0
	v_lshrrev_b32_e32 v25, 4, v25
	v_lshlrev_b32_e32 v40, 4, v14
	v_and_b32_e32 v24, 0xf0f0f0f, v24
	v_lshlrev_b32_e32 v13, 3, v13
	v_and_or_b32 v27, v41, s14, v27
	v_and_b32_e32 v31, 0xff00ff, v26
	v_mov_b32_e32 v38, 0
	v_mov_b32_e32 v39, 0
	v_and_b32_e32 v25, 0xf0f0f0f, v25
	v_lshlrev_b32_e32 v14, 3, v14
	v_and_or_b32 v15, v40, s14, v15
	v_and_or_b32 v40, v13, s14, v24
	v_pk_lshrrev_b16 v12, 8, v26 op_sel_hi:[0,1]
	v_bitop3_b32 v26, v26, s15, v23 bitop3:0x80
	v_lshrrev_b32_e32 v31, 16, v31
	v_and_or_b32 v25, v14, s14, v25
	v_lshrrev_b32_e32 v42, 16, v12
	v_and_b32_e32 v12, 0xff, v12
	v_add_u32_e32 v18, 4, v18
	v_cmp_le_u32_e64 s[0:1], s12, v18
	s_or_b64 s[4:5], s[0:1], s[4:5]
	v_add_u32_e32 v22, 32, v22
	s_waitcnt vmcnt(6)
	v_cvt_f32_f16_sdwa v13, v32 dst_sel:DWORD dst_unused:UNUSED_PAD src0_sel:WORD_1
	s_waitcnt vmcnt(5)
	v_cvt_f32_f16_e32 v14, v29
	s_waitcnt vmcnt(4)
	v_dot4c_i32_i8_e32 v28, v27, v33
	v_dot4c_i32_i8_e32 v30, 0x1010101, v33
	s_waitcnt vmcnt(2)
	v_dot4c_i32_i8_e32 v38, v40, v35
	v_dot4c_i32_i8_e32 v39, 0x1010101, v35
	;; [unrolled: 3-line block ×3, first 2 shown]
	v_dot4c_i32_i8_e32 v38, v25, v34
	v_dot4c_i32_i8_e32 v39, 0x1010101, v34
	v_mul_lo_u32 v15, v28, v26
	v_mul_lo_u32 v25, v30, v31
	;; [unrolled: 1-line block ×4, first 2 shown]
	v_cvt_f32_i32_e32 v27, v25
	v_cvt_f32_i32_e32 v26, v15
	v_cvt_f32_f16_e32 v24, v36
	v_cvt_f32_i32_e32 v29, v28
	v_cvt_f32_i32_e32 v28, v12
	v_cvt_f32_f16_e32 v12, v32
	v_pk_fma_f32 v[14:15], v[14:15], v[26:27], 0 op_sel_hi:[0,1,0]
	v_pk_fma_f32 v[14:15], v[24:25], v[28:29], v[14:15] op_sel_hi:[0,1,1]
	v_pk_mul_f32 v[12:13], v[14:15], v[12:13]
	s_nop 0
	v_sub_f32_e32 v12, v12, v13
	v_add_f32_e32 v20, v20, v12
	s_andn2_b64 exec, exec, s[4:5]
	s_cbranch_execz .LBB283_8
.LBB283_4:                              ; =>This Inner Loop Header: Depth=1
	v_add_u32_e32 v12, v19, v18
	v_mad_i64_i32 v[12:13], s[0:1], v12, s13, v[6:7]
	v_lshl_add_u64 v[14:15], v[12:13], 0, v[0:1]
	v_lshl_add_u64 v[14:15], v[14:15], 0, v[2:3]
	;; [unrolled: 1-line block ×3, first 2 shown]
	global_load_dword v25, v[14:15], off offset:48
	global_load_dword v24, v[14:15], off offset:64
	global_load_dword v27, v[30:31], off offset:16
	global_load_dword v28, v[30:31], off offset:32
	v_lshl_add_u64 v[14:15], v[12:13], 0, v[8:9]
                                        ; implicit-def: $vgpr26
	s_and_saveexec_b64 s[0:1], vcc
	s_xor_b64 s[0:1], exec, s[0:1]
	s_cbranch_execz .LBB283_6
; %bb.5:                                ;   in Loop: Header=BB283_4 Depth=1
	global_load_ushort v26, v[14:15], off
	global_load_ushort v29, v[14:15], off offset:8
	global_load_ushort v30, v[14:15], off offset:4
	s_waitcnt vmcnt(1)
	v_pk_lshrrev_b16 v14, 4, v29 op_sel:[1,0] op_sel_hi:[0,0]
	s_waitcnt vmcnt(0)
	v_perm_b32 v15, v30, v26, s7
	v_and_b32_e32 v14, 0xf0f0f0f, v14
	v_pk_lshrrev_b16 v15, 2, v15 op_sel_hi:[0,1]
	v_and_or_b32 v26, v15, s9, v14
                                        ; implicit-def: $vgpr14_vgpr15
.LBB283_6:                              ;   in Loop: Header=BB283_4 Depth=1
	s_andn2_saveexec_b64 s[0:1], s[0:1]
	s_cbranch_execz .LBB283_3
; %bb.7:                                ;   in Loop: Header=BB283_4 Depth=1
	global_load_ushort v26, v[14:15], off offset:4
	global_load_ushort v29, v[14:15], off offset:8
	s_waitcnt vmcnt(0)
	v_perm_b32 v14, v29, v26, s7
	v_and_b32_e32 v26, 0x3f3f3f3f, v14
	s_branch .LBB283_3
.LBB283_8:
	s_or_b64 exec, exec, s[4:5]
.LBB283_9:
	s_or_b64 exec, exec, s[10:11]
	v_mbcnt_lo_u32_b32 v0, -1, 0
	v_mbcnt_hi_u32_b32 v1, -1, v0
	v_and_b32_e32 v0, 64, v1
	v_add_u32_e32 v2, 64, v0
	v_xor_b32_e32 v0, 32, v1
	v_cmp_lt_i32_e32 vcc, v0, v2
	v_xor_b32_e32 v3, 16, v1
	v_xor_b32_e32 v4, 8, v1
	v_cndmask_b32_e32 v0, v1, v0, vcc
	v_lshlrev_b32_e32 v0, 2, v0
	ds_bpermute_b32 v0, v0, v20
	v_cmp_lt_i32_e32 vcc, v3, v2
	s_waitcnt lgkmcnt(0)
	v_add_f32_e32 v0, v20, v0
	v_cndmask_b32_e32 v3, v1, v3, vcc
	v_lshlrev_b32_e32 v3, 2, v3
	ds_bpermute_b32 v3, v3, v0
	v_cmp_lt_i32_e32 vcc, v4, v2
	s_waitcnt lgkmcnt(0)
	v_add_f32_e32 v0, v0, v3
	v_cndmask_b32_e32 v3, v1, v4, vcc
	v_lshlrev_b32_e32 v3, 2, v3
	ds_bpermute_b32 v3, v3, v0
	v_xor_b32_e32 v4, 4, v1
	v_cmp_lt_i32_e32 vcc, v4, v2
	s_waitcnt lgkmcnt(0)
	v_add_f32_e32 v0, v0, v3
	v_cndmask_b32_e32 v3, v1, v4, vcc
	v_lshlrev_b32_e32 v3, 2, v3
	ds_bpermute_b32 v3, v3, v0
	v_xor_b32_e32 v4, 2, v1
	;; [unrolled: 7-line block ×3, first 2 shown]
	v_cmp_lt_i32_e32 vcc, v4, v2
	s_waitcnt lgkmcnt(0)
	v_add_f32_e32 v0, v0, v3
	v_cndmask_b32_e32 v1, v1, v4, vcc
	v_lshlrev_b32_e32 v1, 2, v1
	ds_bpermute_b32 v1, v1, v0
	v_cmp_eq_u32_e32 vcc, 0, v17
	s_and_b64 exec, exec, vcc
	s_cbranch_execz .LBB283_11
; %bb.10:
	s_waitcnt lgkmcnt(0)
	v_add_f32_e32 v0, v0, v1
	v_bfe_u32 v1, v0, 16, 1
	s_movk_i32 s0, 0x7fff
	v_add3_u32 v1, v0, v1, s0
	v_cmp_o_f32_e32 vcc, v0, v0
	v_mov_b32_e32 v0, 0x7fc0
	s_mul_i32 s0, s6, s8
	v_cndmask_b32_sdwa v2, v0, v1, vcc dst_sel:DWORD dst_unused:UNUSED_PAD src0_sel:DWORD src1_sel:WORD_1
	v_add_u32_e32 v0, s0, v16
	v_mov_b32_e32 v1, 0
	v_lshl_add_u64 v[0:1], v[0:1], 1, s[2:3]
	global_store_short v[0:1], v2, off
.LBB283_11:
	s_endpgm
	.section	.rodata,"a",@progbits
	.p2align	6, 0x0
	.amdhsa_kernel _ZL9moe_vec_qIN3c108BFloat16ELi256ELi32E10block_q5_KLi2EXadL_ZL17vec_dot_q5_K_q8_1PKvPK10block_q8_1RKiEEEvS4_S4_PT_PS8_iiii
		.amdhsa_group_segment_fixed_size 0
		.amdhsa_private_segment_fixed_size 0
		.amdhsa_kernarg_size 304
		.amdhsa_user_sgpr_count 2
		.amdhsa_user_sgpr_dispatch_ptr 0
		.amdhsa_user_sgpr_queue_ptr 0
		.amdhsa_user_sgpr_kernarg_segment_ptr 1
		.amdhsa_user_sgpr_dispatch_id 0
		.amdhsa_user_sgpr_kernarg_preload_length 0
		.amdhsa_user_sgpr_kernarg_preload_offset 0
		.amdhsa_user_sgpr_private_segment_size 0
		.amdhsa_uses_dynamic_stack 0
		.amdhsa_enable_private_segment 0
		.amdhsa_system_sgpr_workgroup_id_x 1
		.amdhsa_system_sgpr_workgroup_id_y 0
		.amdhsa_system_sgpr_workgroup_id_z 1
		.amdhsa_system_sgpr_workgroup_info 0
		.amdhsa_system_vgpr_workitem_id 1
		.amdhsa_next_free_vgpr 43
		.amdhsa_next_free_sgpr 20
		.amdhsa_accum_offset 44
		.amdhsa_reserve_vcc 1
		.amdhsa_float_round_mode_32 0
		.amdhsa_float_round_mode_16_64 0
		.amdhsa_float_denorm_mode_32 3
		.amdhsa_float_denorm_mode_16_64 3
		.amdhsa_dx10_clamp 1
		.amdhsa_ieee_mode 1
		.amdhsa_fp16_overflow 0
		.amdhsa_tg_split 0
		.amdhsa_exception_fp_ieee_invalid_op 0
		.amdhsa_exception_fp_denorm_src 0
		.amdhsa_exception_fp_ieee_div_zero 0
		.amdhsa_exception_fp_ieee_overflow 0
		.amdhsa_exception_fp_ieee_underflow 0
		.amdhsa_exception_fp_ieee_inexact 0
		.amdhsa_exception_int_div_zero 0
	.end_amdhsa_kernel
	.section	.text._ZL9moe_vec_qIN3c108BFloat16ELi256ELi32E10block_q5_KLi2EXadL_ZL17vec_dot_q5_K_q8_1PKvPK10block_q8_1RKiEEEvS4_S4_PT_PS8_iiii,"axG",@progbits,_ZL9moe_vec_qIN3c108BFloat16ELi256ELi32E10block_q5_KLi2EXadL_ZL17vec_dot_q5_K_q8_1PKvPK10block_q8_1RKiEEEvS4_S4_PT_PS8_iiii,comdat
.Lfunc_end283:
	.size	_ZL9moe_vec_qIN3c108BFloat16ELi256ELi32E10block_q5_KLi2EXadL_ZL17vec_dot_q5_K_q8_1PKvPK10block_q8_1RKiEEEvS4_S4_PT_PS8_iiii, .Lfunc_end283-_ZL9moe_vec_qIN3c108BFloat16ELi256ELi32E10block_q5_KLi2EXadL_ZL17vec_dot_q5_K_q8_1PKvPK10block_q8_1RKiEEEvS4_S4_PT_PS8_iiii
                                        ; -- End function
	.set _ZL9moe_vec_qIN3c108BFloat16ELi256ELi32E10block_q5_KLi2EXadL_ZL17vec_dot_q5_K_q8_1PKvPK10block_q8_1RKiEEEvS4_S4_PT_PS8_iiii.num_vgpr, 43
	.set _ZL9moe_vec_qIN3c108BFloat16ELi256ELi32E10block_q5_KLi2EXadL_ZL17vec_dot_q5_K_q8_1PKvPK10block_q8_1RKiEEEvS4_S4_PT_PS8_iiii.num_agpr, 0
	.set _ZL9moe_vec_qIN3c108BFloat16ELi256ELi32E10block_q5_KLi2EXadL_ZL17vec_dot_q5_K_q8_1PKvPK10block_q8_1RKiEEEvS4_S4_PT_PS8_iiii.numbered_sgpr, 20
	.set _ZL9moe_vec_qIN3c108BFloat16ELi256ELi32E10block_q5_KLi2EXadL_ZL17vec_dot_q5_K_q8_1PKvPK10block_q8_1RKiEEEvS4_S4_PT_PS8_iiii.num_named_barrier, 0
	.set _ZL9moe_vec_qIN3c108BFloat16ELi256ELi32E10block_q5_KLi2EXadL_ZL17vec_dot_q5_K_q8_1PKvPK10block_q8_1RKiEEEvS4_S4_PT_PS8_iiii.private_seg_size, 0
	.set _ZL9moe_vec_qIN3c108BFloat16ELi256ELi32E10block_q5_KLi2EXadL_ZL17vec_dot_q5_K_q8_1PKvPK10block_q8_1RKiEEEvS4_S4_PT_PS8_iiii.uses_vcc, 1
	.set _ZL9moe_vec_qIN3c108BFloat16ELi256ELi32E10block_q5_KLi2EXadL_ZL17vec_dot_q5_K_q8_1PKvPK10block_q8_1RKiEEEvS4_S4_PT_PS8_iiii.uses_flat_scratch, 0
	.set _ZL9moe_vec_qIN3c108BFloat16ELi256ELi32E10block_q5_KLi2EXadL_ZL17vec_dot_q5_K_q8_1PKvPK10block_q8_1RKiEEEvS4_S4_PT_PS8_iiii.has_dyn_sized_stack, 0
	.set _ZL9moe_vec_qIN3c108BFloat16ELi256ELi32E10block_q5_KLi2EXadL_ZL17vec_dot_q5_K_q8_1PKvPK10block_q8_1RKiEEEvS4_S4_PT_PS8_iiii.has_recursion, 0
	.set _ZL9moe_vec_qIN3c108BFloat16ELi256ELi32E10block_q5_KLi2EXadL_ZL17vec_dot_q5_K_q8_1PKvPK10block_q8_1RKiEEEvS4_S4_PT_PS8_iiii.has_indirect_call, 0
	.section	.AMDGPU.csdata,"",@progbits
; Kernel info:
; codeLenInByte = 1376
; TotalNumSgprs: 26
; NumVgprs: 43
; NumAgprs: 0
; TotalNumVgprs: 43
; ScratchSize: 0
; MemoryBound: 0
; FloatMode: 240
; IeeeMode: 1
; LDSByteSize: 0 bytes/workgroup (compile time only)
; SGPRBlocks: 3
; VGPRBlocks: 5
; NumSGPRsForWavesPerEU: 26
; NumVGPRsForWavesPerEU: 43
; AccumOffset: 44
; Occupancy: 8
; WaveLimiterHint : 1
; COMPUTE_PGM_RSRC2:SCRATCH_EN: 0
; COMPUTE_PGM_RSRC2:USER_SGPR: 2
; COMPUTE_PGM_RSRC2:TRAP_HANDLER: 0
; COMPUTE_PGM_RSRC2:TGID_X_EN: 1
; COMPUTE_PGM_RSRC2:TGID_Y_EN: 0
; COMPUTE_PGM_RSRC2:TGID_Z_EN: 1
; COMPUTE_PGM_RSRC2:TIDIG_COMP_CNT: 1
; COMPUTE_PGM_RSRC3_GFX90A:ACCUM_OFFSET: 10
; COMPUTE_PGM_RSRC3_GFX90A:TG_SPLIT: 0
	.section	.text._ZL9moe_vec_qIN3c108BFloat16ELi256ELi32E10block_q6_KLi1EXadL_ZL17vec_dot_q6_K_q8_1PKvPK10block_q8_1RKiEEEvS4_S4_PT_PS8_iiii,"axG",@progbits,_ZL9moe_vec_qIN3c108BFloat16ELi256ELi32E10block_q6_KLi1EXadL_ZL17vec_dot_q6_K_q8_1PKvPK10block_q8_1RKiEEEvS4_S4_PT_PS8_iiii,comdat
	.globl	_ZL9moe_vec_qIN3c108BFloat16ELi256ELi32E10block_q6_KLi1EXadL_ZL17vec_dot_q6_K_q8_1PKvPK10block_q8_1RKiEEEvS4_S4_PT_PS8_iiii ; -- Begin function _ZL9moe_vec_qIN3c108BFloat16ELi256ELi32E10block_q6_KLi1EXadL_ZL17vec_dot_q6_K_q8_1PKvPK10block_q8_1RKiEEEvS4_S4_PT_PS8_iiii
	.p2align	8
	.type	_ZL9moe_vec_qIN3c108BFloat16ELi256ELi32E10block_q6_KLi1EXadL_ZL17vec_dot_q6_K_q8_1PKvPK10block_q8_1RKiEEEvS4_S4_PT_PS8_iiii,@function
_ZL9moe_vec_qIN3c108BFloat16ELi256ELi32E10block_q6_KLi1EXadL_ZL17vec_dot_q6_K_q8_1PKvPK10block_q8_1RKiEEEvS4_S4_PT_PS8_iiii: ; @_ZL9moe_vec_qIN3c108BFloat16ELi256ELi32E10block_q6_KLi1EXadL_ZL17vec_dot_q6_K_q8_1PKvPK10block_q8_1RKiEEEvS4_S4_PT_PS8_iiii
; %bb.0:
	s_mov_b32 s8, s3
	s_load_dword s3, s[0:1], 0x3c
	s_load_dwordx4 s[4:7], s[0:1], 0x20
	v_bfe_u32 v1, v0, 10, 10
	s_waitcnt lgkmcnt(0)
	s_lshr_b32 s3, s3, 16
	s_mul_i32 s2, s2, s3
	v_add_u32_e32 v12, s2, v1
	v_cmp_gt_u32_e32 vcc, s6, v12
	s_and_saveexec_b64 s[2:3], vcc
	s_cbranch_execz .LBB284_7
; %bb.1:
	s_load_dwordx2 s[2:3], s[0:1], 0x10
	s_ashr_i32 s9, s5, 31
	s_lshr_b32 s9, s9, 24
	s_add_i32 s5, s5, s9
	s_ashr_i32 s5, s5, 8
	v_bfe_u32 v14, v0, 5, 5
	v_and_b32_e32 v13, 0x3ff, v0
	v_cmp_gt_u32_e32 vcc, s5, v14
	v_mov_b32_e32 v16, 0
	s_and_saveexec_b64 s[10:11], vcc
	s_cbranch_execz .LBB284_5
; %bb.2:
	s_load_dwordx2 s[12:13], s[0:1], 0x18
	v_cvt_f32_u32_e32 v0, s4
	s_mov_b32 s9, 0
	s_lshl_b64 s[14:15], s[8:9], 2
	v_and_b32_e32 v2, 31, v13
	s_waitcnt lgkmcnt(0)
	s_add_u32 s12, s12, s14
	v_rcp_iflag_f32_e32 v0, v0
	s_addc_u32 s13, s13, s15
	s_load_dword s14, s[12:13], 0x0
	s_load_dwordx4 s[16:19], s[0:1], 0x0
	s_mul_i32 s0, s5, s6
	v_mul_f32_e32 v0, 0x4f7ffffe, v0
	v_cvt_u32_f32_e32 v0, v0
	s_waitcnt lgkmcnt(0)
	s_mul_i32 s0, s0, s14
	s_mul_hi_i32 s1, s0, 0xd2
	s_mulk_i32 s0, 0xd2
	s_add_u32 s14, s16, s0
	s_addc_u32 s15, s17, s1
	s_sub_i32 s0, 0, s4
	v_readfirstlane_b32 s1, v0
	s_mul_i32 s0, s0, s1
	s_mul_hi_u32 s0, s1, s0
	s_add_i32 s1, s1, s0
	s_mul_hi_u32 s0, s8, s1
	s_mul_i32 s1, s0, s4
	s_sub_i32 s1, s8, s1
	s_add_i32 s13, s0, 1
	s_sub_i32 s16, s1, s4
	s_cmp_ge_u32 s1, s4
	s_cselect_b32 s0, s13, s0
	s_cselect_b32 s1, s16, s1
	s_add_i32 s13, s0, 1
	s_cmp_ge_u32 s1, s4
	s_cselect_b32 s0, s13, s0
	s_mul_i32 s0, s0, s7
	s_mov_b32 s1, s9
	v_add_u32_e32 v0, 0xf0, v2
	v_cmp_gt_u32_e32 vcc, 16, v2
	s_lshl_b64 s[0:1], s[0:1], 2
	s_add_u32 s0, s18, s0
	v_cndmask_b32_e32 v8, v0, v2, vcc
	v_and_b32_e32 v9, 0xf8, v8
	v_cmp_lt_u32_e32 vcc, 15, v2
	s_addc_u32 s1, s19, s1
	v_and_b32_e32 v4, 7, v13
	v_cndmask_b32_e64 v10, 0, 8, vcc
	v_cndmask_b32_e64 v6, 0, 4, vcc
	v_cmp_ne_u32_e32 vcc, 0, v9
	v_mad_u64_u32 v[6:7], s[0:1], v6, 36, s[0:1]
	s_nop 0
	v_cndmask_b32_e64 v9, 0, 1, vcc
	v_lshlrev_b32_e32 v0, 2, v2
	v_mov_b32_e32 v1, 0
	v_or_b32_e32 v2, v10, v4
	v_mad_u64_u32 v[6:7], s[0:1], v9, 36, v[6:7]
	v_bfe_u32 v8, v8, 2, 6
	s_movk_i32 s12, 0xd2
	v_mul_lo_u32 v15, v12, s5
	v_lshlrev_b32_e32 v2, 2, v2
	v_mov_b32_e32 v3, v1
	v_lshlrev_b32_e32 v4, 2, v4
	v_mov_b32_e32 v5, v1
	v_cndmask_b32_e64 v17, 0, 2, vcc
	v_add_u32_e32 v8, v8, v10
	v_mov_b32_e32 v9, v1
	v_lshlrev_b32_e32 v18, 3, v14
	s_mov_b64 s[0:1], 0
	v_mov_b64_e32 v[10:11], s[14:15]
	s_mov_b32 s4, 0x30303030
	s_movk_i32 s7, 0xe000
	s_movk_i32 s9, 0x3f00
	v_mov_b32_e32 v16, v1
.LBB284_3:                              ; =>This Inner Loop Header: Depth=1
	v_add_u32_e32 v19, v15, v14
	v_mad_i64_i32 v[20:21], s[14:15], v19, s12, v[10:11]
	v_lshl_add_u64 v[24:25], v[20:21], 0, v[2:3]
	v_lshl_add_u64 v[22:23], v[20:21], 0, v[0:1]
	global_load_dword v19, v[24:25], off offset:128
	global_load_dword v26, v[22:23], off
	v_mad_i64_i32 v[22:23], s[14:15], v18, 36, v[6:7]
	v_lshl_add_u64 v[24:25], v[22:23], 0, v[4:5]
	global_load_dword v27, v[24:25], off offset:4
	global_load_dword v28, v[24:25], off offset:76
	v_lshl_add_u64 v[24:25], v[20:21], 0, v[8:9]
	global_load_sbyte v29, v[24:25], off offset:192
	global_load_sbyte v30, v[24:25], off offset:196
	global_load_dword v31, v[22:23], off
	global_load_dword v32, v[22:23], off offset:72
	global_load_ushort v33, v[20:21], off offset:208
	v_mov_b32_e32 v20, 0
	v_mov_b32_e32 v21, 0
	v_add_u32_e32 v14, 2, v14
	v_cmp_le_u32_e32 vcc, s5, v14
	v_add_u32_e32 v18, 16, v18
	s_or_b64 s[0:1], vcc, s[0:1]
	s_waitcnt vmcnt(8)
	v_ashrrev_i32_e32 v19, v17, v19
	s_waitcnt vmcnt(7)
	v_and_b32_e32 v22, 0xf0f0f0f, v26
	v_lshrrev_b32_e32 v23, 4, v26
	v_lshlrev_b32_e32 v24, 4, v19
	v_and_b32_e32 v23, 0xf0f0f0f, v23
	v_and_or_b32 v22, v24, s4, v22
	v_and_or_b32 v19, v19, s4, v23
	v_lshrrev_b32_e32 v23, 16, v22
	v_lshlrev_b16_e32 v24, 8, v22
	v_lshrrev_b32_e32 v25, 16, v19
	v_lshlrev_b16_e32 v26, 8, v19
	v_add_u16_e32 v24, 0xe000, v24
	v_lshlrev_b16_e32 v34, 8, v23
	v_add_u16_e32 v26, 0xe000, v26
	v_lshlrev_b16_e32 v35, 8, v25
	v_lshrrev_b16_e32 v24, 8, v24
	v_add_u16_e32 v34, 0xe000, v34
	v_lshrrev_b16_e32 v26, 8, v26
	v_add_u16_e32 v35, 0xe000, v35
	v_bitop3_b16 v22, v22, v24, s9 bitop3:0xec
	v_lshrrev_b16_e32 v24, 8, v34
	v_bitop3_b16 v19, v19, v26, s9 bitop3:0xec
	v_lshrrev_b16_e32 v26, 8, v35
	v_bitop3_b16 v23, v23, v24, s9 bitop3:0xec
	v_add_u16_e32 v22, 0xe000, v22
	v_bitop3_b16 v24, v25, v26, s9 bitop3:0xec
	v_add_u16_sdwa v23, v23, s7 dst_sel:WORD_1 dst_unused:UNUSED_PAD src0_sel:DWORD src1_sel:DWORD
	v_add_u16_e32 v19, 0xe000, v19
	v_add_u16_sdwa v24, v24, s7 dst_sel:WORD_1 dst_unused:UNUSED_PAD src0_sel:DWORD src1_sel:DWORD
	v_or_b32_e32 v22, v22, v23
	v_or_b32_e32 v19, v19, v24
	s_waitcnt vmcnt(6)
	v_dot4c_i32_i8_e32 v20, v22, v27
	s_waitcnt vmcnt(5)
	v_dot4c_i32_i8_e32 v21, v19, v28
	s_waitcnt vmcnt(4)
	v_mul_lo_u32 v19, v20, v29
	s_waitcnt vmcnt(3)
	v_mul_lo_u32 v20, v21, v30
	v_cvt_f32_i32_e32 v19, v19
	v_cvt_f32_i32_e32 v20, v20
	s_waitcnt vmcnt(2)
	v_fma_mix_f32 v19, v31, v19, 0 op_sel_hi:[1,0,0]
	s_waitcnt vmcnt(1)
	v_fma_mix_f32 v19, v32, v20, v19 op_sel_hi:[1,0,0]
	;; [unrolled: 2-line block ×3, first 2 shown]
	s_andn2_b64 exec, exec, s[0:1]
	s_cbranch_execnz .LBB284_3
; %bb.4:
	s_or_b64 exec, exec, s[0:1]
.LBB284_5:
	s_or_b64 exec, exec, s[10:11]
	v_mbcnt_lo_u32_b32 v0, -1, 0
	v_mbcnt_hi_u32_b32 v1, -1, v0
	v_and_b32_e32 v0, 64, v1
	v_add_u32_e32 v2, 64, v0
	v_xor_b32_e32 v0, 32, v1
	v_cmp_lt_i32_e32 vcc, v0, v2
	v_xor_b32_e32 v3, 16, v1
	v_xor_b32_e32 v4, 8, v1
	v_cndmask_b32_e32 v0, v1, v0, vcc
	v_lshlrev_b32_e32 v0, 2, v0
	ds_bpermute_b32 v0, v0, v16
	v_cmp_lt_i32_e32 vcc, v3, v2
	s_waitcnt lgkmcnt(0)
	v_add_f32_e32 v0, v16, v0
	v_cndmask_b32_e32 v3, v1, v3, vcc
	v_lshlrev_b32_e32 v3, 2, v3
	ds_bpermute_b32 v3, v3, v0
	v_cmp_lt_i32_e32 vcc, v4, v2
	s_waitcnt lgkmcnt(0)
	v_add_f32_e32 v0, v0, v3
	v_cndmask_b32_e32 v3, v1, v4, vcc
	v_lshlrev_b32_e32 v3, 2, v3
	ds_bpermute_b32 v3, v3, v0
	v_xor_b32_e32 v4, 4, v1
	v_cmp_lt_i32_e32 vcc, v4, v2
	s_waitcnt lgkmcnt(0)
	v_add_f32_e32 v0, v0, v3
	v_cndmask_b32_e32 v3, v1, v4, vcc
	v_lshlrev_b32_e32 v3, 2, v3
	ds_bpermute_b32 v3, v3, v0
	v_xor_b32_e32 v4, 2, v1
	v_cmp_lt_i32_e32 vcc, v4, v2
	s_waitcnt lgkmcnt(0)
	v_add_f32_e32 v0, v0, v3
	v_cndmask_b32_e32 v3, v1, v4, vcc
	v_lshlrev_b32_e32 v3, 2, v3
	ds_bpermute_b32 v3, v3, v0
	v_xor_b32_e32 v4, 1, v1
	v_cmp_lt_i32_e32 vcc, v4, v2
	s_waitcnt lgkmcnt(0)
	v_add_f32_e32 v0, v0, v3
	v_cndmask_b32_e32 v1, v1, v4, vcc
	v_lshlrev_b32_e32 v1, 2, v1
	ds_bpermute_b32 v1, v1, v0
	v_cmp_eq_u32_e32 vcc, 0, v13
	s_and_b64 exec, exec, vcc
	s_cbranch_execz .LBB284_7
; %bb.6:
	s_waitcnt lgkmcnt(0)
	v_add_f32_e32 v0, v0, v1
	v_bfe_u32 v1, v0, 16, 1
	s_movk_i32 s0, 0x7fff
	v_add3_u32 v1, v0, v1, s0
	v_cmp_o_f32_e32 vcc, v0, v0
	v_mov_b32_e32 v0, 0x7fc0
	s_mul_i32 s0, s6, s8
	v_cndmask_b32_sdwa v2, v0, v1, vcc dst_sel:DWORD dst_unused:UNUSED_PAD src0_sel:DWORD src1_sel:WORD_1
	v_add_u32_e32 v0, s0, v12
	v_mov_b32_e32 v1, 0
	v_lshl_add_u64 v[0:1], v[0:1], 1, s[2:3]
	global_store_short v[0:1], v2, off
.LBB284_7:
	s_endpgm
	.section	.rodata,"a",@progbits
	.p2align	6, 0x0
	.amdhsa_kernel _ZL9moe_vec_qIN3c108BFloat16ELi256ELi32E10block_q6_KLi1EXadL_ZL17vec_dot_q6_K_q8_1PKvPK10block_q8_1RKiEEEvS4_S4_PT_PS8_iiii
		.amdhsa_group_segment_fixed_size 0
		.amdhsa_private_segment_fixed_size 0
		.amdhsa_kernarg_size 304
		.amdhsa_user_sgpr_count 2
		.amdhsa_user_sgpr_dispatch_ptr 0
		.amdhsa_user_sgpr_queue_ptr 0
		.amdhsa_user_sgpr_kernarg_segment_ptr 1
		.amdhsa_user_sgpr_dispatch_id 0
		.amdhsa_user_sgpr_kernarg_preload_length 0
		.amdhsa_user_sgpr_kernarg_preload_offset 0
		.amdhsa_user_sgpr_private_segment_size 0
		.amdhsa_uses_dynamic_stack 0
		.amdhsa_enable_private_segment 0
		.amdhsa_system_sgpr_workgroup_id_x 1
		.amdhsa_system_sgpr_workgroup_id_y 0
		.amdhsa_system_sgpr_workgroup_id_z 1
		.amdhsa_system_sgpr_workgroup_info 0
		.amdhsa_system_vgpr_workitem_id 1
		.amdhsa_next_free_vgpr 36
		.amdhsa_next_free_sgpr 20
		.amdhsa_accum_offset 36
		.amdhsa_reserve_vcc 1
		.amdhsa_float_round_mode_32 0
		.amdhsa_float_round_mode_16_64 0
		.amdhsa_float_denorm_mode_32 3
		.amdhsa_float_denorm_mode_16_64 3
		.amdhsa_dx10_clamp 1
		.amdhsa_ieee_mode 1
		.amdhsa_fp16_overflow 0
		.amdhsa_tg_split 0
		.amdhsa_exception_fp_ieee_invalid_op 0
		.amdhsa_exception_fp_denorm_src 0
		.amdhsa_exception_fp_ieee_div_zero 0
		.amdhsa_exception_fp_ieee_overflow 0
		.amdhsa_exception_fp_ieee_underflow 0
		.amdhsa_exception_fp_ieee_inexact 0
		.amdhsa_exception_int_div_zero 0
	.end_amdhsa_kernel
	.section	.text._ZL9moe_vec_qIN3c108BFloat16ELi256ELi32E10block_q6_KLi1EXadL_ZL17vec_dot_q6_K_q8_1PKvPK10block_q8_1RKiEEEvS4_S4_PT_PS8_iiii,"axG",@progbits,_ZL9moe_vec_qIN3c108BFloat16ELi256ELi32E10block_q6_KLi1EXadL_ZL17vec_dot_q6_K_q8_1PKvPK10block_q8_1RKiEEEvS4_S4_PT_PS8_iiii,comdat
.Lfunc_end284:
	.size	_ZL9moe_vec_qIN3c108BFloat16ELi256ELi32E10block_q6_KLi1EXadL_ZL17vec_dot_q6_K_q8_1PKvPK10block_q8_1RKiEEEvS4_S4_PT_PS8_iiii, .Lfunc_end284-_ZL9moe_vec_qIN3c108BFloat16ELi256ELi32E10block_q6_KLi1EXadL_ZL17vec_dot_q6_K_q8_1PKvPK10block_q8_1RKiEEEvS4_S4_PT_PS8_iiii
                                        ; -- End function
	.set _ZL9moe_vec_qIN3c108BFloat16ELi256ELi32E10block_q6_KLi1EXadL_ZL17vec_dot_q6_K_q8_1PKvPK10block_q8_1RKiEEEvS4_S4_PT_PS8_iiii.num_vgpr, 36
	.set _ZL9moe_vec_qIN3c108BFloat16ELi256ELi32E10block_q6_KLi1EXadL_ZL17vec_dot_q6_K_q8_1PKvPK10block_q8_1RKiEEEvS4_S4_PT_PS8_iiii.num_agpr, 0
	.set _ZL9moe_vec_qIN3c108BFloat16ELi256ELi32E10block_q6_KLi1EXadL_ZL17vec_dot_q6_K_q8_1PKvPK10block_q8_1RKiEEEvS4_S4_PT_PS8_iiii.numbered_sgpr, 20
	.set _ZL9moe_vec_qIN3c108BFloat16ELi256ELi32E10block_q6_KLi1EXadL_ZL17vec_dot_q6_K_q8_1PKvPK10block_q8_1RKiEEEvS4_S4_PT_PS8_iiii.num_named_barrier, 0
	.set _ZL9moe_vec_qIN3c108BFloat16ELi256ELi32E10block_q6_KLi1EXadL_ZL17vec_dot_q6_K_q8_1PKvPK10block_q8_1RKiEEEvS4_S4_PT_PS8_iiii.private_seg_size, 0
	.set _ZL9moe_vec_qIN3c108BFloat16ELi256ELi32E10block_q6_KLi1EXadL_ZL17vec_dot_q6_K_q8_1PKvPK10block_q8_1RKiEEEvS4_S4_PT_PS8_iiii.uses_vcc, 1
	.set _ZL9moe_vec_qIN3c108BFloat16ELi256ELi32E10block_q6_KLi1EXadL_ZL17vec_dot_q6_K_q8_1PKvPK10block_q8_1RKiEEEvS4_S4_PT_PS8_iiii.uses_flat_scratch, 0
	.set _ZL9moe_vec_qIN3c108BFloat16ELi256ELi32E10block_q6_KLi1EXadL_ZL17vec_dot_q6_K_q8_1PKvPK10block_q8_1RKiEEEvS4_S4_PT_PS8_iiii.has_dyn_sized_stack, 0
	.set _ZL9moe_vec_qIN3c108BFloat16ELi256ELi32E10block_q6_KLi1EXadL_ZL17vec_dot_q6_K_q8_1PKvPK10block_q8_1RKiEEEvS4_S4_PT_PS8_iiii.has_recursion, 0
	.set _ZL9moe_vec_qIN3c108BFloat16ELi256ELi32E10block_q6_KLi1EXadL_ZL17vec_dot_q6_K_q8_1PKvPK10block_q8_1RKiEEEvS4_S4_PT_PS8_iiii.has_indirect_call, 0
	.section	.AMDGPU.csdata,"",@progbits
; Kernel info:
; codeLenInByte = 1216
; TotalNumSgprs: 26
; NumVgprs: 36
; NumAgprs: 0
; TotalNumVgprs: 36
; ScratchSize: 0
; MemoryBound: 0
; FloatMode: 240
; IeeeMode: 1
; LDSByteSize: 0 bytes/workgroup (compile time only)
; SGPRBlocks: 3
; VGPRBlocks: 4
; NumSGPRsForWavesPerEU: 26
; NumVGPRsForWavesPerEU: 36
; AccumOffset: 36
; Occupancy: 8
; WaveLimiterHint : 1
; COMPUTE_PGM_RSRC2:SCRATCH_EN: 0
; COMPUTE_PGM_RSRC2:USER_SGPR: 2
; COMPUTE_PGM_RSRC2:TRAP_HANDLER: 0
; COMPUTE_PGM_RSRC2:TGID_X_EN: 1
; COMPUTE_PGM_RSRC2:TGID_Y_EN: 0
; COMPUTE_PGM_RSRC2:TGID_Z_EN: 1
; COMPUTE_PGM_RSRC2:TIDIG_COMP_CNT: 1
; COMPUTE_PGM_RSRC3_GFX90A:ACCUM_OFFSET: 8
; COMPUTE_PGM_RSRC3_GFX90A:TG_SPLIT: 0
	.section	.text._ZL9moe_vec_qIN3c108BFloat16ELi256ELi8E13block_iq2_xxsLi1EXadL_ZL20vec_dot_iq2_xxs_q8_1PKvPK10block_q8_1RKiEEEvS4_S4_PT_PS8_iiii,"axG",@progbits,_ZL9moe_vec_qIN3c108BFloat16ELi256ELi8E13block_iq2_xxsLi1EXadL_ZL20vec_dot_iq2_xxs_q8_1PKvPK10block_q8_1RKiEEEvS4_S4_PT_PS8_iiii,comdat
	.globl	_ZL9moe_vec_qIN3c108BFloat16ELi256ELi8E13block_iq2_xxsLi1EXadL_ZL20vec_dot_iq2_xxs_q8_1PKvPK10block_q8_1RKiEEEvS4_S4_PT_PS8_iiii ; -- Begin function _ZL9moe_vec_qIN3c108BFloat16ELi256ELi8E13block_iq2_xxsLi1EXadL_ZL20vec_dot_iq2_xxs_q8_1PKvPK10block_q8_1RKiEEEvS4_S4_PT_PS8_iiii
	.p2align	8
	.type	_ZL9moe_vec_qIN3c108BFloat16ELi256ELi8E13block_iq2_xxsLi1EXadL_ZL20vec_dot_iq2_xxs_q8_1PKvPK10block_q8_1RKiEEEvS4_S4_PT_PS8_iiii,@function
_ZL9moe_vec_qIN3c108BFloat16ELi256ELi8E13block_iq2_xxsLi1EXadL_ZL20vec_dot_iq2_xxs_q8_1PKvPK10block_q8_1RKiEEEvS4_S4_PT_PS8_iiii: ; @_ZL9moe_vec_qIN3c108BFloat16ELi256ELi8E13block_iq2_xxsLi1EXadL_ZL20vec_dot_iq2_xxs_q8_1PKvPK10block_q8_1RKiEEEvS4_S4_PT_PS8_iiii
; %bb.0:
	s_mov_b32 s68, s3
	s_load_dword s3, s[0:1], 0x3c
	s_load_dwordx4 s[64:67], s[0:1], 0x20
	v_bfe_u32 v1, v0, 10, 10
	s_waitcnt lgkmcnt(0)
	s_lshr_b32 s3, s3, 16
	s_mul_i32 s2, s2, s3
	v_add_u32_e32 v8, s2, v1
	v_cmp_gt_u32_e32 vcc, s66, v8
	s_and_saveexec_b64 s[2:3], vcc
	s_cbranch_execz .LBB285_7
; %bb.1:
	s_load_dwordx2 s[70:71], s[0:1], 0x10
	s_ashr_i32 s2, s65, 31
	s_lshr_b32 s2, s2, 24
	s_add_i32 s2, s65, s2
	s_ashr_i32 s33, s2, 8
	v_bfe_u32 v10, v0, 3, 7
	v_and_b32_e32 v9, 0x3ff, v0
	v_cmp_gt_u32_e32 vcc, s33, v10
	v_mov_b32_e32 v11, 0
	s_and_saveexec_b64 s[72:73], vcc
	s_cbranch_execz .LBB285_5
; %bb.2:
	s_load_dwordx2 s[4:5], s[0:1], 0x18
	v_cvt_f32_u32_e32 v0, s64
	s_mov_b32 s69, 0
	s_lshl_b64 s[6:7], s[68:69], 2
	s_load_dwordx4 s[0:3], s[0:1], 0x0
	s_waitcnt lgkmcnt(0)
	s_add_u32 s4, s4, s6
	s_addc_u32 s5, s5, s7
	v_rcp_iflag_f32_e32 v0, v0
	s_load_dword s4, s[4:5], 0x0
	s_mul_i32 s5, s33, s66
	v_and_b32_e32 v2, 7, v9
	v_mul_f32_e32 v0, 0x4f7ffffe, v0
	v_cvt_u32_f32_e32 v0, v0
	s_waitcnt lgkmcnt(0)
	s_mul_i32 s4, s5, s4
	s_mul_hi_i32 s5, s4, 0x42
	s_mulk_i32 s4, 0x42
	s_add_u32 s0, s0, s4
	s_addc_u32 s1, s1, s5
	s_sub_i32 s4, 0, s64
	v_readfirstlane_b32 s5, v0
	s_mul_i32 s4, s4, s5
	s_mul_hi_u32 s4, s5, s4
	s_add_i32 s5, s5, s4
	s_mul_hi_u32 s4, s68, s5
	s_mul_i32 s5, s4, s64
	s_sub_i32 s5, s68, s5
	s_add_i32 s6, s4, 1
	s_sub_i32 s7, s5, s64
	s_cmp_ge_u32 s5, s64
	s_cselect_b32 s4, s6, s4
	s_cselect_b32 s5, s7, s5
	s_add_i32 s6, s4, 1
	s_cmp_ge_u32 s5, s64
	s_cselect_b32 s4, s6, s4
	s_mul_i32 s4, s4, s67
	s_mov_b32 s5, s69
	s_lshl_b64 s[4:5], s[4:5], 2
	s_add_u32 s2, s2, s4
	s_addc_u32 s3, s3, s5
	v_lshlrev_b32_e32 v0, 2, v2
	v_mov_b32_e32 v1, 0
	s_movk_i32 s74, 0x42
	v_mad_u64_u32 v[2:3], s[2:3], v2, 36, s[2:3]
	v_lshlrev_b32_e32 v12, 3, v10
	s_mov_b64 s[64:65], 0
	v_mov_b64_e32 v[4:5], s[0:1]
	v_lshlrev_b32_e32 v0, 1, v0
	v_mov_b32_e32 v13, 3
	v_mov_b32_e32 v11, v1
.LBB285_3:                              ; =>This Inner Loop Header: Depth=1
	v_mul_lo_u32 v14, v8, s33
	v_mad_i64_i32 v[6:7], s[0:1], v12, 36, v[2:3]
	v_add_u32_e32 v14, v14, v10
	global_load_dwordx4 v[16:19], v[6:7], off offset:20
	global_load_dwordx4 v[20:23], v[6:7], off offset:4
	global_load_ushort v28, v[6:7], off
	v_mad_i64_i32 v[6:7], s[4:5], v14, s74, v[4:5]
	v_lshl_add_u64 v[14:15], v[6:7], 0, v[0:1]
	global_load_ushort v29, v[6:7], off
	global_load_dword v24, v[14:15], off offset:2
	global_load_dword v30, v[14:15], off offset:6
	s_getpc_b64 s[0:1]
	s_add_u32 s0, s0, _ZL11iq2xxs_grid@rel32@lo+4
	s_addc_u32 s1, s1, _ZL11iq2xxs_grid@rel32@hi+12
	s_getpc_b64 s[2:3]
	s_add_u32 s2, s2, _ZL12ksigns_iq2xs@rel32@lo+4
	s_addc_u32 s3, s3, _ZL12ksigns_iq2xs@rel32@hi+12
	v_add_u32_e32 v10, 8, v10
	v_add_u32_e32 v12, 64, v12
	s_waitcnt vmcnt(3)
	v_cvt_f32_f16_e32 v28, v28
	s_waitcnt vmcnt(2)
	v_cvt_f32_f16_e32 v29, v29
	s_waitcnt vmcnt(1)
	v_lshlrev_b32_sdwa v31, v13, v24 dst_sel:DWORD dst_unused:UNUSED_PAD src0_sel:DWORD src1_sel:BYTE_0
	s_waitcnt vmcnt(0)
	v_and_b32_e32 v32, 0x7f, v30
	v_lshlrev_b32_sdwa v33, v13, v24 dst_sel:DWORD dst_unused:UNUSED_PAD src0_sel:DWORD src1_sel:BYTE_1
	v_bfe_u32 v34, v30, 7, 7
	v_lshlrev_b32_sdwa v35, v13, v24 dst_sel:DWORD dst_unused:UNUSED_PAD src0_sel:DWORD src1_sel:BYTE_2
	v_lshlrev_b32_sdwa v36, v13, v24 dst_sel:DWORD dst_unused:UNUSED_PAD src0_sel:DWORD src1_sel:BYTE_3
	v_bfe_u32 v37, v30, 14, 7
	v_bfe_u32 v38, v30, 21, 7
	global_load_dwordx2 v[6:7], v31, s[0:1]
	global_load_sbyte v39, v32, s[2:3]
	global_load_dwordx2 v[14:15], v33, s[0:1]
	global_load_dwordx2 v[24:25], v35, s[0:1]
	;; [unrolled: 1-line block ×3, first 2 shown]
	global_load_sbyte v40, v34, s[2:3]
	global_load_sbyte v41, v37, s[2:3]
	;; [unrolled: 1-line block ×3, first 2 shown]
	v_cmp_gt_u32_e32 vcc, 64, v32
	v_cmp_gt_u32_e64 s[0:1], 64, v34
	v_cmp_gt_u32_e64 s[4:5], 64, v38
	;; [unrolled: 1-line block ×3, first 2 shown]
	v_lshrrev_b32_e32 v30, 28, v30
	v_cvt_f32_ubyte0_e32 v30, v30
	v_add_f32_e32 v30, 0.5, v30
	s_waitcnt vmcnt(7)
	v_mul_i32_i24_sdwa v31, v6, sext(v20) dst_sel:DWORD dst_unused:UNUSED_PAD src0_sel:BYTE_0 src1_sel:BYTE_0
	v_mul_i32_i24_sdwa v33, v6, sext(v20) dst_sel:DWORD dst_unused:UNUSED_PAD src0_sel:BYTE_1 src1_sel:BYTE_1
	s_waitcnt vmcnt(6)
	v_and_b32_e32 v35, 2, v39
	v_mul_i32_i24_sdwa v36, v6, sext(v20) dst_sel:DWORD dst_unused:UNUSED_PAD src0_sel:BYTE_2 src1_sel:BYTE_2
	v_and_b32_e32 v43, 4, v39
	v_mul_i32_i24_sdwa v6, v6, sext(v20) dst_sel:DWORD dst_unused:UNUSED_PAD src0_sel:BYTE_3 src1_sel:BYTE_3
	v_and_b32_e32 v20, 8, v39
	v_and_b32_e32 v45, 16, v39
	;; [unrolled: 1-line block ×3, first 2 shown]
	v_cmp_gt_i16_e64 s[60:61], 0, v39
	v_and_b32_e32 v39, 1, v39
	s_waitcnt vmcnt(1)
	v_and_b32_e32 v66, 1, v41
	v_and_b32_e32 v67, 2, v41
	;; [unrolled: 1-line block ×6, first 2 shown]
	v_cmp_gt_i16_e64 s[8:9], 0, v41
	v_sub_u32_e32 v41, 0, v33
	v_cmp_eq_u16_e64 s[10:11], 0, v35
	v_sub_u32_e32 v79, 0, v31
	v_cmp_eq_u16_e64 s[62:63], 0, v39
	v_mul_i32_i24_sdwa v44, v7, sext(v21) dst_sel:DWORD dst_unused:UNUSED_PAD src0_sel:BYTE_0 src1_sel:BYTE_0
	v_mul_i32_i24_sdwa v46, v7, sext(v21) dst_sel:DWORD dst_unused:UNUSED_PAD src0_sel:BYTE_1 src1_sel:BYTE_1
	s_waitcnt vmcnt(0)
	v_and_b32_e32 v75, 8, v42
	v_sub_u32_e32 v35, 0, v36
	v_cmp_eq_u16_e64 s[12:13], 0, v43
	v_sub_u32_e32 v43, 0, v6
	v_cmp_eq_u16_e64 s[14:15], 0, v20
	v_cndmask_b32_e64 v31, v79, v31, s[62:63]
	v_cndmask_b32_e64 v33, v41, v33, s[10:11]
	v_mul_i32_i24_sdwa v48, v7, sext(v21) dst_sel:DWORD dst_unused:UNUSED_PAD src0_sel:BYTE_2 src1_sel:BYTE_2
	v_mul_i32_i24_sdwa v7, v7, sext(v21) dst_sel:DWORD dst_unused:UNUSED_PAD src0_sel:BYTE_3 src1_sel:BYTE_3
	v_and_b32_e32 v72, 1, v42
	v_and_b32_e32 v73, 2, v42
	;; [unrolled: 1-line block ×3, first 2 shown]
	v_sub_u32_e32 v20, 0, v44
	v_cmp_eq_u16_e64 s[16:17], 0, v45
	v_sub_u32_e32 v45, 0, v46
	v_cmp_eq_u16_e64 s[18:19], 0, v47
	v_cmp_eq_u16_e64 s[52:53], 0, v75
	v_and_b32_e32 v75, 16, v42
	v_cmp_gt_i16_e64 s[56:57], 0, v42
	v_and_b32_e32 v42, 32, v42
	v_cndmask_b32_e64 v35, v35, v36, s[12:13]
	v_cndmask_b32_e64 v6, v43, v6, s[14:15]
	v_add_u32_e32 v31, v33, v31
	v_mul_i32_i24_sdwa v21, v14, sext(v22) dst_sel:DWORD dst_unused:UNUSED_PAD src0_sel:BYTE_0 src1_sel:BYTE_0
	v_mul_i32_i24_sdwa v49, v14, sext(v22) dst_sel:DWORD dst_unused:UNUSED_PAD src0_sel:BYTE_1 src1_sel:BYTE_1
	v_mul_i32_i24_sdwa v50, v14, sext(v22) dst_sel:DWORD dst_unused:UNUSED_PAD src0_sel:BYTE_2 src1_sel:BYTE_2
	v_mul_i32_i24_sdwa v14, v14, sext(v22) dst_sel:DWORD dst_unused:UNUSED_PAD src0_sel:BYTE_3 src1_sel:BYTE_3
	v_mul_i32_i24_sdwa v22, v15, sext(v23) dst_sel:DWORD dst_unused:UNUSED_PAD src0_sel:BYTE_0 src1_sel:BYTE_0
	v_mul_i32_i24_sdwa v51, v15, sext(v23) dst_sel:DWORD dst_unused:UNUSED_PAD src0_sel:BYTE_1 src1_sel:BYTE_1
	v_mul_i32_i24_sdwa v52, v15, sext(v23) dst_sel:DWORD dst_unused:UNUSED_PAD src0_sel:BYTE_2 src1_sel:BYTE_2
	v_mul_i32_i24_sdwa v15, v15, sext(v23) dst_sel:DWORD dst_unused:UNUSED_PAD src0_sel:BYTE_3 src1_sel:BYTE_3
	;; [unrolled: 4-line block ×6, first 2 shown]
	v_and_b32_e32 v27, 1, v40
	v_and_b32_e32 v61, 2, v40
	v_sub_u32_e32 v76, 0, v48
	v_cmp_eq_u16_e64 s[58:59], 0, v42
	v_sub_u32_e32 v42, 0, v7
	v_cndmask_b32_e64 v20, v20, v44, s[16:17]
	v_cndmask_b32_e64 v36, v45, v46, s[18:19]
	v_add3_u32 v6, v31, v35, v6
	v_and_b32_e32 v62, 4, v40
	v_and_b32_e32 v63, 8, v40
	v_sub_u32_e32 v47, 0, v21
	v_cmp_eq_u16_e64 s[20:21], 0, v27
	v_sub_u32_e32 v27, 0, v49
	v_cmp_eq_u16_e64 s[22:23], 0, v61
	v_cndmask_b32_e32 v39, v76, v48, vcc
	v_cndmask_b32_e64 v7, v7, v42, s[60:61]
	v_add3_u32 v6, v6, v20, v36
	v_and_b32_e32 v64, 16, v40
	v_and_b32_e32 v65, 32, v40
	v_sub_u32_e32 v61, 0, v50
	v_cmp_eq_u16_e64 s[24:25], 0, v62
	v_sub_u32_e32 v62, 0, v14
	v_cmp_eq_u16_e64 s[26:27], 0, v63
	v_cndmask_b32_e64 v21, v47, v21, s[20:21]
	v_cndmask_b32_e64 v27, v27, v49, s[22:23]
	v_add3_u32 v6, v6, v39, v7
	v_sub_u32_e32 v63, 0, v22
	v_cmp_eq_u16_e64 s[28:29], 0, v64
	v_sub_u32_e32 v64, 0, v51
	v_cmp_eq_u16_e64 s[30:31], 0, v65
	v_cndmask_b32_e64 v41, v61, v50, s[24:25]
	v_cndmask_b32_e64 v14, v62, v14, s[26:27]
	v_add3_u32 v6, v6, v21, v27
	v_sub_u32_e32 v32, 0, v52
	v_sub_u32_e32 v38, 0, v15
	v_cmp_gt_i16_e64 s[6:7], 0, v40
	v_cndmask_b32_e64 v22, v63, v22, s[28:29]
	v_cndmask_b32_e64 v42, v64, v51, s[30:31]
	v_add3_u32 v6, v6, v41, v14
	v_sub_u32_e32 v65, 0, v23
	v_cmp_eq_u16_e64 s[34:35], 0, v66
	v_sub_u32_e32 v66, 0, v53
	v_cmp_eq_u16_e64 s[36:37], 0, v67
	v_cndmask_b32_e64 v32, v32, v52, s[0:1]
	v_cndmask_b32_e64 v15, v15, v38, s[6:7]
	v_add3_u32 v6, v6, v22, v42
	v_sub_u32_e32 v67, 0, v54
	v_cmp_eq_u16_e64 s[38:39], 0, v68
	v_sub_u32_e32 v68, 0, v16
	v_cmp_eq_u16_e64 s[40:41], 0, v69
	;; [unrolled: 7-line block ×3, first 2 shown]
	v_cndmask_b32_e64 v43, v67, v54, s[38:39]
	v_cndmask_b32_e64 v16, v68, v16, s[40:41]
	v_add3_u32 v6, v6, v23, v38
	v_sub_u32_e32 v34, 0, v56
	v_sub_u32_e32 v40, 0, v17
	v_cndmask_b32_e64 v24, v69, v24, s[42:43]
	v_cndmask_b32_e64 v44, v70, v55, s[44:45]
	v_add3_u32 v6, v6, v43, v16
	v_sub_u32_e32 v71, 0, v25
	v_cmp_eq_u16_e64 s[46:47], 0, v72
	v_sub_u32_e32 v72, 0, v57
	v_cmp_eq_u16_e64 s[48:49], 0, v73
	v_cndmask_b32_e64 v34, v34, v56, s[2:3]
	v_cndmask_b32_e64 v17, v17, v40, s[8:9]
	v_add3_u32 v6, v6, v24, v44
	v_sub_u32_e32 v73, 0, v58
	v_cmp_eq_u16_e64 s[50:51], 0, v74
	v_sub_u32_e32 v74, 0, v18
	v_cndmask_b32_e64 v25, v71, v25, s[46:47]
	v_cndmask_b32_e64 v40, v72, v57, s[48:49]
	v_add3_u32 v6, v6, v34, v17
	v_sub_u32_e32 v77, 0, v26
	v_cmp_eq_u16_e64 s[54:55], 0, v75
	v_sub_u32_e32 v78, 0, v59
	v_cndmask_b32_e64 v45, v73, v58, s[50:51]
	v_cndmask_b32_e64 v18, v74, v18, s[52:53]
	v_add3_u32 v6, v6, v25, v40
	v_sub_u32_e32 v37, 0, v60
	v_sub_u32_e32 v75, 0, v19
	v_cndmask_b32_e64 v26, v77, v26, s[54:55]
	v_cndmask_b32_e64 v46, v78, v59, s[58:59]
	v_add3_u32 v6, v6, v45, v18
	v_cndmask_b32_e64 v37, v37, v60, s[4:5]
	v_cndmask_b32_e64 v19, v19, v75, s[56:57]
	v_add3_u32 v6, v6, v26, v46
	v_add3_u32 v6, v6, v37, v19
	v_cvt_f32_i32_e32 v6, v6
	v_mul_f32_e32 v7, v30, v29
	v_mul_f32_e32 v7, v7, v28
	v_cmp_le_u32_e64 s[10:11], s33, v10
	v_mul_f32_e32 v7, 0x3e800000, v7
	s_or_b64 s[64:65], s[10:11], s[64:65]
	v_fmac_f32_e32 v11, v7, v6
	s_andn2_b64 exec, exec, s[64:65]
	s_cbranch_execnz .LBB285_3
; %bb.4:
	s_or_b64 exec, exec, s[64:65]
.LBB285_5:
	s_or_b64 exec, exec, s[72:73]
	v_mbcnt_lo_u32_b32 v0, -1, 0
	v_mbcnt_hi_u32_b32 v1, -1, v0
	v_and_b32_e32 v0, 64, v1
	v_add_u32_e32 v2, 64, v0
	v_xor_b32_e32 v0, 32, v1
	v_cmp_lt_i32_e32 vcc, v0, v2
	v_xor_b32_e32 v3, 16, v1
	v_xor_b32_e32 v4, 8, v1
	v_cndmask_b32_e32 v0, v1, v0, vcc
	v_lshlrev_b32_e32 v0, 2, v0
	ds_bpermute_b32 v0, v0, v11
	v_cmp_lt_i32_e32 vcc, v3, v2
	s_waitcnt lgkmcnt(0)
	v_add_f32_e32 v0, v11, v0
	v_cndmask_b32_e32 v3, v1, v3, vcc
	v_lshlrev_b32_e32 v3, 2, v3
	ds_bpermute_b32 v3, v3, v0
	v_cmp_lt_i32_e32 vcc, v4, v2
	s_waitcnt lgkmcnt(0)
	v_add_f32_e32 v0, v0, v3
	v_cndmask_b32_e32 v3, v1, v4, vcc
	v_lshlrev_b32_e32 v3, 2, v3
	ds_bpermute_b32 v3, v3, v0
	v_xor_b32_e32 v4, 4, v1
	v_cmp_lt_i32_e32 vcc, v4, v2
	s_waitcnt lgkmcnt(0)
	v_add_f32_e32 v0, v0, v3
	v_cndmask_b32_e32 v3, v1, v4, vcc
	v_lshlrev_b32_e32 v3, 2, v3
	ds_bpermute_b32 v3, v3, v0
	v_xor_b32_e32 v4, 2, v1
	;; [unrolled: 7-line block ×3, first 2 shown]
	v_cmp_lt_i32_e32 vcc, v4, v2
	s_waitcnt lgkmcnt(0)
	v_add_f32_e32 v0, v0, v3
	v_cndmask_b32_e32 v1, v1, v4, vcc
	v_lshlrev_b32_e32 v1, 2, v1
	ds_bpermute_b32 v1, v1, v0
	v_cmp_eq_u32_e32 vcc, 0, v9
	s_and_b64 exec, exec, vcc
	s_cbranch_execz .LBB285_7
; %bb.6:
	s_waitcnt lgkmcnt(0)
	v_add_f32_e32 v0, v0, v1
	v_bfe_u32 v1, v0, 16, 1
	s_movk_i32 s0, 0x7fff
	v_add3_u32 v1, v0, v1, s0
	v_cmp_o_f32_e32 vcc, v0, v0
	v_mov_b32_e32 v0, 0x7fc0
	s_mul_i32 s0, s66, s68
	v_cndmask_b32_sdwa v2, v0, v1, vcc dst_sel:DWORD dst_unused:UNUSED_PAD src0_sel:DWORD src1_sel:WORD_1
	v_add_u32_e32 v0, s0, v8
	v_mov_b32_e32 v1, 0
	v_lshl_add_u64 v[0:1], v[0:1], 1, s[70:71]
	global_store_short v[0:1], v2, off
.LBB285_7:
	s_endpgm
	.section	.rodata,"a",@progbits
	.p2align	6, 0x0
	.amdhsa_kernel _ZL9moe_vec_qIN3c108BFloat16ELi256ELi8E13block_iq2_xxsLi1EXadL_ZL20vec_dot_iq2_xxs_q8_1PKvPK10block_q8_1RKiEEEvS4_S4_PT_PS8_iiii
		.amdhsa_group_segment_fixed_size 0
		.amdhsa_private_segment_fixed_size 0
		.amdhsa_kernarg_size 304
		.amdhsa_user_sgpr_count 2
		.amdhsa_user_sgpr_dispatch_ptr 0
		.amdhsa_user_sgpr_queue_ptr 0
		.amdhsa_user_sgpr_kernarg_segment_ptr 1
		.amdhsa_user_sgpr_dispatch_id 0
		.amdhsa_user_sgpr_kernarg_preload_length 0
		.amdhsa_user_sgpr_kernarg_preload_offset 0
		.amdhsa_user_sgpr_private_segment_size 0
		.amdhsa_uses_dynamic_stack 0
		.amdhsa_enable_private_segment 0
		.amdhsa_system_sgpr_workgroup_id_x 1
		.amdhsa_system_sgpr_workgroup_id_y 0
		.amdhsa_system_sgpr_workgroup_id_z 1
		.amdhsa_system_sgpr_workgroup_info 0
		.amdhsa_system_vgpr_workitem_id 1
		.amdhsa_next_free_vgpr 80
		.amdhsa_next_free_sgpr 75
		.amdhsa_accum_offset 80
		.amdhsa_reserve_vcc 1
		.amdhsa_float_round_mode_32 0
		.amdhsa_float_round_mode_16_64 0
		.amdhsa_float_denorm_mode_32 3
		.amdhsa_float_denorm_mode_16_64 3
		.amdhsa_dx10_clamp 1
		.amdhsa_ieee_mode 1
		.amdhsa_fp16_overflow 0
		.amdhsa_tg_split 0
		.amdhsa_exception_fp_ieee_invalid_op 0
		.amdhsa_exception_fp_denorm_src 0
		.amdhsa_exception_fp_ieee_div_zero 0
		.amdhsa_exception_fp_ieee_overflow 0
		.amdhsa_exception_fp_ieee_underflow 0
		.amdhsa_exception_fp_ieee_inexact 0
		.amdhsa_exception_int_div_zero 0
	.end_amdhsa_kernel
	.section	.text._ZL9moe_vec_qIN3c108BFloat16ELi256ELi8E13block_iq2_xxsLi1EXadL_ZL20vec_dot_iq2_xxs_q8_1PKvPK10block_q8_1RKiEEEvS4_S4_PT_PS8_iiii,"axG",@progbits,_ZL9moe_vec_qIN3c108BFloat16ELi256ELi8E13block_iq2_xxsLi1EXadL_ZL20vec_dot_iq2_xxs_q8_1PKvPK10block_q8_1RKiEEEvS4_S4_PT_PS8_iiii,comdat
.Lfunc_end285:
	.size	_ZL9moe_vec_qIN3c108BFloat16ELi256ELi8E13block_iq2_xxsLi1EXadL_ZL20vec_dot_iq2_xxs_q8_1PKvPK10block_q8_1RKiEEEvS4_S4_PT_PS8_iiii, .Lfunc_end285-_ZL9moe_vec_qIN3c108BFloat16ELi256ELi8E13block_iq2_xxsLi1EXadL_ZL20vec_dot_iq2_xxs_q8_1PKvPK10block_q8_1RKiEEEvS4_S4_PT_PS8_iiii
                                        ; -- End function
	.set _ZL9moe_vec_qIN3c108BFloat16ELi256ELi8E13block_iq2_xxsLi1EXadL_ZL20vec_dot_iq2_xxs_q8_1PKvPK10block_q8_1RKiEEEvS4_S4_PT_PS8_iiii.num_vgpr, 80
	.set _ZL9moe_vec_qIN3c108BFloat16ELi256ELi8E13block_iq2_xxsLi1EXadL_ZL20vec_dot_iq2_xxs_q8_1PKvPK10block_q8_1RKiEEEvS4_S4_PT_PS8_iiii.num_agpr, 0
	.set _ZL9moe_vec_qIN3c108BFloat16ELi256ELi8E13block_iq2_xxsLi1EXadL_ZL20vec_dot_iq2_xxs_q8_1PKvPK10block_q8_1RKiEEEvS4_S4_PT_PS8_iiii.numbered_sgpr, 75
	.set _ZL9moe_vec_qIN3c108BFloat16ELi256ELi8E13block_iq2_xxsLi1EXadL_ZL20vec_dot_iq2_xxs_q8_1PKvPK10block_q8_1RKiEEEvS4_S4_PT_PS8_iiii.num_named_barrier, 0
	.set _ZL9moe_vec_qIN3c108BFloat16ELi256ELi8E13block_iq2_xxsLi1EXadL_ZL20vec_dot_iq2_xxs_q8_1PKvPK10block_q8_1RKiEEEvS4_S4_PT_PS8_iiii.private_seg_size, 0
	.set _ZL9moe_vec_qIN3c108BFloat16ELi256ELi8E13block_iq2_xxsLi1EXadL_ZL20vec_dot_iq2_xxs_q8_1PKvPK10block_q8_1RKiEEEvS4_S4_PT_PS8_iiii.uses_vcc, 1
	.set _ZL9moe_vec_qIN3c108BFloat16ELi256ELi8E13block_iq2_xxsLi1EXadL_ZL20vec_dot_iq2_xxs_q8_1PKvPK10block_q8_1RKiEEEvS4_S4_PT_PS8_iiii.uses_flat_scratch, 0
	.set _ZL9moe_vec_qIN3c108BFloat16ELi256ELi8E13block_iq2_xxsLi1EXadL_ZL20vec_dot_iq2_xxs_q8_1PKvPK10block_q8_1RKiEEEvS4_S4_PT_PS8_iiii.has_dyn_sized_stack, 0
	.set _ZL9moe_vec_qIN3c108BFloat16ELi256ELi8E13block_iq2_xxsLi1EXadL_ZL20vec_dot_iq2_xxs_q8_1PKvPK10block_q8_1RKiEEEvS4_S4_PT_PS8_iiii.has_recursion, 0
	.set _ZL9moe_vec_qIN3c108BFloat16ELi256ELi8E13block_iq2_xxsLi1EXadL_ZL20vec_dot_iq2_xxs_q8_1PKvPK10block_q8_1RKiEEEvS4_S4_PT_PS8_iiii.has_indirect_call, 0
	.section	.AMDGPU.csdata,"",@progbits
; Kernel info:
; codeLenInByte = 2112
; TotalNumSgprs: 81
; NumVgprs: 80
; NumAgprs: 0
; TotalNumVgprs: 80
; ScratchSize: 0
; MemoryBound: 0
; FloatMode: 240
; IeeeMode: 1
; LDSByteSize: 0 bytes/workgroup (compile time only)
; SGPRBlocks: 10
; VGPRBlocks: 9
; NumSGPRsForWavesPerEU: 81
; NumVGPRsForWavesPerEU: 80
; AccumOffset: 80
; Occupancy: 6
; WaveLimiterHint : 1
; COMPUTE_PGM_RSRC2:SCRATCH_EN: 0
; COMPUTE_PGM_RSRC2:USER_SGPR: 2
; COMPUTE_PGM_RSRC2:TRAP_HANDLER: 0
; COMPUTE_PGM_RSRC2:TGID_X_EN: 1
; COMPUTE_PGM_RSRC2:TGID_Y_EN: 0
; COMPUTE_PGM_RSRC2:TGID_Z_EN: 1
; COMPUTE_PGM_RSRC2:TIDIG_COMP_CNT: 1
; COMPUTE_PGM_RSRC3_GFX90A:ACCUM_OFFSET: 19
; COMPUTE_PGM_RSRC3_GFX90A:TG_SPLIT: 0
	.section	.text._ZL9moe_vec_qIN3c108BFloat16ELi256ELi8E12block_iq2_xsLi1EXadL_ZL19vec_dot_iq2_xs_q8_1PKvPK10block_q8_1RKiEEEvS4_S4_PT_PS8_iiii,"axG",@progbits,_ZL9moe_vec_qIN3c108BFloat16ELi256ELi8E12block_iq2_xsLi1EXadL_ZL19vec_dot_iq2_xs_q8_1PKvPK10block_q8_1RKiEEEvS4_S4_PT_PS8_iiii,comdat
	.globl	_ZL9moe_vec_qIN3c108BFloat16ELi256ELi8E12block_iq2_xsLi1EXadL_ZL19vec_dot_iq2_xs_q8_1PKvPK10block_q8_1RKiEEEvS4_S4_PT_PS8_iiii ; -- Begin function _ZL9moe_vec_qIN3c108BFloat16ELi256ELi8E12block_iq2_xsLi1EXadL_ZL19vec_dot_iq2_xs_q8_1PKvPK10block_q8_1RKiEEEvS4_S4_PT_PS8_iiii
	.p2align	8
	.type	_ZL9moe_vec_qIN3c108BFloat16ELi256ELi8E12block_iq2_xsLi1EXadL_ZL19vec_dot_iq2_xs_q8_1PKvPK10block_q8_1RKiEEEvS4_S4_PT_PS8_iiii,@function
_ZL9moe_vec_qIN3c108BFloat16ELi256ELi8E12block_iq2_xsLi1EXadL_ZL19vec_dot_iq2_xs_q8_1PKvPK10block_q8_1RKiEEEvS4_S4_PT_PS8_iiii: ; @_ZL9moe_vec_qIN3c108BFloat16ELi256ELi8E12block_iq2_xsLi1EXadL_ZL19vec_dot_iq2_xs_q8_1PKvPK10block_q8_1RKiEEEvS4_S4_PT_PS8_iiii
; %bb.0:
	s_mov_b32 s68, s3
	s_load_dword s3, s[0:1], 0x3c
	s_load_dwordx4 s[64:67], s[0:1], 0x20
	v_bfe_u32 v1, v0, 10, 10
	s_waitcnt lgkmcnt(0)
	s_lshr_b32 s3, s3, 16
	s_mul_i32 s2, s2, s3
	v_add_u32_e32 v18, s2, v1
	v_cmp_gt_u32_e32 vcc, s66, v18
	s_and_saveexec_b64 s[2:3], vcc
	s_cbranch_execz .LBB286_7
; %bb.1:
	s_load_dwordx2 s[70:71], s[0:1], 0x10
	s_ashr_i32 s2, s65, 31
	s_lshr_b32 s2, s2, 24
	s_add_i32 s2, s65, s2
	s_ashr_i32 s33, s2, 8
	v_bfe_u32 v20, v0, 3, 7
	v_and_b32_e32 v19, 0x3ff, v0
	v_cmp_gt_u32_e32 vcc, s33, v20
	v_mov_b32_e32 v21, 0
	s_and_saveexec_b64 s[72:73], vcc
	s_cbranch_execz .LBB286_5
; %bb.2:
	s_load_dwordx2 s[2:3], s[0:1], 0x18
	v_cvt_f32_u32_e32 v0, s64
	s_mov_b32 s69, 0
	s_lshl_b64 s[4:5], s[68:69], 2
	v_and_b32_e32 v8, 7, v19
	s_waitcnt lgkmcnt(0)
	s_add_u32 s2, s2, s4
	v_rcp_iflag_f32_e32 v0, v0
	s_addc_u32 s3, s3, s5
	s_load_dword s8, s[2:3], 0x0
	s_load_dwordx4 s[4:7], s[0:1], 0x0
	s_mul_i32 s0, s33, s66
	v_mul_f32_e32 v0, 0x4f7ffffe, v0
	v_cvt_u32_f32_e32 v0, v0
	s_waitcnt lgkmcnt(0)
	s_mul_i32 s0, s0, s8
	s_mul_hi_i32 s1, s0, 0x4a
	s_mulk_i32 s0, 0x4a
	s_add_u32 s0, s4, s0
	s_addc_u32 s1, s5, s1
	s_sub_i32 s2, 0, s64
	v_readfirstlane_b32 s3, v0
	s_mul_i32 s2, s2, s3
	s_mul_hi_u32 s2, s3, s2
	s_add_i32 s3, s3, s2
	s_mul_hi_u32 s2, s68, s3
	s_mul_i32 s3, s2, s64
	s_sub_i32 s3, s68, s3
	s_add_i32 s4, s2, 1
	s_sub_i32 s5, s3, s64
	s_cmp_ge_u32 s3, s64
	s_cselect_b32 s2, s4, s2
	s_cselect_b32 s3, s5, s3
	s_add_i32 s4, s2, 1
	s_cmp_ge_u32 s3, s64
	s_cselect_b32 s2, s4, s2
	s_mul_i32 s2, s2, s67
	s_mov_b32 s3, s69
	s_lshl_b64 s[2:3], s[2:3], 2
	s_add_u32 s2, s6, s2
	s_addc_u32 s3, s7, s3
	v_lshlrev_b32_e32 v0, 2, v8
	v_mov_b32_e32 v9, 0
	s_movk_i32 s74, 0x4a
	v_mul_lo_u32 v22, v18, s33
	v_mad_u64_u32 v[10:11], s[2:3], v8, 36, s[2:3]
	v_lshlrev_b32_e32 v23, 3, v20
	s_mov_b64 s[64:65], 0
	v_mov_b64_e32 v[12:13], s[0:1]
	v_lshlrev_b32_e32 v14, 1, v0
	v_mov_b32_e32 v15, v9
	v_mov_b32_e32 v21, v9
.LBB286_3:                              ; =>This Inner Loop Header: Depth=1
	v_add_u32_e32 v0, v22, v20
	v_mad_i64_i32 v[16:17], s[0:1], v23, 36, v[10:11]
	v_mad_i64_i32 v[28:29], s[4:5], v0, s74, v[12:13]
	global_load_dwordx4 v[0:3], v[16:17], off offset:20
	global_load_dwordx4 v[4:7], v[16:17], off offset:4
	global_load_ushort v24, v[16:17], off
	v_lshl_add_u64 v[30:31], v[28:29], 0, v[14:15]
	v_lshl_add_u64 v[32:33], v[28:29], 0, v[8:9]
	global_load_ushort v26, v[28:29], off
	global_load_dwordx2 v[16:17], v[30:31], off offset:2
	global_load_ubyte v25, v[32:33], off offset:66
	s_getpc_b64 s[0:1]
	s_add_u32 s0, s0, _ZL10iq2xs_grid@rel32@lo+4
	s_addc_u32 s1, s1, _ZL10iq2xs_grid@rel32@hi+12
	s_getpc_b64 s[2:3]
	s_add_u32 s2, s2, _ZL12ksigns_iq2xs@rel32@lo+4
	s_addc_u32 s3, s3, _ZL12ksigns_iq2xs@rel32@hi+12
	v_add_u32_e32 v20, 8, v20
	v_add_u32_e32 v23, 64, v23
	s_waitcnt vmcnt(3)
	v_cvt_f32_f16_e32 v24, v24
	s_waitcnt vmcnt(2)
	v_cvt_f32_f16_e32 v26, v26
	s_waitcnt vmcnt(1)
	v_bfe_u32 v28, v16, 9, 7
	v_and_b32_e32 v27, 0x1ff, v16
	v_lshrrev_b32_e32 v29, 13, v16
	v_lshrrev_b32_e32 v30, 25, v16
	v_and_b32_e32 v31, 0x1ff, v17
	v_bfe_u32 v32, v17, 9, 7
	v_lshrrev_b32_e32 v33, 13, v17
	v_lshrrev_b32_e32 v36, 25, v17
	global_load_sbyte v37, v28, s[2:3]
	global_load_sbyte v38, v30, s[2:3]
	;; [unrolled: 1-line block ×3, first 2 shown]
	v_lshlrev_b32_e32 v27, 3, v27
	v_and_b32_e32 v40, 0xff8, v29
	v_lshlrev_b32_e32 v41, 3, v31
	v_and_b32_e32 v42, 0xff8, v33
	global_load_sbyte v43, v36, s[2:3]
	global_load_dwordx2 v[28:29], v27, s[0:1]
	global_load_dwordx2 v[30:31], v40, s[0:1]
	global_load_dwordx2 v[32:33], v41, s[0:1]
	global_load_dwordx2 v[34:35], v42, s[0:1]
	v_cmp_gt_i16_e64 s[0:1], 0, v17
	v_cmp_lt_i16_sdwa vcc, v17, v9 src0_sel:WORD_1 src1_sel:DWORD
	v_cmp_gt_i16_e64 s[4:5], 0, v16
	v_cmp_lt_i16_sdwa s[2:3], v16, v9 src0_sel:WORD_1 src1_sel:DWORD
	s_waitcnt vmcnt(7)
	v_and_b32_e32 v27, 2, v37
	s_waitcnt vmcnt(6)
	v_and_b32_e32 v46, 4, v38
	v_and_b32_e32 v47, 8, v38
	v_and_b32_e32 v49, 32, v38
	s_waitcnt vmcnt(5)
	v_and_b32_e32 v50, 1, v39
	v_and_b32_e32 v51, 2, v39
	s_waitcnt vmcnt(3)
	v_mul_i32_i24_sdwa v57, v28, sext(v4) dst_sel:DWORD dst_unused:UNUSED_PAD src0_sel:BYTE_0 src1_sel:BYTE_0
	v_mul_i32_i24_sdwa v58, v28, sext(v4) dst_sel:DWORD dst_unused:UNUSED_PAD src0_sel:BYTE_1 src1_sel:BYTE_1
	v_mul_i32_i24_sdwa v59, v28, sext(v4) dst_sel:DWORD dst_unused:UNUSED_PAD src0_sel:BYTE_2 src1_sel:BYTE_2
	v_mul_i32_i24_sdwa v4, v28, sext(v4) dst_sel:DWORD dst_unused:UNUSED_PAD src0_sel:BYTE_3 src1_sel:BYTE_3
	v_mul_i32_i24_sdwa v28, v29, sext(v5) dst_sel:DWORD dst_unused:UNUSED_PAD src0_sel:BYTE_0 src1_sel:BYTE_0
	v_mul_i32_i24_sdwa v60, v29, sext(v5) dst_sel:DWORD dst_unused:UNUSED_PAD src0_sel:BYTE_1 src1_sel:BYTE_1
	v_mul_i32_i24_sdwa v61, v29, sext(v5) dst_sel:DWORD dst_unused:UNUSED_PAD src0_sel:BYTE_2 src1_sel:BYTE_2
	v_mul_i32_i24_sdwa v5, v29, sext(v5) dst_sel:DWORD dst_unused:UNUSED_PAD src0_sel:BYTE_3 src1_sel:BYTE_3
	s_waitcnt vmcnt(2)
	v_mul_i32_i24_sdwa v29, v30, sext(v6) dst_sel:DWORD dst_unused:UNUSED_PAD src0_sel:BYTE_0 src1_sel:BYTE_0
	v_mul_i32_i24_sdwa v62, v30, sext(v6) dst_sel:DWORD dst_unused:UNUSED_PAD src0_sel:BYTE_1 src1_sel:BYTE_1
	v_mul_i32_i24_sdwa v63, v30, sext(v6) dst_sel:DWORD dst_unused:UNUSED_PAD src0_sel:BYTE_2 src1_sel:BYTE_2
	v_mul_i32_i24_sdwa v6, v30, sext(v6) dst_sel:DWORD dst_unused:UNUSED_PAD src0_sel:BYTE_3 src1_sel:BYTE_3
	v_mul_i32_i24_sdwa v30, v31, sext(v7) dst_sel:DWORD dst_unused:UNUSED_PAD src0_sel:BYTE_0 src1_sel:BYTE_0
	v_mul_i32_i24_sdwa v64, v31, sext(v7) dst_sel:DWORD dst_unused:UNUSED_PAD src0_sel:BYTE_1 src1_sel:BYTE_1
	v_mul_i32_i24_sdwa v65, v31, sext(v7) dst_sel:DWORD dst_unused:UNUSED_PAD src0_sel:BYTE_2 src1_sel:BYTE_2
	v_mul_i32_i24_sdwa v7, v31, sext(v7) dst_sel:DWORD dst_unused:UNUSED_PAD src0_sel:BYTE_3 src1_sel:BYTE_3
	s_waitcnt vmcnt(1)
	v_mul_i32_i24_sdwa v31, v32, sext(v0) dst_sel:DWORD dst_unused:UNUSED_PAD src0_sel:BYTE_0 src1_sel:BYTE_0
	v_mul_i32_i24_sdwa v66, v32, sext(v0) dst_sel:DWORD dst_unused:UNUSED_PAD src0_sel:BYTE_1 src1_sel:BYTE_1
	v_and_b32_e32 v17, 4, v43
	v_and_b32_e32 v36, 4, v37
	;; [unrolled: 1-line block ×8, first 2 shown]
	v_mul_i32_i24_sdwa v67, v32, sext(v0) dst_sel:DWORD dst_unused:UNUSED_PAD src0_sel:BYTE_2 src1_sel:BYTE_2
	v_mul_i32_i24_sdwa v0, v32, sext(v0) dst_sel:DWORD dst_unused:UNUSED_PAD src0_sel:BYTE_3 src1_sel:BYTE_3
	v_cmp_eq_u16_e64 s[24:25], 0, v46
	v_sub_u32_e32 v46, 0, v6
	v_cmp_eq_u16_e64 s[26:27], 0, v47
	v_cmp_eq_u16_e64 s[30:31], 0, v49
	v_sub_u32_e32 v49, 0, v31
	v_cmp_eq_u16_e64 s[34:35], 0, v50
	v_sub_u32_e32 v50, 0, v66
	v_cmp_eq_u16_e64 s[36:37], 0, v51
	v_cmp_eq_u16_e64 s[50:51], 0, v17
	v_and_b32_e32 v17, 8, v43
	v_cmp_gt_i16_e64 s[60:61], 0, v37
	v_and_b32_e32 v37, 1, v37
	v_and_b32_e32 v44, 1, v38
	;; [unrolled: 1-line block ×5, first 2 shown]
	v_mul_i32_i24_sdwa v32, v33, sext(v1) dst_sel:DWORD dst_unused:UNUSED_PAD src0_sel:BYTE_0 src1_sel:BYTE_0
	v_mul_i32_i24_sdwa v68, v33, sext(v1) dst_sel:DWORD dst_unused:UNUSED_PAD src0_sel:BYTE_1 src1_sel:BYTE_1
	v_mul_i32_i24_sdwa v69, v33, sext(v1) dst_sel:DWORD dst_unused:UNUSED_PAD src0_sel:BYTE_2 src1_sel:BYTE_2
	v_mul_i32_i24_sdwa v1, v33, sext(v1) dst_sel:DWORD dst_unused:UNUSED_PAD src0_sel:BYTE_3 src1_sel:BYTE_3
	s_waitcnt vmcnt(0)
	v_mul_i32_i24_sdwa v33, v34, sext(v2) dst_sel:DWORD dst_unused:UNUSED_PAD src0_sel:BYTE_0 src1_sel:BYTE_0
	v_mul_i32_i24_sdwa v70, v34, sext(v2) dst_sel:DWORD dst_unused:UNUSED_PAD src0_sel:BYTE_1 src1_sel:BYTE_1
	v_mul_i32_i24_sdwa v71, v34, sext(v2) dst_sel:DWORD dst_unused:UNUSED_PAD src0_sel:BYTE_2 src1_sel:BYTE_2
	v_mul_i32_i24_sdwa v2, v34, sext(v2) dst_sel:DWORD dst_unused:UNUSED_PAD src0_sel:BYTE_3 src1_sel:BYTE_3
	v_mul_i32_i24_sdwa v34, v35, sext(v3) dst_sel:DWORD dst_unused:UNUSED_PAD src0_sel:BYTE_0 src1_sel:BYTE_0
	v_mul_i32_i24_sdwa v72, v35, sext(v3) dst_sel:DWORD dst_unused:UNUSED_PAD src0_sel:BYTE_1 src1_sel:BYTE_1
	v_mul_i32_i24_sdwa v73, v35, sext(v3) dst_sel:DWORD dst_unused:UNUSED_PAD src0_sel:BYTE_2 src1_sel:BYTE_2
	v_mul_i32_i24_sdwa v3, v35, sext(v3) dst_sel:DWORD dst_unused:UNUSED_PAD src0_sel:BYTE_3 src1_sel:BYTE_3
	v_cmp_gt_i16_e64 s[8:9], 0, v39
	v_sub_u32_e32 v39, 0, v58
	v_cmp_eq_u16_e64 s[10:11], 0, v27
	v_sub_u32_e32 v47, 0, v30
	v_cmp_eq_u16_e64 s[28:29], 0, v48
	;; [unrolled: 2-line block ×4, first 2 shown]
	v_cmp_eq_u16_e64 s[52:53], 0, v17
	v_and_b32_e32 v17, 16, v43
	v_sub_u32_e32 v81, 0, v57
	v_cmp_eq_u16_e64 s[62:63], 0, v37
	v_cndmask_b32_e64 v6, v46, v6, s[26:27]
	v_cndmask_b32_e64 v31, v49, v31, s[34:35]
	;; [unrolled: 1-line block ×3, first 2 shown]
	v_sub_u32_e32 v27, 0, v59
	v_cmp_eq_u16_e64 s[12:13], 0, v36
	v_sub_u32_e32 v36, 0, v4
	v_cmp_eq_u16_e64 s[14:15], 0, v40
	v_cmp_eq_u16_e64 s[18:19], 0, v42
	v_sub_u32_e32 v42, 0, v29
	v_cmp_eq_u16_e64 s[20:21], 0, v44
	v_sub_u32_e32 v44, 0, v62
	;; [unrolled: 2-line block ×3, first 2 shown]
	v_sub_u32_e32 v53, 0, v32
	v_cmp_eq_u16_e64 s[42:43], 0, v54
	v_sub_u32_e32 v54, 0, v68
	v_cmp_eq_u16_e64 s[44:45], 0, v55
	v_cmp_eq_u16_e64 s[54:55], 0, v17
	v_sub_u32_e32 v17, 0, v3
	v_cmp_gt_i16_e64 s[56:57], 0, v43
	v_cndmask_b32_e64 v37, v81, v57, s[62:63]
	v_cndmask_b32_e64 v39, v39, v58, s[10:11]
	;; [unrolled: 1-line block ×5, first 2 shown]
	v_add_u32_e32 v31, v46, v31
	v_and_b32_e32 v56, 1, v43
	v_and_b32_e32 v35, 2, v43
	v_sub_u32_e32 v16, 0, v69
	v_cmp_gt_i16_e64 s[6:7], 0, v38
	v_sub_u32_e32 v38, 0, v1
	v_sub_u32_e32 v40, 0, v28
	v_cmp_eq_u16_e64 s[16:17], 0, v41
	v_sub_u32_e32 v41, 0, v60
	v_and_b32_e32 v43, 32, v43
	v_cndmask_b32_e64 v27, v27, v59, s[12:13]
	v_cndmask_b32_e64 v4, v36, v4, s[14:15]
	;; [unrolled: 1-line block ×8, first 2 shown]
	v_add_u32_e32 v17, v39, v37
	v_add3_u32 v0, v31, v47, v0
	v_sub_u32_e32 v74, 0, v61
	v_sub_u32_e32 v55, 0, v33
	v_cmp_eq_u16_e64 s[46:47], 0, v56
	v_sub_u32_e32 v56, 0, v70
	v_cmp_eq_u16_e64 s[48:49], 0, v35
	v_cmp_eq_u16_e64 s[58:59], 0, v43
	v_sub_u32_e32 v43, 0, v5
	v_cndmask_b32_e64 v28, v40, v28, s[16:17]
	v_cndmask_b32_e64 v40, v41, v60, s[18:19]
	;; [unrolled: 1-line block ×4, first 2 shown]
	v_add3_u32 v4, v17, v27, v4
	v_add3_u32 v0, v0, v32, v48
	v_sub_u32_e32 v35, 0, v71
	v_sub_u32_e32 v78, 0, v2
	v_cndmask_b32_e64 v41, v61, v74, s[4:5]
	v_cndmask_b32_e64 v5, v5, v43, s[60:61]
	v_cndmask_b32_e64 v33, v55, v33, s[46:47]
	v_cndmask_b32_e64 v38, v56, v70, s[48:49]
	v_add3_u32 v4, v4, v28, v40
	v_add3_u32 v0, v0, v16, v1
	v_sub_u32_e32 v45, 0, v63
	v_sub_u32_e32 v79, 0, v34
	;; [unrolled: 1-line block ×3, first 2 shown]
	v_cndmask_b32_e64 v35, v35, v71, s[50:51]
	v_cndmask_b32_e64 v2, v78, v2, s[52:53]
	v_add3_u32 v4, v4, v41, v5
	v_add3_u32 v0, v0, v33, v38
	v_sub_u32_e32 v76, 0, v73
	v_cndmask_b32_e64 v43, v45, v63, s[24:25]
	v_cndmask_b32_e64 v34, v79, v34, s[54:55]
	v_cndmask_b32_e64 v49, v80, v72, s[58:59]
	v_add3_u32 v1, v4, v29, v42
	v_add3_u32 v0, v0, v35, v2
	v_sub_u32_e32 v75, 0, v65
	v_sub_u32_e32 v77, 0, v7
	v_cndmask_b32_e32 v50, v73, v76, vcc
	v_add3_u32 v1, v1, v43, v6
	v_add3_u32 v0, v0, v34, v49
	v_cndmask_b32_e64 v45, v65, v75, s[2:3]
	v_cndmask_b32_e64 v7, v7, v77, s[6:7]
	v_add3_u32 v1, v1, v30, v44
	v_add3_u32 v0, v0, v50, v3
	;; [unrolled: 1-line block ×3, first 2 shown]
	v_cvt_f32_i32_e32 v0, v0
	v_lshrrev_b16_e32 v36, 4, v25
	v_cvt_f32_i32_e32 v1, v1
	v_and_b32_e32 v25, 15, v25
	v_cvt_f32_ubyte0_e32 v36, v36
	v_cvt_f32_ubyte0_e32 v25, v25
	v_add_f32_e32 v36, 0.5, v36
	v_add_f32_e32 v25, 0.5, v25
	v_mul_f32_e32 v2, v26, v24
	v_mul_f32_e32 v0, v36, v0
	v_cmp_le_u32_e64 s[10:11], s33, v20
	v_mul_f32_e32 v2, 0x3e800000, v2
	v_fmac_f32_e32 v0, v25, v1
	s_or_b64 s[64:65], s[10:11], s[64:65]
	v_fmac_f32_e32 v21, v2, v0
	s_andn2_b64 exec, exec, s[64:65]
	s_cbranch_execnz .LBB286_3
; %bb.4:
	s_or_b64 exec, exec, s[64:65]
.LBB286_5:
	s_or_b64 exec, exec, s[72:73]
	v_mbcnt_lo_u32_b32 v0, -1, 0
	v_mbcnt_hi_u32_b32 v1, -1, v0
	v_and_b32_e32 v0, 64, v1
	v_add_u32_e32 v2, 64, v0
	v_xor_b32_e32 v0, 32, v1
	v_cmp_lt_i32_e32 vcc, v0, v2
	v_xor_b32_e32 v3, 16, v1
	v_xor_b32_e32 v4, 8, v1
	v_cndmask_b32_e32 v0, v1, v0, vcc
	v_lshlrev_b32_e32 v0, 2, v0
	ds_bpermute_b32 v0, v0, v21
	v_cmp_lt_i32_e32 vcc, v3, v2
	s_waitcnt lgkmcnt(0)
	v_add_f32_e32 v0, v21, v0
	v_cndmask_b32_e32 v3, v1, v3, vcc
	v_lshlrev_b32_e32 v3, 2, v3
	ds_bpermute_b32 v3, v3, v0
	v_cmp_lt_i32_e32 vcc, v4, v2
	s_waitcnt lgkmcnt(0)
	v_add_f32_e32 v0, v0, v3
	v_cndmask_b32_e32 v3, v1, v4, vcc
	v_lshlrev_b32_e32 v3, 2, v3
	ds_bpermute_b32 v3, v3, v0
	v_xor_b32_e32 v4, 4, v1
	v_cmp_lt_i32_e32 vcc, v4, v2
	s_waitcnt lgkmcnt(0)
	v_add_f32_e32 v0, v0, v3
	v_cndmask_b32_e32 v3, v1, v4, vcc
	v_lshlrev_b32_e32 v3, 2, v3
	ds_bpermute_b32 v3, v3, v0
	v_xor_b32_e32 v4, 2, v1
	;; [unrolled: 7-line block ×3, first 2 shown]
	v_cmp_lt_i32_e32 vcc, v4, v2
	s_waitcnt lgkmcnt(0)
	v_add_f32_e32 v0, v0, v3
	v_cndmask_b32_e32 v1, v1, v4, vcc
	v_lshlrev_b32_e32 v1, 2, v1
	ds_bpermute_b32 v1, v1, v0
	v_cmp_eq_u32_e32 vcc, 0, v19
	s_and_b64 exec, exec, vcc
	s_cbranch_execz .LBB286_7
; %bb.6:
	s_waitcnt lgkmcnt(0)
	v_add_f32_e32 v0, v0, v1
	v_bfe_u32 v1, v0, 16, 1
	s_movk_i32 s0, 0x7fff
	v_add3_u32 v1, v0, v1, s0
	v_cmp_o_f32_e32 vcc, v0, v0
	v_mov_b32_e32 v0, 0x7fc0
	s_mul_i32 s0, s66, s68
	v_cndmask_b32_sdwa v2, v0, v1, vcc dst_sel:DWORD dst_unused:UNUSED_PAD src0_sel:DWORD src1_sel:WORD_1
	v_add_u32_e32 v0, s0, v18
	v_mov_b32_e32 v1, 0
	v_lshl_add_u64 v[0:1], v[0:1], 1, s[70:71]
	global_store_short v[0:1], v2, off
.LBB286_7:
	s_endpgm
	.section	.rodata,"a",@progbits
	.p2align	6, 0x0
	.amdhsa_kernel _ZL9moe_vec_qIN3c108BFloat16ELi256ELi8E12block_iq2_xsLi1EXadL_ZL19vec_dot_iq2_xs_q8_1PKvPK10block_q8_1RKiEEEvS4_S4_PT_PS8_iiii
		.amdhsa_group_segment_fixed_size 0
		.amdhsa_private_segment_fixed_size 0
		.amdhsa_kernarg_size 304
		.amdhsa_user_sgpr_count 2
		.amdhsa_user_sgpr_dispatch_ptr 0
		.amdhsa_user_sgpr_queue_ptr 0
		.amdhsa_user_sgpr_kernarg_segment_ptr 1
		.amdhsa_user_sgpr_dispatch_id 0
		.amdhsa_user_sgpr_kernarg_preload_length 0
		.amdhsa_user_sgpr_kernarg_preload_offset 0
		.amdhsa_user_sgpr_private_segment_size 0
		.amdhsa_uses_dynamic_stack 0
		.amdhsa_enable_private_segment 0
		.amdhsa_system_sgpr_workgroup_id_x 1
		.amdhsa_system_sgpr_workgroup_id_y 0
		.amdhsa_system_sgpr_workgroup_id_z 1
		.amdhsa_system_sgpr_workgroup_info 0
		.amdhsa_system_vgpr_workitem_id 1
		.amdhsa_next_free_vgpr 82
		.amdhsa_next_free_sgpr 75
		.amdhsa_accum_offset 84
		.amdhsa_reserve_vcc 1
		.amdhsa_float_round_mode_32 0
		.amdhsa_float_round_mode_16_64 0
		.amdhsa_float_denorm_mode_32 3
		.amdhsa_float_denorm_mode_16_64 3
		.amdhsa_dx10_clamp 1
		.amdhsa_ieee_mode 1
		.amdhsa_fp16_overflow 0
		.amdhsa_tg_split 0
		.amdhsa_exception_fp_ieee_invalid_op 0
		.amdhsa_exception_fp_denorm_src 0
		.amdhsa_exception_fp_ieee_div_zero 0
		.amdhsa_exception_fp_ieee_overflow 0
		.amdhsa_exception_fp_ieee_underflow 0
		.amdhsa_exception_fp_ieee_inexact 0
		.amdhsa_exception_int_div_zero 0
	.end_amdhsa_kernel
	.section	.text._ZL9moe_vec_qIN3c108BFloat16ELi256ELi8E12block_iq2_xsLi1EXadL_ZL19vec_dot_iq2_xs_q8_1PKvPK10block_q8_1RKiEEEvS4_S4_PT_PS8_iiii,"axG",@progbits,_ZL9moe_vec_qIN3c108BFloat16ELi256ELi8E12block_iq2_xsLi1EXadL_ZL19vec_dot_iq2_xs_q8_1PKvPK10block_q8_1RKiEEEvS4_S4_PT_PS8_iiii,comdat
.Lfunc_end286:
	.size	_ZL9moe_vec_qIN3c108BFloat16ELi256ELi8E12block_iq2_xsLi1EXadL_ZL19vec_dot_iq2_xs_q8_1PKvPK10block_q8_1RKiEEEvS4_S4_PT_PS8_iiii, .Lfunc_end286-_ZL9moe_vec_qIN3c108BFloat16ELi256ELi8E12block_iq2_xsLi1EXadL_ZL19vec_dot_iq2_xs_q8_1PKvPK10block_q8_1RKiEEEvS4_S4_PT_PS8_iiii
                                        ; -- End function
	.set _ZL9moe_vec_qIN3c108BFloat16ELi256ELi8E12block_iq2_xsLi1EXadL_ZL19vec_dot_iq2_xs_q8_1PKvPK10block_q8_1RKiEEEvS4_S4_PT_PS8_iiii.num_vgpr, 82
	.set _ZL9moe_vec_qIN3c108BFloat16ELi256ELi8E12block_iq2_xsLi1EXadL_ZL19vec_dot_iq2_xs_q8_1PKvPK10block_q8_1RKiEEEvS4_S4_PT_PS8_iiii.num_agpr, 0
	.set _ZL9moe_vec_qIN3c108BFloat16ELi256ELi8E12block_iq2_xsLi1EXadL_ZL19vec_dot_iq2_xs_q8_1PKvPK10block_q8_1RKiEEEvS4_S4_PT_PS8_iiii.numbered_sgpr, 75
	.set _ZL9moe_vec_qIN3c108BFloat16ELi256ELi8E12block_iq2_xsLi1EXadL_ZL19vec_dot_iq2_xs_q8_1PKvPK10block_q8_1RKiEEEvS4_S4_PT_PS8_iiii.num_named_barrier, 0
	.set _ZL9moe_vec_qIN3c108BFloat16ELi256ELi8E12block_iq2_xsLi1EXadL_ZL19vec_dot_iq2_xs_q8_1PKvPK10block_q8_1RKiEEEvS4_S4_PT_PS8_iiii.private_seg_size, 0
	.set _ZL9moe_vec_qIN3c108BFloat16ELi256ELi8E12block_iq2_xsLi1EXadL_ZL19vec_dot_iq2_xs_q8_1PKvPK10block_q8_1RKiEEEvS4_S4_PT_PS8_iiii.uses_vcc, 1
	.set _ZL9moe_vec_qIN3c108BFloat16ELi256ELi8E12block_iq2_xsLi1EXadL_ZL19vec_dot_iq2_xs_q8_1PKvPK10block_q8_1RKiEEEvS4_S4_PT_PS8_iiii.uses_flat_scratch, 0
	.set _ZL9moe_vec_qIN3c108BFloat16ELi256ELi8E12block_iq2_xsLi1EXadL_ZL19vec_dot_iq2_xs_q8_1PKvPK10block_q8_1RKiEEEvS4_S4_PT_PS8_iiii.has_dyn_sized_stack, 0
	.set _ZL9moe_vec_qIN3c108BFloat16ELi256ELi8E12block_iq2_xsLi1EXadL_ZL19vec_dot_iq2_xs_q8_1PKvPK10block_q8_1RKiEEEvS4_S4_PT_PS8_iiii.has_recursion, 0
	.set _ZL9moe_vec_qIN3c108BFloat16ELi256ELi8E12block_iq2_xsLi1EXadL_ZL19vec_dot_iq2_xs_q8_1PKvPK10block_q8_1RKiEEEvS4_S4_PT_PS8_iiii.has_indirect_call, 0
	.section	.AMDGPU.csdata,"",@progbits
; Kernel info:
; codeLenInByte = 2156
; TotalNumSgprs: 81
; NumVgprs: 82
; NumAgprs: 0
; TotalNumVgprs: 82
; ScratchSize: 0
; MemoryBound: 0
; FloatMode: 240
; IeeeMode: 1
; LDSByteSize: 0 bytes/workgroup (compile time only)
; SGPRBlocks: 10
; VGPRBlocks: 10
; NumSGPRsForWavesPerEU: 81
; NumVGPRsForWavesPerEU: 82
; AccumOffset: 84
; Occupancy: 5
; WaveLimiterHint : 1
; COMPUTE_PGM_RSRC2:SCRATCH_EN: 0
; COMPUTE_PGM_RSRC2:USER_SGPR: 2
; COMPUTE_PGM_RSRC2:TRAP_HANDLER: 0
; COMPUTE_PGM_RSRC2:TGID_X_EN: 1
; COMPUTE_PGM_RSRC2:TGID_Y_EN: 0
; COMPUTE_PGM_RSRC2:TGID_Z_EN: 1
; COMPUTE_PGM_RSRC2:TIDIG_COMP_CNT: 1
; COMPUTE_PGM_RSRC3_GFX90A:ACCUM_OFFSET: 20
; COMPUTE_PGM_RSRC3_GFX90A:TG_SPLIT: 0
	.section	.text._ZL9moe_vec_qIN3c108BFloat16ELi256ELi8E13block_iq3_xxsLi1EXadL_ZL20vec_dot_iq3_xxs_q8_1PKvPK10block_q8_1RKiEEEvS4_S4_PT_PS8_iiii,"axG",@progbits,_ZL9moe_vec_qIN3c108BFloat16ELi256ELi8E13block_iq3_xxsLi1EXadL_ZL20vec_dot_iq3_xxs_q8_1PKvPK10block_q8_1RKiEEEvS4_S4_PT_PS8_iiii,comdat
	.globl	_ZL9moe_vec_qIN3c108BFloat16ELi256ELi8E13block_iq3_xxsLi1EXadL_ZL20vec_dot_iq3_xxs_q8_1PKvPK10block_q8_1RKiEEEvS4_S4_PT_PS8_iiii ; -- Begin function _ZL9moe_vec_qIN3c108BFloat16ELi256ELi8E13block_iq3_xxsLi1EXadL_ZL20vec_dot_iq3_xxs_q8_1PKvPK10block_q8_1RKiEEEvS4_S4_PT_PS8_iiii
	.p2align	8
	.type	_ZL9moe_vec_qIN3c108BFloat16ELi256ELi8E13block_iq3_xxsLi1EXadL_ZL20vec_dot_iq3_xxs_q8_1PKvPK10block_q8_1RKiEEEvS4_S4_PT_PS8_iiii,@function
_ZL9moe_vec_qIN3c108BFloat16ELi256ELi8E13block_iq3_xxsLi1EXadL_ZL20vec_dot_iq3_xxs_q8_1PKvPK10block_q8_1RKiEEEvS4_S4_PT_PS8_iiii: ; @_ZL9moe_vec_qIN3c108BFloat16ELi256ELi8E13block_iq3_xxsLi1EXadL_ZL20vec_dot_iq3_xxs_q8_1PKvPK10block_q8_1RKiEEEvS4_S4_PT_PS8_iiii
; %bb.0:
	s_mov_b32 s8, s3
	s_load_dword s3, s[0:1], 0x3c
	s_load_dwordx4 s[4:7], s[0:1], 0x20
	v_bfe_u32 v1, v0, 10, 10
	s_waitcnt lgkmcnt(0)
	s_lshr_b32 s3, s3, 16
	s_mul_i32 s2, s2, s3
	v_add_u32_e32 v18, s2, v1
	v_cmp_gt_u32_e32 vcc, s6, v18
	s_and_saveexec_b64 s[2:3], vcc
	s_cbranch_execz .LBB287_7
; %bb.1:
	s_load_dwordx2 s[2:3], s[0:1], 0x10
	s_ashr_i32 s9, s5, 31
	s_lshr_b32 s9, s9, 24
	s_add_i32 s5, s5, s9
	s_ashr_i32 s14, s5, 8
	v_bfe_u32 v20, v0, 3, 7
	v_and_b32_e32 v19, 0x3ff, v0
	v_cmp_gt_u32_e32 vcc, s14, v20
	v_mov_b32_e32 v21, 0
	s_and_saveexec_b64 s[10:11], vcc
	s_cbranch_execz .LBB287_5
; %bb.2:
	s_load_dwordx2 s[12:13], s[0:1], 0x18
	v_cvt_f32_u32_e32 v0, s4
	s_mov_b32 s9, 0
	s_lshl_b64 s[16:17], s[8:9], 2
	v_and_b32_e32 v1, 7, v19
	s_waitcnt lgkmcnt(0)
	s_add_u32 s12, s12, s16
	v_rcp_iflag_f32_e32 v0, v0
	s_addc_u32 s13, s13, s17
	s_load_dword s5, s[12:13], 0x0
	s_load_dwordx4 s[16:19], s[0:1], 0x0
	s_mul_i32 s0, s14, s6
	v_mul_f32_e32 v0, 0x4f7ffffe, v0
	v_cvt_u32_f32_e32 v0, v0
	s_waitcnt lgkmcnt(0)
	s_mul_i32 s0, s0, s5
	s_mul_hi_i32 s1, s0, 0x62
	s_mulk_i32 s0, 0x62
	s_add_u32 s12, s16, s0
	s_addc_u32 s13, s17, s1
	s_sub_i32 s0, 0, s4
	v_readfirstlane_b32 s1, v0
	s_mul_i32 s0, s0, s1
	s_mul_hi_u32 s0, s1, s0
	s_add_i32 s1, s1, s0
	s_mul_hi_u32 s0, s8, s1
	s_mul_i32 s1, s0, s4
	s_sub_i32 s1, s8, s1
	s_add_i32 s5, s0, 1
	s_sub_i32 s16, s1, s4
	s_cmp_ge_u32 s1, s4
	s_cselect_b32 s0, s5, s0
	s_cselect_b32 s1, s16, s1
	s_add_i32 s5, s0, 1
	s_cmp_ge_u32 s1, s4
	s_cselect_b32 s0, s5, s0
	s_mul_i32 s0, s0, s7
	s_mov_b32 s1, s9
	s_lshl_b64 s[0:1], s[0:1], 2
	s_add_u32 s0, s18, s0
	s_addc_u32 s1, s19, s1
	v_mov_b32_e32 v9, 0
	v_lshlrev_b32_e32 v0, 1, v1
	v_mad_u64_u32 v[10:11], s[0:1], v1, 36, s[0:1]
	s_movk_i32 s15, 0x62
	v_mul_lo_u32 v22, v18, s14
	v_lshlrev_b32_e32 v8, 3, v1
	v_lshlrev_b32_e32 v23, 3, v20
	s_mov_b64 s[0:1], 0
	v_mov_b64_e32 v[12:13], s[12:13]
	v_lshlrev_b32_e32 v14, 1, v0
	v_mov_b32_e32 v15, v9
	s_mov_b32 s7, 0xc060c00
	v_mov_b32_e32 v24, 2
	v_mov_b32_e32 v21, v9
	s_getpc_b64 s[12:13]
	s_add_u32 s12, s12, _ZL11iq3xxs_grid@rel32@lo+4
	s_addc_u32 s13, s13, _ZL11iq3xxs_grid@rel32@hi+12
.LBB287_3:                              ; =>This Inner Loop Header: Depth=1
	v_add_u32_e32 v0, v22, v20
	v_mad_i64_i32 v[16:17], s[4:5], v23, 36, v[10:11]
	v_mad_i64_i32 v[26:27], s[16:17], v0, s15, v[12:13]
	global_load_dword v32, v[16:17], off offset:32
	global_load_dwordx4 v[4:7], v[16:17], off
	global_load_dwordx4 v[0:3], v[16:17], off offset:16
	v_lshl_add_u64 v[16:17], v[26:27], 0, v[8:9]
	v_lshl_add_u64 v[28:29], v[26:27], 0, v[14:15]
	global_load_dwordx2 v[30:31], v[16:17], off offset:2
	global_load_dword v33, v[28:29], off offset:66
	global_load_ushort v34, v[26:27], off
	s_getpc_b64 s[4:5]
	s_add_u32 s4, s4, _ZL8ksigns64@rel32@lo+4
	s_addc_u32 s5, s5, _ZL8ksigns64@rel32@hi+12
	v_mov_b32_e32 v25, 0
	v_add_u32_e32 v20, 8, v20
	v_cmp_le_u32_e32 vcc, s14, v20
	v_add_u32_e32 v23, 64, v23
	s_or_b64 s[0:1], vcc, s[0:1]
	s_waitcnt vmcnt(4)
	v_cvt_f32_f16_e32 v4, v4
	s_waitcnt vmcnt(2)
	v_lshlrev_b32_sdwa v16, v24, v30 dst_sel:DWORD dst_unused:UNUSED_PAD src0_sel:DWORD src1_sel:BYTE_0
	v_lshlrev_b32_sdwa v17, v24, v30 dst_sel:DWORD dst_unused:UNUSED_PAD src0_sel:DWORD src1_sel:BYTE_1
	s_waitcnt vmcnt(1)
	v_and_b32_e32 v26, 0x7f, v33
	global_load_dword v40, v16, s[12:13]
	global_load_dword v41, v17, s[12:13]
	v_lshlrev_b32_sdwa v27, v24, v30 dst_sel:DWORD dst_unused:UNUSED_PAD src0_sel:DWORD src1_sel:BYTE_2
	v_lshlrev_b32_sdwa v28, v24, v30 dst_sel:DWORD dst_unused:UNUSED_PAD src0_sel:DWORD src1_sel:BYTE_3
	v_lshrrev_b32_e32 v29, 4, v33
	v_lshlrev_b32_sdwa v30, v24, v31 dst_sel:DWORD dst_unused:UNUSED_PAD src0_sel:DWORD src1_sel:BYTE_0
	v_lshlrev_b32_sdwa v35, v24, v31 dst_sel:DWORD dst_unused:UNUSED_PAD src0_sel:DWORD src1_sel:BYTE_1
	v_lshrrev_b32_e32 v36, 11, v33
	v_lshlrev_b32_sdwa v37, v24, v31 dst_sel:DWORD dst_unused:UNUSED_PAD src0_sel:DWORD src1_sel:BYTE_2
	v_lshlrev_b32_sdwa v31, v24, v31 dst_sel:DWORD dst_unused:UNUSED_PAD src0_sel:DWORD src1_sel:BYTE_3
	v_lshrrev_b32_e32 v38, 18, v33
	v_lshlrev_b32_e32 v39, 3, v26
	v_and_b32_e32 v42, 0x3f8, v29
	global_load_dword v43, v27, s[12:13]
	global_load_dword v44, v28, s[12:13]
	v_and_b32_e32 v36, 0x3f8, v36
	global_load_dword v45, v30, s[12:13]
	global_load_dword v46, v35, s[12:13]
	;; [unrolled: 3-line block ×3, first 2 shown]
	global_load_dwordx2 v[16:17], v39, s[4:5]
	global_load_dwordx2 v[26:27], v42, s[4:5]
	;; [unrolled: 1-line block ×3, first 2 shown]
	s_nop 0
	global_load_dwordx2 v[30:31], v35, s[4:5]
	s_waitcnt vmcnt(12)
	v_cvt_f32_f16_e32 v34, v34
	v_lshrrev_b32_e32 v33, 28, v33
	v_cvt_f32_ubyte0_e32 v33, v33
	v_add_f32_e32 v33, 0.5, v33
	s_waitcnt vmcnt(3)
	v_xor_b32_e32 v35, v16, v40
	v_and_b32_e32 v36, 0xff000000, v16
	v_and_b32_e32 v37, 0xff0000, v16
	;; [unrolled: 1-line block ×3, first 2 shown]
	v_xor_b32_e32 v40, v17, v41
	v_and_b32_e32 v41, 0xff000000, v17
	v_and_b32_e32 v42, 0xff0000, v17
	;; [unrolled: 1-line block ×3, first 2 shown]
	v_sub_u32_e32 v36, v35, v36
	v_sub_u32_e32 v37, v35, v37
	;; [unrolled: 1-line block ×4, first 2 shown]
	s_waitcnt vmcnt(2)
	v_xor_b32_e32 v43, v26, v43
	v_and_b32_e32 v49, 0xff000000, v26
	v_and_b32_e32 v50, 0xff0000, v26
	;; [unrolled: 1-line block ×3, first 2 shown]
	v_sub_u32_e32 v17, v40, v17
	v_sub_u32_e32 v41, v40, v41
	v_sub_u32_e32 v42, v40, v42
	v_sub_u32_e32 v40, v40, v48
	v_and_b32_e32 v36, 0xff000000, v36
	v_and_b32_e32 v39, 0xff00, v39
	v_perm_b32 v16, v37, v16, s7
	v_xor_b32_e32 v44, v27, v44
	v_and_b32_e32 v52, 0xff000000, v27
	v_and_b32_e32 v53, 0xff0000, v27
	;; [unrolled: 1-line block ×3, first 2 shown]
	s_waitcnt vmcnt(1)
	v_xor_b32_e32 v45, v28, v45
	v_and_b32_e32 v55, 0xff000000, v28
	v_and_b32_e32 v56, 0xff0000, v28
	;; [unrolled: 1-line block ×3, first 2 shown]
	v_xor_b32_e32 v46, v29, v46
	v_and_b32_e32 v58, 0xff000000, v29
	v_and_b32_e32 v59, 0xff0000, v29
	;; [unrolled: 1-line block ×3, first 2 shown]
	v_sub_u32_e32 v49, v43, v49
	v_sub_u32_e32 v50, v43, v50
	;; [unrolled: 1-line block ×4, first 2 shown]
	v_and_b32_e32 v37, 0xff000000, v41
	v_and_b32_e32 v40, 0xff00, v40
	v_perm_b32 v17, v42, v17, s7
	v_or3_b32 v16, v16, v36, v39
	s_waitcnt vmcnt(0)
	v_xor_b32_e32 v38, v30, v38
	v_and_b32_e32 v35, 0xff000000, v30
	v_and_b32_e32 v48, 0xff0000, v30
	v_sub_u32_e32 v27, v44, v27
	v_and_b32_e32 v43, 0xff00, v30
	v_xor_b32_e32 v47, v31, v47
	v_sub_u32_e32 v52, v44, v52
	v_sub_u32_e32 v53, v44, v53
	;; [unrolled: 1-line block ×3, first 2 shown]
	v_and_b32_e32 v54, 0xff000000, v31
	v_sub_u32_e32 v55, v45, v55
	v_sub_u32_e32 v56, v45, v56
	;; [unrolled: 1-line block ×5, first 2 shown]
	v_and_b32_e32 v45, 0xff0000, v31
	v_sub_u32_e32 v58, v46, v58
	v_sub_u32_e32 v59, v46, v59
	v_sub_u32_e32 v46, v46, v60
	v_and_b32_e32 v60, 0xff00, v31
	v_and_b32_e32 v41, 0xff000000, v49
	;; [unrolled: 1-line block ×3, first 2 shown]
	v_perm_b32 v26, v50, v26, s7
	v_or3_b32 v17, v17, v37, v40
	v_dot4c_i32_i8_e32 v25, v16, v5
	v_sub_u32_e32 v35, v38, v35
	v_sub_u32_e32 v48, v38, v48
	;; [unrolled: 1-line block ×8, first 2 shown]
	v_and_b32_e32 v47, 0xff000000, v52
	v_and_b32_e32 v44, 0xff00, v44
	v_perm_b32 v27, v53, v27, s7
	v_or3_b32 v26, v26, v41, v42
	v_dot4c_i32_i8_e32 v25, v17, v6
	v_and_b32_e32 v49, 0xff000000, v55
	v_and_b32_e32 v50, 0xff00, v57
	v_perm_b32 v28, v56, v28, s7
	v_or3_b32 v27, v27, v47, v44
	v_dot4c_i32_i8_e32 v25, v26, v7
	;; [unrolled: 5-line block ×5, first 2 shown]
	v_or3_b32 v31, v31, v38, v48
	v_dot4c_i32_i8_e32 v25, v30, v3
	v_dot4c_i32_i8_e32 v25, v31, v32
	v_mul_f32_e32 v1, v33, v34
	v_mul_f32_e32 v1, v1, v4
	v_mul_f32_e32 v1, 0.5, v1
	v_cvt_f32_i32_e32 v0, v25
	v_fmac_f32_e32 v21, v1, v0
	s_andn2_b64 exec, exec, s[0:1]
	s_cbranch_execnz .LBB287_3
; %bb.4:
	s_or_b64 exec, exec, s[0:1]
.LBB287_5:
	s_or_b64 exec, exec, s[10:11]
	v_mbcnt_lo_u32_b32 v0, -1, 0
	v_mbcnt_hi_u32_b32 v1, -1, v0
	v_and_b32_e32 v0, 64, v1
	v_add_u32_e32 v2, 64, v0
	v_xor_b32_e32 v0, 32, v1
	v_cmp_lt_i32_e32 vcc, v0, v2
	v_xor_b32_e32 v3, 16, v1
	v_xor_b32_e32 v4, 8, v1
	v_cndmask_b32_e32 v0, v1, v0, vcc
	v_lshlrev_b32_e32 v0, 2, v0
	ds_bpermute_b32 v0, v0, v21
	v_cmp_lt_i32_e32 vcc, v3, v2
	s_waitcnt lgkmcnt(0)
	v_add_f32_e32 v0, v21, v0
	v_cndmask_b32_e32 v3, v1, v3, vcc
	v_lshlrev_b32_e32 v3, 2, v3
	ds_bpermute_b32 v3, v3, v0
	v_cmp_lt_i32_e32 vcc, v4, v2
	s_waitcnt lgkmcnt(0)
	v_add_f32_e32 v0, v0, v3
	v_cndmask_b32_e32 v3, v1, v4, vcc
	v_lshlrev_b32_e32 v3, 2, v3
	ds_bpermute_b32 v3, v3, v0
	v_xor_b32_e32 v4, 4, v1
	v_cmp_lt_i32_e32 vcc, v4, v2
	s_waitcnt lgkmcnt(0)
	v_add_f32_e32 v0, v0, v3
	v_cndmask_b32_e32 v3, v1, v4, vcc
	v_lshlrev_b32_e32 v3, 2, v3
	ds_bpermute_b32 v3, v3, v0
	v_xor_b32_e32 v4, 2, v1
	;; [unrolled: 7-line block ×3, first 2 shown]
	v_cmp_lt_i32_e32 vcc, v4, v2
	s_waitcnt lgkmcnt(0)
	v_add_f32_e32 v0, v0, v3
	v_cndmask_b32_e32 v1, v1, v4, vcc
	v_lshlrev_b32_e32 v1, 2, v1
	ds_bpermute_b32 v1, v1, v0
	v_cmp_eq_u32_e32 vcc, 0, v19
	s_and_b64 exec, exec, vcc
	s_cbranch_execz .LBB287_7
; %bb.6:
	s_waitcnt lgkmcnt(0)
	v_add_f32_e32 v0, v0, v1
	v_bfe_u32 v1, v0, 16, 1
	s_movk_i32 s0, 0x7fff
	v_add3_u32 v1, v0, v1, s0
	v_cmp_o_f32_e32 vcc, v0, v0
	v_mov_b32_e32 v0, 0x7fc0
	s_mul_i32 s0, s6, s8
	v_cndmask_b32_sdwa v2, v0, v1, vcc dst_sel:DWORD dst_unused:UNUSED_PAD src0_sel:DWORD src1_sel:WORD_1
	v_add_u32_e32 v0, s0, v18
	v_mov_b32_e32 v1, 0
	v_lshl_add_u64 v[0:1], v[0:1], 1, s[2:3]
	global_store_short v[0:1], v2, off
.LBB287_7:
	s_endpgm
	.section	.rodata,"a",@progbits
	.p2align	6, 0x0
	.amdhsa_kernel _ZL9moe_vec_qIN3c108BFloat16ELi256ELi8E13block_iq3_xxsLi1EXadL_ZL20vec_dot_iq3_xxs_q8_1PKvPK10block_q8_1RKiEEEvS4_S4_PT_PS8_iiii
		.amdhsa_group_segment_fixed_size 0
		.amdhsa_private_segment_fixed_size 0
		.amdhsa_kernarg_size 304
		.amdhsa_user_sgpr_count 2
		.amdhsa_user_sgpr_dispatch_ptr 0
		.amdhsa_user_sgpr_queue_ptr 0
		.amdhsa_user_sgpr_kernarg_segment_ptr 1
		.amdhsa_user_sgpr_dispatch_id 0
		.amdhsa_user_sgpr_kernarg_preload_length 0
		.amdhsa_user_sgpr_kernarg_preload_offset 0
		.amdhsa_user_sgpr_private_segment_size 0
		.amdhsa_uses_dynamic_stack 0
		.amdhsa_enable_private_segment 0
		.amdhsa_system_sgpr_workgroup_id_x 1
		.amdhsa_system_sgpr_workgroup_id_y 0
		.amdhsa_system_sgpr_workgroup_id_z 1
		.amdhsa_system_sgpr_workgroup_info 0
		.amdhsa_system_vgpr_workitem_id 1
		.amdhsa_next_free_vgpr 61
		.amdhsa_next_free_sgpr 20
		.amdhsa_accum_offset 64
		.amdhsa_reserve_vcc 1
		.amdhsa_float_round_mode_32 0
		.amdhsa_float_round_mode_16_64 0
		.amdhsa_float_denorm_mode_32 3
		.amdhsa_float_denorm_mode_16_64 3
		.amdhsa_dx10_clamp 1
		.amdhsa_ieee_mode 1
		.amdhsa_fp16_overflow 0
		.amdhsa_tg_split 0
		.amdhsa_exception_fp_ieee_invalid_op 0
		.amdhsa_exception_fp_denorm_src 0
		.amdhsa_exception_fp_ieee_div_zero 0
		.amdhsa_exception_fp_ieee_overflow 0
		.amdhsa_exception_fp_ieee_underflow 0
		.amdhsa_exception_fp_ieee_inexact 0
		.amdhsa_exception_int_div_zero 0
	.end_amdhsa_kernel
	.section	.text._ZL9moe_vec_qIN3c108BFloat16ELi256ELi8E13block_iq3_xxsLi1EXadL_ZL20vec_dot_iq3_xxs_q8_1PKvPK10block_q8_1RKiEEEvS4_S4_PT_PS8_iiii,"axG",@progbits,_ZL9moe_vec_qIN3c108BFloat16ELi256ELi8E13block_iq3_xxsLi1EXadL_ZL20vec_dot_iq3_xxs_q8_1PKvPK10block_q8_1RKiEEEvS4_S4_PT_PS8_iiii,comdat
.Lfunc_end287:
	.size	_ZL9moe_vec_qIN3c108BFloat16ELi256ELi8E13block_iq3_xxsLi1EXadL_ZL20vec_dot_iq3_xxs_q8_1PKvPK10block_q8_1RKiEEEvS4_S4_PT_PS8_iiii, .Lfunc_end287-_ZL9moe_vec_qIN3c108BFloat16ELi256ELi8E13block_iq3_xxsLi1EXadL_ZL20vec_dot_iq3_xxs_q8_1PKvPK10block_q8_1RKiEEEvS4_S4_PT_PS8_iiii
                                        ; -- End function
	.set _ZL9moe_vec_qIN3c108BFloat16ELi256ELi8E13block_iq3_xxsLi1EXadL_ZL20vec_dot_iq3_xxs_q8_1PKvPK10block_q8_1RKiEEEvS4_S4_PT_PS8_iiii.num_vgpr, 61
	.set _ZL9moe_vec_qIN3c108BFloat16ELi256ELi8E13block_iq3_xxsLi1EXadL_ZL20vec_dot_iq3_xxs_q8_1PKvPK10block_q8_1RKiEEEvS4_S4_PT_PS8_iiii.num_agpr, 0
	.set _ZL9moe_vec_qIN3c108BFloat16ELi256ELi8E13block_iq3_xxsLi1EXadL_ZL20vec_dot_iq3_xxs_q8_1PKvPK10block_q8_1RKiEEEvS4_S4_PT_PS8_iiii.numbered_sgpr, 20
	.set _ZL9moe_vec_qIN3c108BFloat16ELi256ELi8E13block_iq3_xxsLi1EXadL_ZL20vec_dot_iq3_xxs_q8_1PKvPK10block_q8_1RKiEEEvS4_S4_PT_PS8_iiii.num_named_barrier, 0
	.set _ZL9moe_vec_qIN3c108BFloat16ELi256ELi8E13block_iq3_xxsLi1EXadL_ZL20vec_dot_iq3_xxs_q8_1PKvPK10block_q8_1RKiEEEvS4_S4_PT_PS8_iiii.private_seg_size, 0
	.set _ZL9moe_vec_qIN3c108BFloat16ELi256ELi8E13block_iq3_xxsLi1EXadL_ZL20vec_dot_iq3_xxs_q8_1PKvPK10block_q8_1RKiEEEvS4_S4_PT_PS8_iiii.uses_vcc, 1
	.set _ZL9moe_vec_qIN3c108BFloat16ELi256ELi8E13block_iq3_xxsLi1EXadL_ZL20vec_dot_iq3_xxs_q8_1PKvPK10block_q8_1RKiEEEvS4_S4_PT_PS8_iiii.uses_flat_scratch, 0
	.set _ZL9moe_vec_qIN3c108BFloat16ELi256ELi8E13block_iq3_xxsLi1EXadL_ZL20vec_dot_iq3_xxs_q8_1PKvPK10block_q8_1RKiEEEvS4_S4_PT_PS8_iiii.has_dyn_sized_stack, 0
	.set _ZL9moe_vec_qIN3c108BFloat16ELi256ELi8E13block_iq3_xxsLi1EXadL_ZL20vec_dot_iq3_xxs_q8_1PKvPK10block_q8_1RKiEEEvS4_S4_PT_PS8_iiii.has_recursion, 0
	.set _ZL9moe_vec_qIN3c108BFloat16ELi256ELi8E13block_iq3_xxsLi1EXadL_ZL20vec_dot_iq3_xxs_q8_1PKvPK10block_q8_1RKiEEEvS4_S4_PT_PS8_iiii.has_indirect_call, 0
	.section	.AMDGPU.csdata,"",@progbits
; Kernel info:
; codeLenInByte = 1748
; TotalNumSgprs: 26
; NumVgprs: 61
; NumAgprs: 0
; TotalNumVgprs: 61
; ScratchSize: 0
; MemoryBound: 0
; FloatMode: 240
; IeeeMode: 1
; LDSByteSize: 0 bytes/workgroup (compile time only)
; SGPRBlocks: 3
; VGPRBlocks: 7
; NumSGPRsForWavesPerEU: 26
; NumVGPRsForWavesPerEU: 61
; AccumOffset: 64
; Occupancy: 8
; WaveLimiterHint : 1
; COMPUTE_PGM_RSRC2:SCRATCH_EN: 0
; COMPUTE_PGM_RSRC2:USER_SGPR: 2
; COMPUTE_PGM_RSRC2:TRAP_HANDLER: 0
; COMPUTE_PGM_RSRC2:TGID_X_EN: 1
; COMPUTE_PGM_RSRC2:TGID_Y_EN: 0
; COMPUTE_PGM_RSRC2:TGID_Z_EN: 1
; COMPUTE_PGM_RSRC2:TIDIG_COMP_CNT: 1
; COMPUTE_PGM_RSRC3_GFX90A:ACCUM_OFFSET: 15
; COMPUTE_PGM_RSRC3_GFX90A:TG_SPLIT: 0
	.section	.text._ZL9moe_vec_qIN3c108BFloat16ELi256ELi8E11block_iq1_sLi1EXadL_ZL18vec_dot_iq1_s_q8_1PKvPK10block_q8_1RKiEEEvS4_S4_PT_PS8_iiii,"axG",@progbits,_ZL9moe_vec_qIN3c108BFloat16ELi256ELi8E11block_iq1_sLi1EXadL_ZL18vec_dot_iq1_s_q8_1PKvPK10block_q8_1RKiEEEvS4_S4_PT_PS8_iiii,comdat
	.globl	_ZL9moe_vec_qIN3c108BFloat16ELi256ELi8E11block_iq1_sLi1EXadL_ZL18vec_dot_iq1_s_q8_1PKvPK10block_q8_1RKiEEEvS4_S4_PT_PS8_iiii ; -- Begin function _ZL9moe_vec_qIN3c108BFloat16ELi256ELi8E11block_iq1_sLi1EXadL_ZL18vec_dot_iq1_s_q8_1PKvPK10block_q8_1RKiEEEvS4_S4_PT_PS8_iiii
	.p2align	8
	.type	_ZL9moe_vec_qIN3c108BFloat16ELi256ELi8E11block_iq1_sLi1EXadL_ZL18vec_dot_iq1_s_q8_1PKvPK10block_q8_1RKiEEEvS4_S4_PT_PS8_iiii,@function
_ZL9moe_vec_qIN3c108BFloat16ELi256ELi8E11block_iq1_sLi1EXadL_ZL18vec_dot_iq1_s_q8_1PKvPK10block_q8_1RKiEEEvS4_S4_PT_PS8_iiii: ; @_ZL9moe_vec_qIN3c108BFloat16ELi256ELi8E11block_iq1_sLi1EXadL_ZL18vec_dot_iq1_s_q8_1PKvPK10block_q8_1RKiEEEvS4_S4_PT_PS8_iiii
; %bb.0:
	s_mov_b32 s8, s3
	s_load_dword s3, s[0:1], 0x3c
	s_load_dwordx4 s[4:7], s[0:1], 0x20
	v_bfe_u32 v1, v0, 10, 10
	s_waitcnt lgkmcnt(0)
	s_lshr_b32 s3, s3, 16
	s_mul_i32 s2, s2, s3
	v_add_u32_e32 v6, s2, v1
	v_cmp_gt_u32_e32 vcc, s6, v6
	s_and_saveexec_b64 s[2:3], vcc
	s_cbranch_execz .LBB288_7
; %bb.1:
	s_load_dwordx2 s[2:3], s[0:1], 0x10
	s_ashr_i32 s9, s5, 31
	s_lshr_b32 s9, s9, 24
	s_add_i32 s5, s5, s9
	s_ashr_i32 s12, s5, 8
	v_bfe_u32 v8, v0, 3, 7
	v_and_b32_e32 v7, 0x3ff, v0
	v_cmp_gt_u32_e32 vcc, s12, v8
	v_mov_b32_e32 v9, 0
	s_and_saveexec_b64 s[10:11], vcc
	s_cbranch_execz .LBB288_5
; %bb.2:
	s_load_dwordx2 s[14:15], s[0:1], 0x18
	v_cvt_f32_u32_e32 v0, s4
	s_mov_b32 s9, 0
	s_lshl_b64 s[16:17], s[8:9], 2
	v_and_b32_e32 v4, 7, v7
	v_rcp_iflag_f32_e32 v0, v0
	s_waitcnt lgkmcnt(0)
	s_add_u32 s14, s14, s16
	s_addc_u32 s15, s15, s17
	s_load_dword s5, s[14:15], 0x0
	s_load_dwordx4 s[16:19], s[0:1], 0x0
	v_mul_f32_e32 v0, 0x4f7ffffe, v0
	s_mul_i32 s0, s12, s6
	v_cvt_u32_f32_e32 v0, v0
	s_waitcnt lgkmcnt(0)
	s_mul_i32 s0, s0, s5
	s_mul_hi_i32 s1, s0, 50
	s_mul_i32 s0, s0, 50
	s_add_u32 s0, s16, s0
	s_addc_u32 s1, s17, s1
	s_sub_i32 s5, 0, s4
	v_readfirstlane_b32 s13, v0
	s_mul_i32 s5, s5, s13
	s_mul_hi_u32 s5, s13, s5
	s_add_i32 s13, s13, s5
	s_mul_hi_u32 s5, s8, s13
	s_mul_i32 s13, s5, s4
	s_sub_i32 s13, s8, s13
	s_add_i32 s14, s5, 1
	s_sub_i32 s15, s13, s4
	s_cmp_ge_u32 s13, s4
	s_cselect_b32 s5, s14, s5
	s_cselect_b32 s13, s15, s13
	s_add_i32 s14, s5, 1
	s_cmp_ge_u32 s13, s4
	s_cselect_b32 s4, s14, s5
	s_mul_i32 s4, s4, s7
	s_mov_b32 s5, s9
	s_lshl_b64 s[4:5], s[4:5], 2
	s_add_u32 s4, s18, s4
	s_addc_u32 s5, s19, s5
	v_lshlrev_b32_e32 v0, 1, v4
	v_mov_b32_e32 v1, 0
	v_mad_u64_u32 v[2:3], s[4:5], v4, 36, s[4:5]
	v_mul_lo_u32 v10, v6, s12
	v_lshlrev_b32_e32 v11, 3, v8
	s_mov_b64 s[4:5], 0
	v_lshlrev_b32_e32 v0, 1, v0
	v_lshlrev_b32_e32 v4, 1, v4
	v_mov_b32_e32 v5, v1
	s_movk_i32 s7, 0x700
	v_mov_b32_e32 v12, 0xbf600000
	v_mov_b32_e32 v9, v1
.LBB288_3:                              ; =>This Inner Loop Header: Depth=1
	v_add_u32_e32 v13, v10, v8
	v_mad_i64_i32 v[22:23], s[14:15], v13, 50, s[0:1]
	v_lshl_add_u64 v[14:15], v[22:23], 0, v[0:1]
	v_lshl_add_u64 v[16:17], v[22:23], 0, v[4:5]
	global_load_dword v13, v[14:15], off offset:2
	global_load_ushort v26, v[16:17], off offset:34
	v_mad_i64_i32 v[24:25], s[14:15], v11, 36, v[2:3]
	global_load_dwordx4 v[14:17], v[24:25], off
	global_load_dwordx4 v[18:21], v[24:25], off offset:16
	global_load_ushort v27, v[22:23], off
	s_getpc_b64 s[14:15]
	s_add_u32 s14, s14, _ZL13iq1s_grid_gpu@rel32@lo+4
	s_addc_u32 s15, s15, _ZL13iq1s_grid_gpu@rel32@hi+12
	v_add_u32_e32 v8, 8, v8
	v_cmp_le_u32_e32 vcc, s12, v8
	v_add_u32_e32 v11, 64, v11
	s_or_b64 s[4:5], vcc, s[4:5]
	s_waitcnt vmcnt(4)
	v_and_b32_e32 v23, 0xff, v13
	s_waitcnt vmcnt(3)
	v_lshlrev_b32_e32 v28, 8, v26
	v_lshrrev_b32_e32 v22, 24, v13
	v_bfe_u32 v29, v13, 8, 8
	v_lshlrev_b32_e32 v30, 5, v26
	v_bfe_u32 v13, v13, 16, 8
	v_lshlrev_b32_e32 v31, 2, v26
	v_lshrrev_b32_e32 v32, 1, v26
	v_and_or_b32 v23, v28, s7, v23
	v_and_or_b32 v28, v30, s7, v29
	;; [unrolled: 1-line block ×4, first 2 shown]
	v_lshlrev_b32_e32 v23, 3, v23
	v_lshlrev_b32_e32 v28, 3, v28
	;; [unrolled: 1-line block ×4, first 2 shown]
	global_load_dword v29, v23, s[14:15]
	global_load_dword v30, v28, s[14:15]
	;; [unrolled: 1-line block ×4, first 2 shown]
	global_load_dword v33, v[24:25], off offset:32
	s_waitcnt vmcnt(7)
	v_cvt_f32_f16_e32 v22, v14
	v_cvt_f32_f16_sdwa v23, v14 dst_sel:DWORD dst_unused:UNUSED_PAD src0_sel:WORD_1
	v_lshrrev_b32_e32 v14, 11, v26
	v_mov_b32_e32 v13, 0
	s_waitcnt vmcnt(5)
	v_cvt_f32_f16_e32 v24, v27
	v_and_b32_e32 v25, 0x8000, v26
	v_and_or_b32 v26, v14, 14, 1
	v_cvt_f32_u32_e32 v25, v25
	s_waitcnt vmcnt(4)
	v_and_b32_e32 v14, 0xf0f0f0f, v29
	v_lshrrev_b32_e32 v27, 4, v29
	v_and_b32_e32 v27, 0xf0f0f0f, v27
	v_dot4c_i32_i8_e32 v13, v14, v15
	s_waitcnt vmcnt(3)
	v_and_b32_e32 v28, 0xf0f0f0f, v30
	v_lshrrev_b32_e32 v29, 4, v30
	v_dot4c_i32_i8_e32 v13, v27, v16
	v_and_b32_e32 v14, 0xf0f0f0f, v29
	v_dot4c_i32_i8_e32 v13, v28, v17
	s_waitcnt vmcnt(2)
	v_and_b32_e32 v30, 0xf0f0f0f, v31
	v_lshrrev_b32_e32 v31, 4, v31
	v_dot4c_i32_i8_e32 v13, v14, v18
	;; [unrolled: 6-line block ×3, first 2 shown]
	v_and_b32_e32 v29, 0xf0f0f0f, v32
	v_dot4c_i32_i8_e32 v13, v34, v21
	s_waitcnt vmcnt(0)
	v_dot4c_i32_i8_e32 v13, v29, v33
	v_fmamk_f32 v15, v25, 0xb7000000, v12
	s_nop 1
	v_cvt_f32_i32_e32 v14, v13
	v_cvt_f32_ubyte0_e32 v13, v26
	v_mul_f32_e32 v13, v13, v24
	v_pk_mul_f32 v[14:15], v[14:15], v[22:23]
	s_nop 0
	v_add_f32_e32 v14, v14, v15
	v_fmac_f32_e32 v9, v13, v14
	s_andn2_b64 exec, exec, s[4:5]
	s_cbranch_execnz .LBB288_3
; %bb.4:
	s_or_b64 exec, exec, s[4:5]
.LBB288_5:
	s_or_b64 exec, exec, s[10:11]
	v_mbcnt_lo_u32_b32 v0, -1, 0
	v_mbcnt_hi_u32_b32 v1, -1, v0
	v_and_b32_e32 v0, 64, v1
	v_add_u32_e32 v2, 64, v0
	v_xor_b32_e32 v0, 32, v1
	v_cmp_lt_i32_e32 vcc, v0, v2
	v_xor_b32_e32 v3, 16, v1
	v_xor_b32_e32 v4, 8, v1
	v_cndmask_b32_e32 v0, v1, v0, vcc
	v_lshlrev_b32_e32 v0, 2, v0
	ds_bpermute_b32 v0, v0, v9
	v_cmp_lt_i32_e32 vcc, v3, v2
	s_waitcnt lgkmcnt(0)
	v_add_f32_e32 v0, v9, v0
	v_cndmask_b32_e32 v3, v1, v3, vcc
	v_lshlrev_b32_e32 v3, 2, v3
	ds_bpermute_b32 v3, v3, v0
	v_cmp_lt_i32_e32 vcc, v4, v2
	s_waitcnt lgkmcnt(0)
	v_add_f32_e32 v0, v0, v3
	v_cndmask_b32_e32 v3, v1, v4, vcc
	v_lshlrev_b32_e32 v3, 2, v3
	ds_bpermute_b32 v3, v3, v0
	v_xor_b32_e32 v4, 4, v1
	v_cmp_lt_i32_e32 vcc, v4, v2
	s_waitcnt lgkmcnt(0)
	v_add_f32_e32 v0, v0, v3
	v_cndmask_b32_e32 v3, v1, v4, vcc
	v_lshlrev_b32_e32 v3, 2, v3
	ds_bpermute_b32 v3, v3, v0
	v_xor_b32_e32 v4, 2, v1
	;; [unrolled: 7-line block ×3, first 2 shown]
	v_cmp_lt_i32_e32 vcc, v4, v2
	s_waitcnt lgkmcnt(0)
	v_add_f32_e32 v0, v0, v3
	v_cndmask_b32_e32 v1, v1, v4, vcc
	v_lshlrev_b32_e32 v1, 2, v1
	ds_bpermute_b32 v1, v1, v0
	v_cmp_eq_u32_e32 vcc, 0, v7
	s_and_b64 exec, exec, vcc
	s_cbranch_execz .LBB288_7
; %bb.6:
	s_waitcnt lgkmcnt(0)
	v_add_f32_e32 v0, v0, v1
	v_bfe_u32 v1, v0, 16, 1
	s_movk_i32 s0, 0x7fff
	v_add3_u32 v1, v0, v1, s0
	v_cmp_o_f32_e32 vcc, v0, v0
	v_mov_b32_e32 v0, 0x7fc0
	s_mul_i32 s0, s6, s8
	v_cndmask_b32_sdwa v2, v0, v1, vcc dst_sel:DWORD dst_unused:UNUSED_PAD src0_sel:DWORD src1_sel:WORD_1
	v_add_u32_e32 v0, s0, v6
	v_mov_b32_e32 v1, 0
	v_lshl_add_u64 v[0:1], v[0:1], 1, s[2:3]
	global_store_short v[0:1], v2, off
.LBB288_7:
	s_endpgm
	.section	.rodata,"a",@progbits
	.p2align	6, 0x0
	.amdhsa_kernel _ZL9moe_vec_qIN3c108BFloat16ELi256ELi8E11block_iq1_sLi1EXadL_ZL18vec_dot_iq1_s_q8_1PKvPK10block_q8_1RKiEEEvS4_S4_PT_PS8_iiii
		.amdhsa_group_segment_fixed_size 0
		.amdhsa_private_segment_fixed_size 0
		.amdhsa_kernarg_size 304
		.amdhsa_user_sgpr_count 2
		.amdhsa_user_sgpr_dispatch_ptr 0
		.amdhsa_user_sgpr_queue_ptr 0
		.amdhsa_user_sgpr_kernarg_segment_ptr 1
		.amdhsa_user_sgpr_dispatch_id 0
		.amdhsa_user_sgpr_kernarg_preload_length 0
		.amdhsa_user_sgpr_kernarg_preload_offset 0
		.amdhsa_user_sgpr_private_segment_size 0
		.amdhsa_uses_dynamic_stack 0
		.amdhsa_enable_private_segment 0
		.amdhsa_system_sgpr_workgroup_id_x 1
		.amdhsa_system_sgpr_workgroup_id_y 0
		.amdhsa_system_sgpr_workgroup_id_z 1
		.amdhsa_system_sgpr_workgroup_info 0
		.amdhsa_system_vgpr_workitem_id 1
		.amdhsa_next_free_vgpr 35
		.amdhsa_next_free_sgpr 20
		.amdhsa_accum_offset 36
		.amdhsa_reserve_vcc 1
		.amdhsa_float_round_mode_32 0
		.amdhsa_float_round_mode_16_64 0
		.amdhsa_float_denorm_mode_32 3
		.amdhsa_float_denorm_mode_16_64 3
		.amdhsa_dx10_clamp 1
		.amdhsa_ieee_mode 1
		.amdhsa_fp16_overflow 0
		.amdhsa_tg_split 0
		.amdhsa_exception_fp_ieee_invalid_op 0
		.amdhsa_exception_fp_denorm_src 0
		.amdhsa_exception_fp_ieee_div_zero 0
		.amdhsa_exception_fp_ieee_overflow 0
		.amdhsa_exception_fp_ieee_underflow 0
		.amdhsa_exception_fp_ieee_inexact 0
		.amdhsa_exception_int_div_zero 0
	.end_amdhsa_kernel
	.section	.text._ZL9moe_vec_qIN3c108BFloat16ELi256ELi8E11block_iq1_sLi1EXadL_ZL18vec_dot_iq1_s_q8_1PKvPK10block_q8_1RKiEEEvS4_S4_PT_PS8_iiii,"axG",@progbits,_ZL9moe_vec_qIN3c108BFloat16ELi256ELi8E11block_iq1_sLi1EXadL_ZL18vec_dot_iq1_s_q8_1PKvPK10block_q8_1RKiEEEvS4_S4_PT_PS8_iiii,comdat
.Lfunc_end288:
	.size	_ZL9moe_vec_qIN3c108BFloat16ELi256ELi8E11block_iq1_sLi1EXadL_ZL18vec_dot_iq1_s_q8_1PKvPK10block_q8_1RKiEEEvS4_S4_PT_PS8_iiii, .Lfunc_end288-_ZL9moe_vec_qIN3c108BFloat16ELi256ELi8E11block_iq1_sLi1EXadL_ZL18vec_dot_iq1_s_q8_1PKvPK10block_q8_1RKiEEEvS4_S4_PT_PS8_iiii
                                        ; -- End function
	.set _ZL9moe_vec_qIN3c108BFloat16ELi256ELi8E11block_iq1_sLi1EXadL_ZL18vec_dot_iq1_s_q8_1PKvPK10block_q8_1RKiEEEvS4_S4_PT_PS8_iiii.num_vgpr, 35
	.set _ZL9moe_vec_qIN3c108BFloat16ELi256ELi8E11block_iq1_sLi1EXadL_ZL18vec_dot_iq1_s_q8_1PKvPK10block_q8_1RKiEEEvS4_S4_PT_PS8_iiii.num_agpr, 0
	.set _ZL9moe_vec_qIN3c108BFloat16ELi256ELi8E11block_iq1_sLi1EXadL_ZL18vec_dot_iq1_s_q8_1PKvPK10block_q8_1RKiEEEvS4_S4_PT_PS8_iiii.numbered_sgpr, 20
	.set _ZL9moe_vec_qIN3c108BFloat16ELi256ELi8E11block_iq1_sLi1EXadL_ZL18vec_dot_iq1_s_q8_1PKvPK10block_q8_1RKiEEEvS4_S4_PT_PS8_iiii.num_named_barrier, 0
	.set _ZL9moe_vec_qIN3c108BFloat16ELi256ELi8E11block_iq1_sLi1EXadL_ZL18vec_dot_iq1_s_q8_1PKvPK10block_q8_1RKiEEEvS4_S4_PT_PS8_iiii.private_seg_size, 0
	.set _ZL9moe_vec_qIN3c108BFloat16ELi256ELi8E11block_iq1_sLi1EXadL_ZL18vec_dot_iq1_s_q8_1PKvPK10block_q8_1RKiEEEvS4_S4_PT_PS8_iiii.uses_vcc, 1
	.set _ZL9moe_vec_qIN3c108BFloat16ELi256ELi8E11block_iq1_sLi1EXadL_ZL18vec_dot_iq1_s_q8_1PKvPK10block_q8_1RKiEEEvS4_S4_PT_PS8_iiii.uses_flat_scratch, 0
	.set _ZL9moe_vec_qIN3c108BFloat16ELi256ELi8E11block_iq1_sLi1EXadL_ZL18vec_dot_iq1_s_q8_1PKvPK10block_q8_1RKiEEEvS4_S4_PT_PS8_iiii.has_dyn_sized_stack, 0
	.set _ZL9moe_vec_qIN3c108BFloat16ELi256ELi8E11block_iq1_sLi1EXadL_ZL18vec_dot_iq1_s_q8_1PKvPK10block_q8_1RKiEEEvS4_S4_PT_PS8_iiii.has_recursion, 0
	.set _ZL9moe_vec_qIN3c108BFloat16ELi256ELi8E11block_iq1_sLi1EXadL_ZL18vec_dot_iq1_s_q8_1PKvPK10block_q8_1RKiEEEvS4_S4_PT_PS8_iiii.has_indirect_call, 0
	.section	.AMDGPU.csdata,"",@progbits
; Kernel info:
; codeLenInByte = 1148
; TotalNumSgprs: 26
; NumVgprs: 35
; NumAgprs: 0
; TotalNumVgprs: 35
; ScratchSize: 0
; MemoryBound: 0
; FloatMode: 240
; IeeeMode: 1
; LDSByteSize: 0 bytes/workgroup (compile time only)
; SGPRBlocks: 3
; VGPRBlocks: 4
; NumSGPRsForWavesPerEU: 26
; NumVGPRsForWavesPerEU: 35
; AccumOffset: 36
; Occupancy: 8
; WaveLimiterHint : 1
; COMPUTE_PGM_RSRC2:SCRATCH_EN: 0
; COMPUTE_PGM_RSRC2:USER_SGPR: 2
; COMPUTE_PGM_RSRC2:TRAP_HANDLER: 0
; COMPUTE_PGM_RSRC2:TGID_X_EN: 1
; COMPUTE_PGM_RSRC2:TGID_Y_EN: 0
; COMPUTE_PGM_RSRC2:TGID_Z_EN: 1
; COMPUTE_PGM_RSRC2:TIDIG_COMP_CNT: 1
; COMPUTE_PGM_RSRC3_GFX90A:ACCUM_OFFSET: 8
; COMPUTE_PGM_RSRC3_GFX90A:TG_SPLIT: 0
	.section	.text._ZL9moe_vec_qIN3c108BFloat16ELi32ELi4E12block_iq4_nlLi2EXadL_ZL19vec_dot_iq4_nl_q8_1PKvPK10block_q8_1RKiEEEvS4_S4_PT_PS8_iiii,"axG",@progbits,_ZL9moe_vec_qIN3c108BFloat16ELi32ELi4E12block_iq4_nlLi2EXadL_ZL19vec_dot_iq4_nl_q8_1PKvPK10block_q8_1RKiEEEvS4_S4_PT_PS8_iiii,comdat
	.globl	_ZL9moe_vec_qIN3c108BFloat16ELi32ELi4E12block_iq4_nlLi2EXadL_ZL19vec_dot_iq4_nl_q8_1PKvPK10block_q8_1RKiEEEvS4_S4_PT_PS8_iiii ; -- Begin function _ZL9moe_vec_qIN3c108BFloat16ELi32ELi4E12block_iq4_nlLi2EXadL_ZL19vec_dot_iq4_nl_q8_1PKvPK10block_q8_1RKiEEEvS4_S4_PT_PS8_iiii
	.p2align	8
	.type	_ZL9moe_vec_qIN3c108BFloat16ELi32ELi4E12block_iq4_nlLi2EXadL_ZL19vec_dot_iq4_nl_q8_1PKvPK10block_q8_1RKiEEEvS4_S4_PT_PS8_iiii,@function
_ZL9moe_vec_qIN3c108BFloat16ELi32ELi4E12block_iq4_nlLi2EXadL_ZL19vec_dot_iq4_nl_q8_1PKvPK10block_q8_1RKiEEEvS4_S4_PT_PS8_iiii: ; @_ZL9moe_vec_qIN3c108BFloat16ELi32ELi4E12block_iq4_nlLi2EXadL_ZL19vec_dot_iq4_nl_q8_1PKvPK10block_q8_1RKiEEEvS4_S4_PT_PS8_iiii
; %bb.0:
	s_mov_b32 s8, s3
	s_load_dword s3, s[0:1], 0x3c
	s_load_dwordx4 s[4:7], s[0:1], 0x20
	v_bfe_u32 v1, v0, 10, 10
	s_waitcnt lgkmcnt(0)
	s_lshr_b32 s3, s3, 16
	s_mul_i32 s2, s2, s3
	v_add_u32_e32 v4, s2, v1
	v_cmp_gt_u32_e32 vcc, s6, v4
	s_and_saveexec_b64 s[2:3], vcc
	s_cbranch_execz .LBB289_7
; %bb.1:
	v_cvt_f32_u32_e32 v1, s4
	v_and_b32_e32 v5, 0x3ff, v0
	v_bfe_u32 v6, v0, 1, 9
	s_load_dwordx2 s[2:3], s[0:1], 0x10
	v_rcp_iflag_f32_e32 v1, v1
	s_ashr_i32 s9, s5, 31
	s_lshr_b32 s9, s9, 27
	s_add_i32 s5, s5, s9
	v_mul_f32_e32 v0, 0x4f7ffffe, v1
	v_cvt_u32_f32_e32 v0, v0
	s_ashr_i32 s16, s5, 5
	v_cmp_gt_u32_e32 vcc, s16, v6
	v_mov_b32_e32 v7, 0
	v_readfirstlane_b32 s5, v0
	s_and_saveexec_b64 s[10:11], vcc
	s_cbranch_execz .LBB289_5
; %bb.2:
	s_sub_i32 s12, 0, s4
	s_mul_i32 s17, s12, s5
	s_load_dwordx4 s[12:15], s[0:1], 0x0
	s_load_dwordx2 s[18:19], s[0:1], 0x18
	s_mov_b32 s9, 0
	s_mul_hi_u32 s0, s5, s17
	s_add_i32 s5, s5, s0
	s_lshl_b64 s[0:1], s[8:9], 2
	s_waitcnt lgkmcnt(0)
	s_add_u32 s0, s18, s0
	s_mul_hi_u32 s5, s8, s5
	s_addc_u32 s1, s19, s1
	s_load_dword s0, s[0:1], 0x0
	s_mul_i32 s1, s5, s4
	s_sub_i32 s1, s8, s1
	s_add_i32 s17, s5, 1
	s_sub_i32 s18, s1, s4
	s_cmp_ge_u32 s1, s4
	s_cselect_b32 s5, s17, s5
	s_cselect_b32 s1, s18, s1
	s_add_i32 s17, s5, 1
	s_cmp_ge_u32 s1, s4
	s_mul_i32 s1, s16, s6
	s_waitcnt lgkmcnt(0)
	s_mul_i32 s0, s1, s0
	s_cselect_b32 s4, s17, s5
	s_mul_hi_i32 s1, s0, 18
	s_mul_i32 s0, s0, 18
	s_add_u32 s0, s12, s0
	s_mul_i32 s4, s4, s7
	s_mov_b32 s5, s9
	v_lshlrev_b32_e32 v0, 1, v5
	s_addc_u32 s1, s13, s1
	s_lshl_b64 s[4:5], s[4:5], 2
	v_and_b32_e32 v2, 2, v0
	s_add_u32 s4, s14, s4
	v_lshlrev_b32_e32 v0, 1, v2
	v_mov_b32_e32 v1, 0
	s_addc_u32 s5, s15, s5
	v_mul_lo_u32 v8, v4, s16
	s_mov_b64 s[12:13], 0
	v_lshlrev_b32_e32 v0, 1, v0
	v_lshlrev_b32_e32 v2, 2, v2
	v_mov_b32_e32 v3, v1
	v_mov_b32_e32 v7, v1
.LBB289_3:                              ; =>This Inner Loop Header: Depth=1
	v_add_u32_e32 v9, v8, v6
	v_mad_i64_i32 v[10:11], s[14:15], v9, 18, s[0:1]
	v_lshl_add_u64 v[12:13], v[10:11], 0, v[0:1]
	global_load_dwordx2 v[12:13], v[12:13], off offset:2
	v_mad_i64_i32 v[14:15], s[14:15], v6, 36, s[4:5]
	v_lshl_add_u64 v[16:17], v[14:15], 0, v[2:3]
	s_getpc_b64 s[14:15]
	s_add_u32 s14, s14, _ZL13kvalues_iq4nl@rel32@lo+4
	s_addc_u32 s15, s15, _ZL13kvalues_iq4nl@rel32@hi+12
	global_load_dword v9, v[14:15], off
	global_load_dwordx2 v[18:19], v[16:17], off offset:4
	global_load_dwordx2 v[20:21], v[16:17], off offset:20
	v_add_u32_e32 v6, 32, v6
	v_cmp_le_u32_e32 vcc, s16, v6
	s_or_b64 s[12:13], vcc, s[12:13]
	s_waitcnt vmcnt(3)
	v_bfe_u32 v14, v12, 24, 4
	v_and_b32_e32 v15, 15, v12
	v_bfe_u32 v16, v12, 8, 4
	v_bfe_u32 v17, v12, 16, 4
	;; [unrolled: 1-line block ×4, first 2 shown]
	v_lshrrev_b32_e32 v24, 28, v12
	v_bfe_u32 v12, v12, 4, 4
	v_bfe_u32 v25, v13, 24, 4
	v_and_b32_e32 v26, 15, v13
	v_bfe_u32 v27, v13, 8, 4
	v_bfe_u32 v28, v13, 16, 4
	;; [unrolled: 1-line block ×4, first 2 shown]
	v_lshrrev_b32_e32 v31, 28, v13
	v_bfe_u32 v13, v13, 4, 4
	global_load_ubyte v32, v15, s[14:15]
	global_load_ubyte v33, v16, s[14:15]
	;; [unrolled: 1-line block ×15, first 2 shown]
                                        ; kill: killed $vgpr22
                                        ; kill: killed $vgpr31
                                        ; kill: killed $vgpr24
                                        ; kill: killed $vgpr29
                                        ; kill: killed $vgpr28
                                        ; kill: killed $vgpr23
                                        ; kill: killed $vgpr27
                                        ; kill: killed $vgpr13
                                        ; kill: killed $vgpr15
                                        ; kill: killed $vgpr12
                                        ; kill: killed $vgpr26
                                        ; kill: killed $vgpr30
                                        ; kill: killed $vgpr17
                                        ; kill: killed $vgpr14
                                        ; kill: killed $vgpr16
	global_load_ubyte v12, v25, s[14:15]
	s_nop 0
	global_load_ushort v13, v[10:11], off
	v_mov_b32_e32 v10, 0
	v_mov_b32_e32 v11, 0
	s_waitcnt vmcnt(19)
	v_cvt_f32_f16_e32 v9, v9
	s_waitcnt vmcnt(15)
	v_lshl_or_b32 v16, v33, 8, v32
	s_waitcnt vmcnt(14)
	v_lshlrev_b32_e32 v15, 16, v34
	s_waitcnt vmcnt(12)
	v_lshl_or_b32 v23, v36, 8, v35
	s_waitcnt vmcnt(11)
	v_lshlrev_b32_e32 v22, 16, v37
	s_waitcnt vmcnt(10)
	v_lshlrev_b32_e32 v17, 24, v38
	;; [unrolled: 2-line block ×3, first 2 shown]
	v_or3_b32 v14, v16, v15, v14
	s_waitcnt vmcnt(7)
	v_lshl_or_b32 v25, v41, 8, v40
	s_waitcnt vmcnt(6)
	v_lshlrev_b32_e32 v24, 16, v42
	v_or3_b32 v15, v23, v22, v17
	s_waitcnt vmcnt(4)
	v_lshl_or_b32 v28, v44, 8, v43
	s_waitcnt vmcnt(3)
	v_lshlrev_b32_e32 v27, 16, v45
	s_waitcnt vmcnt(2)
	v_lshlrev_b32_e32 v26, 24, v46
	v_or3_b32 v16, v28, v27, v26
	v_dot4c_i32_i8_e32 v10, v14, v18
	v_dot4c_i32_i8_e32 v11, v15, v20
	v_dot4c_i32_i8_e32 v11, v16, v21
	s_waitcnt vmcnt(1)
	v_lshlrev_b32_e32 v12, 24, v12
	v_or3_b32 v12, v25, v24, v12
	v_dot4c_i32_i8_e32 v10, v12, v19
	s_waitcnt vmcnt(0)
	v_cvt_f32_f16_e32 v13, v13
	v_mul_f32_e32 v9, v13, v9
	v_add_u32_e32 v10, v11, v10
	v_cvt_f32_i32_e32 v10, v10
	v_fmac_f32_e32 v7, v9, v10
	s_andn2_b64 exec, exec, s[12:13]
	s_cbranch_execnz .LBB289_3
; %bb.4:
	s_or_b64 exec, exec, s[12:13]
.LBB289_5:
	s_or_b64 exec, exec, s[10:11]
	v_mbcnt_lo_u32_b32 v0, -1, 0
	v_mbcnt_hi_u32_b32 v1, -1, v0
	v_and_b32_e32 v0, 64, v1
	v_add_u32_e32 v2, 64, v0
	v_xor_b32_e32 v0, 32, v1
	v_cmp_lt_i32_e32 vcc, v0, v2
	v_xor_b32_e32 v3, 16, v1
	v_xor_b32_e32 v6, 8, v1
	v_cndmask_b32_e32 v0, v1, v0, vcc
	v_lshlrev_b32_e32 v0, 2, v0
	ds_bpermute_b32 v0, v0, v7
	v_cmp_lt_i32_e32 vcc, v3, v2
	s_waitcnt lgkmcnt(0)
	v_add_f32_e32 v0, v7, v0
	v_cndmask_b32_e32 v3, v1, v3, vcc
	v_lshlrev_b32_e32 v3, 2, v3
	ds_bpermute_b32 v3, v3, v0
	v_cmp_lt_i32_e32 vcc, v6, v2
	s_waitcnt lgkmcnt(0)
	v_add_f32_e32 v0, v0, v3
	v_cndmask_b32_e32 v3, v1, v6, vcc
	v_lshlrev_b32_e32 v3, 2, v3
	ds_bpermute_b32 v3, v3, v0
	v_xor_b32_e32 v6, 4, v1
	v_cmp_lt_i32_e32 vcc, v6, v2
	s_waitcnt lgkmcnt(0)
	v_add_f32_e32 v0, v0, v3
	v_cndmask_b32_e32 v3, v1, v6, vcc
	v_lshlrev_b32_e32 v3, 2, v3
	ds_bpermute_b32 v3, v3, v0
	v_xor_b32_e32 v6, 2, v1
	;; [unrolled: 7-line block ×3, first 2 shown]
	v_cmp_lt_i32_e32 vcc, v6, v2
	s_waitcnt lgkmcnt(0)
	v_add_f32_e32 v0, v0, v3
	v_cndmask_b32_e32 v1, v1, v6, vcc
	v_lshlrev_b32_e32 v1, 2, v1
	ds_bpermute_b32 v1, v1, v0
	v_cmp_eq_u32_e32 vcc, 0, v5
	s_and_b64 exec, exec, vcc
	s_cbranch_execz .LBB289_7
; %bb.6:
	s_waitcnt lgkmcnt(0)
	v_add_f32_e32 v0, v0, v1
	v_bfe_u32 v1, v0, 16, 1
	s_movk_i32 s0, 0x7fff
	v_add3_u32 v1, v0, v1, s0
	v_cmp_o_f32_e32 vcc, v0, v0
	v_mov_b32_e32 v0, 0x7fc0
	s_mul_i32 s0, s6, s8
	v_cndmask_b32_sdwa v2, v0, v1, vcc dst_sel:DWORD dst_unused:UNUSED_PAD src0_sel:DWORD src1_sel:WORD_1
	v_add_u32_e32 v0, s0, v4
	v_mov_b32_e32 v1, 0
	v_lshl_add_u64 v[0:1], v[0:1], 1, s[2:3]
	global_store_short v[0:1], v2, off
.LBB289_7:
	s_endpgm
	.section	.rodata,"a",@progbits
	.p2align	6, 0x0
	.amdhsa_kernel _ZL9moe_vec_qIN3c108BFloat16ELi32ELi4E12block_iq4_nlLi2EXadL_ZL19vec_dot_iq4_nl_q8_1PKvPK10block_q8_1RKiEEEvS4_S4_PT_PS8_iiii
		.amdhsa_group_segment_fixed_size 0
		.amdhsa_private_segment_fixed_size 0
		.amdhsa_kernarg_size 304
		.amdhsa_user_sgpr_count 2
		.amdhsa_user_sgpr_dispatch_ptr 0
		.amdhsa_user_sgpr_queue_ptr 0
		.amdhsa_user_sgpr_kernarg_segment_ptr 1
		.amdhsa_user_sgpr_dispatch_id 0
		.amdhsa_user_sgpr_kernarg_preload_length 0
		.amdhsa_user_sgpr_kernarg_preload_offset 0
		.amdhsa_user_sgpr_private_segment_size 0
		.amdhsa_uses_dynamic_stack 0
		.amdhsa_enable_private_segment 0
		.amdhsa_system_sgpr_workgroup_id_x 1
		.amdhsa_system_sgpr_workgroup_id_y 0
		.amdhsa_system_sgpr_workgroup_id_z 1
		.amdhsa_system_sgpr_workgroup_info 0
		.amdhsa_system_vgpr_workitem_id 1
		.amdhsa_next_free_vgpr 47
		.amdhsa_next_free_sgpr 20
		.amdhsa_accum_offset 48
		.amdhsa_reserve_vcc 1
		.amdhsa_float_round_mode_32 0
		.amdhsa_float_round_mode_16_64 0
		.amdhsa_float_denorm_mode_32 3
		.amdhsa_float_denorm_mode_16_64 3
		.amdhsa_dx10_clamp 1
		.amdhsa_ieee_mode 1
		.amdhsa_fp16_overflow 0
		.amdhsa_tg_split 0
		.amdhsa_exception_fp_ieee_invalid_op 0
		.amdhsa_exception_fp_denorm_src 0
		.amdhsa_exception_fp_ieee_div_zero 0
		.amdhsa_exception_fp_ieee_overflow 0
		.amdhsa_exception_fp_ieee_underflow 0
		.amdhsa_exception_fp_ieee_inexact 0
		.amdhsa_exception_int_div_zero 0
	.end_amdhsa_kernel
	.section	.text._ZL9moe_vec_qIN3c108BFloat16ELi32ELi4E12block_iq4_nlLi2EXadL_ZL19vec_dot_iq4_nl_q8_1PKvPK10block_q8_1RKiEEEvS4_S4_PT_PS8_iiii,"axG",@progbits,_ZL9moe_vec_qIN3c108BFloat16ELi32ELi4E12block_iq4_nlLi2EXadL_ZL19vec_dot_iq4_nl_q8_1PKvPK10block_q8_1RKiEEEvS4_S4_PT_PS8_iiii,comdat
.Lfunc_end289:
	.size	_ZL9moe_vec_qIN3c108BFloat16ELi32ELi4E12block_iq4_nlLi2EXadL_ZL19vec_dot_iq4_nl_q8_1PKvPK10block_q8_1RKiEEEvS4_S4_PT_PS8_iiii, .Lfunc_end289-_ZL9moe_vec_qIN3c108BFloat16ELi32ELi4E12block_iq4_nlLi2EXadL_ZL19vec_dot_iq4_nl_q8_1PKvPK10block_q8_1RKiEEEvS4_S4_PT_PS8_iiii
                                        ; -- End function
	.set _ZL9moe_vec_qIN3c108BFloat16ELi32ELi4E12block_iq4_nlLi2EXadL_ZL19vec_dot_iq4_nl_q8_1PKvPK10block_q8_1RKiEEEvS4_S4_PT_PS8_iiii.num_vgpr, 47
	.set _ZL9moe_vec_qIN3c108BFloat16ELi32ELi4E12block_iq4_nlLi2EXadL_ZL19vec_dot_iq4_nl_q8_1PKvPK10block_q8_1RKiEEEvS4_S4_PT_PS8_iiii.num_agpr, 0
	.set _ZL9moe_vec_qIN3c108BFloat16ELi32ELi4E12block_iq4_nlLi2EXadL_ZL19vec_dot_iq4_nl_q8_1PKvPK10block_q8_1RKiEEEvS4_S4_PT_PS8_iiii.numbered_sgpr, 20
	.set _ZL9moe_vec_qIN3c108BFloat16ELi32ELi4E12block_iq4_nlLi2EXadL_ZL19vec_dot_iq4_nl_q8_1PKvPK10block_q8_1RKiEEEvS4_S4_PT_PS8_iiii.num_named_barrier, 0
	.set _ZL9moe_vec_qIN3c108BFloat16ELi32ELi4E12block_iq4_nlLi2EXadL_ZL19vec_dot_iq4_nl_q8_1PKvPK10block_q8_1RKiEEEvS4_S4_PT_PS8_iiii.private_seg_size, 0
	.set _ZL9moe_vec_qIN3c108BFloat16ELi32ELi4E12block_iq4_nlLi2EXadL_ZL19vec_dot_iq4_nl_q8_1PKvPK10block_q8_1RKiEEEvS4_S4_PT_PS8_iiii.uses_vcc, 1
	.set _ZL9moe_vec_qIN3c108BFloat16ELi32ELi4E12block_iq4_nlLi2EXadL_ZL19vec_dot_iq4_nl_q8_1PKvPK10block_q8_1RKiEEEvS4_S4_PT_PS8_iiii.uses_flat_scratch, 0
	.set _ZL9moe_vec_qIN3c108BFloat16ELi32ELi4E12block_iq4_nlLi2EXadL_ZL19vec_dot_iq4_nl_q8_1PKvPK10block_q8_1RKiEEEvS4_S4_PT_PS8_iiii.has_dyn_sized_stack, 0
	.set _ZL9moe_vec_qIN3c108BFloat16ELi32ELi4E12block_iq4_nlLi2EXadL_ZL19vec_dot_iq4_nl_q8_1PKvPK10block_q8_1RKiEEEvS4_S4_PT_PS8_iiii.has_recursion, 0
	.set _ZL9moe_vec_qIN3c108BFloat16ELi32ELi4E12block_iq4_nlLi2EXadL_ZL19vec_dot_iq4_nl_q8_1PKvPK10block_q8_1RKiEEEvS4_S4_PT_PS8_iiii.has_indirect_call, 0
	.section	.AMDGPU.csdata,"",@progbits
; Kernel info:
; codeLenInByte = 1204
; TotalNumSgprs: 26
; NumVgprs: 47
; NumAgprs: 0
; TotalNumVgprs: 47
; ScratchSize: 0
; MemoryBound: 0
; FloatMode: 240
; IeeeMode: 1
; LDSByteSize: 0 bytes/workgroup (compile time only)
; SGPRBlocks: 3
; VGPRBlocks: 5
; NumSGPRsForWavesPerEU: 26
; NumVGPRsForWavesPerEU: 47
; AccumOffset: 48
; Occupancy: 8
; WaveLimiterHint : 1
; COMPUTE_PGM_RSRC2:SCRATCH_EN: 0
; COMPUTE_PGM_RSRC2:USER_SGPR: 2
; COMPUTE_PGM_RSRC2:TRAP_HANDLER: 0
; COMPUTE_PGM_RSRC2:TGID_X_EN: 1
; COMPUTE_PGM_RSRC2:TGID_Y_EN: 0
; COMPUTE_PGM_RSRC2:TGID_Z_EN: 1
; COMPUTE_PGM_RSRC2:TIDIG_COMP_CNT: 1
; COMPUTE_PGM_RSRC3_GFX90A:ACCUM_OFFSET: 11
; COMPUTE_PGM_RSRC3_GFX90A:TG_SPLIT: 0
	.section	.text._ZL9moe_vec_qIN3c108BFloat16ELi256ELi8E11block_iq3_sLi1EXadL_ZL18vec_dot_iq3_s_q8_1PKvPK10block_q8_1RKiEEEvS4_S4_PT_PS8_iiii,"axG",@progbits,_ZL9moe_vec_qIN3c108BFloat16ELi256ELi8E11block_iq3_sLi1EXadL_ZL18vec_dot_iq3_s_q8_1PKvPK10block_q8_1RKiEEEvS4_S4_PT_PS8_iiii,comdat
	.globl	_ZL9moe_vec_qIN3c108BFloat16ELi256ELi8E11block_iq3_sLi1EXadL_ZL18vec_dot_iq3_s_q8_1PKvPK10block_q8_1RKiEEEvS4_S4_PT_PS8_iiii ; -- Begin function _ZL9moe_vec_qIN3c108BFloat16ELi256ELi8E11block_iq3_sLi1EXadL_ZL18vec_dot_iq3_s_q8_1PKvPK10block_q8_1RKiEEEvS4_S4_PT_PS8_iiii
	.p2align	8
	.type	_ZL9moe_vec_qIN3c108BFloat16ELi256ELi8E11block_iq3_sLi1EXadL_ZL18vec_dot_iq3_s_q8_1PKvPK10block_q8_1RKiEEEvS4_S4_PT_PS8_iiii,@function
_ZL9moe_vec_qIN3c108BFloat16ELi256ELi8E11block_iq3_sLi1EXadL_ZL18vec_dot_iq3_s_q8_1PKvPK10block_q8_1RKiEEEvS4_S4_PT_PS8_iiii: ; @_ZL9moe_vec_qIN3c108BFloat16ELi256ELi8E11block_iq3_sLi1EXadL_ZL18vec_dot_iq3_s_q8_1PKvPK10block_q8_1RKiEEEvS4_S4_PT_PS8_iiii
; %bb.0:
	s_mov_b32 s8, s3
	s_load_dword s3, s[0:1], 0x3c
	s_load_dwordx4 s[4:7], s[0:1], 0x20
	v_bfe_u32 v1, v0, 10, 10
	s_waitcnt lgkmcnt(0)
	s_lshr_b32 s3, s3, 16
	s_mul_i32 s2, s2, s3
	v_add_u32_e32 v24, s2, v1
	v_cmp_gt_u32_e32 vcc, s6, v24
	s_and_saveexec_b64 s[2:3], vcc
	s_cbranch_execz .LBB290_9
; %bb.1:
	s_load_dwordx2 s[2:3], s[0:1], 0x10
	s_ashr_i32 s9, s5, 31
	s_lshr_b32 s9, s9, 24
	s_add_i32 s5, s5, s9
	s_ashr_i32 s5, s5, 8
	v_bfe_u32 v26, v0, 3, 7
	v_and_b32_e32 v25, 0x3ff, v0
	v_cmp_gt_u32_e32 vcc, s5, v26
	v_mov_b32_e32 v1, 0
	s_and_saveexec_b64 s[10:11], vcc
	s_cbranch_execz .LBB290_7
; %bb.2:
	s_load_dwordx2 s[12:13], s[0:1], 0x18
	v_cvt_f32_u32_e32 v0, s4
	s_mov_b32 s9, 0
	s_lshl_b64 s[14:15], s[8:9], 2
	v_and_b32_e32 v2, 7, v25
	s_waitcnt lgkmcnt(0)
	s_add_u32 s12, s12, s14
	v_rcp_iflag_f32_e32 v0, v0
	s_addc_u32 s13, s13, s15
	s_load_dword s14, s[12:13], 0x0
	s_load_dwordx4 s[16:19], s[0:1], 0x0
	s_mul_i32 s0, s5, s6
	v_mul_f32_e32 v0, 0x4f7ffffe, v0
	v_cvt_u32_f32_e32 v0, v0
	s_waitcnt lgkmcnt(0)
	s_mul_i32 s0, s0, s14
	s_mul_hi_i32 s1, s0, 0x6e
	s_mulk_i32 s0, 0x6e
	s_add_u32 s14, s16, s0
	s_addc_u32 s15, s17, s1
	s_sub_i32 s0, 0, s4
	v_readfirstlane_b32 s1, v0
	s_mul_i32 s0, s0, s1
	s_mul_hi_u32 s0, s1, s0
	s_add_i32 s1, s1, s0
	s_mul_hi_u32 s0, s8, s1
	s_mul_i32 s1, s0, s4
	s_sub_i32 s1, s8, s1
	s_add_i32 s13, s0, 1
	s_sub_i32 s16, s1, s4
	s_cmp_ge_u32 s1, s4
	s_cselect_b32 s0, s13, s0
	s_cselect_b32 s1, s16, s1
	s_add_i32 s13, s0, 1
	s_cmp_ge_u32 s1, s4
	s_cselect_b32 s0, s13, s0
	s_mul_i32 s0, s0, s7
	s_mov_b32 s1, s9
	s_lshl_b64 s[0:1], s[0:1], 2
	s_add_u32 s0, s18, s0
	s_addc_u32 s1, s19, s1
	v_mov_b32_e32 v1, 0
	v_lshlrev_b32_e32 v8, 2, v25
	v_lshlrev_b32_e32 v0, 3, v2
	v_mad_u64_u32 v[4:5], s[0:1], v2, 36, s[0:1]
	v_and_b32_e32 v28, 4, v8
	v_lshlrev_b32_e32 v8, 2, v2
	v_mov_b32_e32 v9, v1
	v_mul_lo_u32 v27, v24, s5
	v_lshl_add_u64 v[8:9], s[14:15], 0, v[8:9]
	s_mov_b64 s[0:1], 0x4a
	v_lshl_add_u64 v[10:11], s[14:15], 0, v[0:1]
	s_movk_i32 s12, 0x6e
	v_mov_b32_e32 v3, v1
	v_bfe_u32 v6, v25, 1, 2
	v_mov_b32_e32 v7, v1
	v_lshl_add_u64 v[8:9], v[8:9], 0, s[0:1]
	v_add_u32_e32 v29, v26, v27
	v_lshl_add_u64 v[10:11], v[10:11], 0, 2
	s_mov_b64 s[0:1], 0
	v_mov_b64_e32 v[12:13], s[14:15]
	s_movk_i32 s4, 0x100
	s_mov_b32 s7, 0x1010101
	s_mov_b32 s9, 0x8040201
	;; [unrolled: 1-line block ×4, first 2 shown]
	v_mov_b32_e32 v0, 0xff0000
	s_movk_i32 s15, 0x200
	v_mov_b32_e32 v30, 0xff00
	v_mov_b32_e32 v31, 0xff
	s_mov_b32 s16, 0xc060c00
.LBB290_3:                              ; =>This Loop Header: Depth=1
                                        ;     Child Loop BB290_4 Depth 2
	v_add_u32_e32 v14, v26, v27
	v_mad_i64_i32 v[16:17], s[18:19], v14, s12, v[12:13]
	v_lshl_add_u64 v[14:15], v[16:17], 0, v[2:3]
	global_load_ubyte v33, v[14:15], off offset:66
	v_lshlrev_b32_e32 v14, 3, v26
	v_mad_i64_i32 v[14:15], s[18:19], v14, 36, v[4:5]
	v_mad_i64_i32 v[18:19], s[18:19], v29, s12, v[8:9]
	;; [unrolled: 1-line block ×3, first 2 shown]
	v_lshl_add_u64 v[22:23], v[14:15], 0, 4
	s_mov_b32 s17, 7
	v_mov_b32_e32 v32, 0
.LBB290_4:                              ;   Parent Loop BB290_3 Depth=1
                                        ; =>  This Inner Loop Header: Depth=2
	global_load_ushort v34, v[20:21], off
	global_load_ubyte v36, v[18:19], off
	s_add_i32 s20, s17, 1
	s_waitcnt vmcnt(2)
	v_lshlrev_b32_e32 v37, s20, v33
	v_lshlrev_b32_e32 v35, s17, v33
	s_getpc_b64 s[18:19]
	s_add_u32 s18, s18, _ZL10iq3xs_grid@rel32@lo+4
	s_addc_u32 s19, s19, _ZL10iq3xs_grid@rel32@hi+12
	s_add_i32 s17, s17, -2
	v_lshl_add_u64 v[18:19], v[18:19], 0, 1
	v_lshl_add_u64 v[20:21], v[20:21], 0, 2
	s_cmp_lg_u32 s17, -1
	s_waitcnt vmcnt(1)
	v_and_b32_e32 v38, 0xff, v34
	v_lshrrev_b16_e32 v34, 8, v34
	v_and_or_b32 v37, v37, s4, v38
	v_and_or_b32 v34, v35, s4, v34
	v_lshlrev_b32_e32 v37, 2, v37
	v_lshlrev_b32_e32 v38, 2, v34
	global_load_dword v39, v37, s[18:19]
	global_load_dword v40, v38, s[18:19]
	global_load_dwordx2 v[34:35], v[22:23], off
	s_waitcnt vmcnt(3)
	v_and_b32_e32 v37, 15, v36
	v_lshrrev_b16_e32 v36, 4, v36
	v_mul_lo_u32 v36, v36, s7
	v_bitop3_b32 v38, v36, s9, v36 bitop3:0xc
	v_bitop3_b32 v41, v36, s14, v36 bitop3:0xc
	v_cmp_gt_u32_e32 vcc, s13, v38
	v_and_b32_e32 v37, 0xffff, v37
	v_bitop3_b32 v42, v36, s15, v36 bitop3:0xc
	v_cndmask_b32_e64 v38, 0, -1, vcc
	v_cmp_eq_u32_e32 vcc, 0, v41
	v_mul_lo_u32 v37, v37, s7
	v_bitop3_b32 v36, v36, 1, v36 bitop3:0xc
	v_cndmask_b32_e32 v41, 0, v0, vcc
	v_cmp_eq_u32_e32 vcc, 0, v42
	v_bitop3_b32 v43, v37, s9, v37 bitop3:0xc
	v_bitop3_b32 v44, v37, s14, v37 bitop3:0xc
	v_cndmask_b32_e32 v42, 0, v30, vcc
	v_cmp_eq_u32_e32 vcc, 0, v36
	v_bitop3_b32 v45, v37, s15, v37 bitop3:0xc
	v_bitop3_b32 v37, v37, 1, v37 bitop3:0xc
	v_cndmask_b32_e32 v36, 0, v31, vcc
	v_cmp_gt_u32_e32 vcc, s13, v43
	v_lshlrev_b32_e32 v38, 24, v38
	v_or3_b32 v46, v42, v36, v41
	v_cndmask_b32_e64 v43, 0, -1, vcc
	v_cmp_eq_u32_e32 vcc, 0, v44
	v_lshlrev_b32_e32 v43, 24, v43
	v_lshl_add_u64 v[22:23], v[22:23], 0, 8
	v_cndmask_b32_e32 v44, 0, v0, vcc
	v_cmp_eq_u32_e32 vcc, 0, v45
	s_waitcnt vmcnt(1)
	v_bitop3_b32 v40, v46, v40, v38 bitop3:0x36
	v_cndmask_b32_e32 v45, 0, v30, vcc
	v_cmp_eq_u32_e32 vcc, 0, v37
	v_sub_u32_e32 v38, v40, v38
	v_sub_u32_e32 v36, v40, v36
	v_cndmask_b32_e32 v37, 0, v31, vcc
	v_or3_b32 v47, v45, v37, v44
	v_bitop3_b32 v39, v47, v39, v43 bitop3:0x36
	v_sub_u32_e32 v43, v39, v43
	v_sub_u32_e32 v44, v39, v44
	;; [unrolled: 1-line block ×6, first 2 shown]
	v_and_b32_e32 v40, 0xff000000, v43
	v_and_b32_e32 v42, 0xff00, v45
	v_perm_b32 v37, v44, v37, s16
	v_and_b32_e32 v38, 0xff000000, v38
	v_and_b32_e32 v41, 0xff00, v41
	v_perm_b32 v36, v39, v36, s16
	v_or3_b32 v37, v37, v40, v42
	v_or3_b32 v36, v36, v38, v41
	s_waitcnt vmcnt(0)
	v_dot4c_i32_i8_e32 v32, v37, v34
	v_dot4c_i32_i8_e32 v32, v36, v35
	s_cbranch_scc1 .LBB290_4
; %bb.5:                                ;   in Loop: Header=BB290_3 Depth=1
	global_load_ushort v18, v[16:17], off
	v_lshl_add_u64 v[16:17], v[16:17], 0, v[6:7]
	global_load_dword v19, v[14:15], off
	global_load_ubyte v20, v[16:17], off offset:106
	v_cvt_f32_i32_e32 v14, v32
	v_add_u32_e32 v26, 8, v26
	v_cmp_le_u32_e32 vcc, s5, v26
	s_or_b64 s[0:1], vcc, s[0:1]
	v_add_u32_e32 v29, 8, v29
	s_waitcnt vmcnt(2)
	v_cvt_f32_f16_e32 v15, v18
	s_waitcnt vmcnt(1)
	v_cvt_f32_f16_e32 v16, v19
	s_waitcnt vmcnt(0)
	v_bfe_u32 v17, v20, v28, 4
	v_cvt_f32_ubyte0_e32 v17, v17
	v_add_f32_e32 v17, 0.5, v17
	v_mul_f32_e32 v15, v17, v15
	v_mul_f32_e32 v15, v15, v16
	v_mul_f32_e32 v15, 0.5, v15
	v_fmac_f32_e32 v1, v15, v14
	s_andn2_b64 exec, exec, s[0:1]
	s_cbranch_execnz .LBB290_3
; %bb.6:
	s_or_b64 exec, exec, s[0:1]
.LBB290_7:
	s_or_b64 exec, exec, s[10:11]
	v_mbcnt_lo_u32_b32 v0, -1, 0
	v_mbcnt_hi_u32_b32 v2, -1, v0
	v_and_b32_e32 v0, 64, v2
	v_add_u32_e32 v3, 64, v0
	v_xor_b32_e32 v0, 32, v2
	v_cmp_lt_i32_e32 vcc, v0, v3
	v_xor_b32_e32 v4, 16, v2
	s_nop 0
	v_cndmask_b32_e32 v0, v2, v0, vcc
	v_lshlrev_b32_e32 v0, 2, v0
	ds_bpermute_b32 v0, v0, v1
	v_cmp_lt_i32_e32 vcc, v4, v3
	s_waitcnt lgkmcnt(0)
	v_add_f32_e32 v0, v1, v0
	v_cndmask_b32_e32 v1, v2, v4, vcc
	v_lshlrev_b32_e32 v1, 2, v1
	ds_bpermute_b32 v1, v1, v0
	v_xor_b32_e32 v4, 8, v2
	v_cmp_lt_i32_e32 vcc, v4, v3
	s_waitcnt lgkmcnt(0)
	v_add_f32_e32 v0, v0, v1
	v_cndmask_b32_e32 v1, v2, v4, vcc
	v_lshlrev_b32_e32 v1, 2, v1
	ds_bpermute_b32 v1, v1, v0
	v_xor_b32_e32 v4, 4, v2
	;; [unrolled: 7-line block ×4, first 2 shown]
	v_cmp_lt_i32_e32 vcc, v4, v3
	s_waitcnt lgkmcnt(0)
	v_add_f32_e32 v0, v0, v1
	v_cndmask_b32_e32 v1, v2, v4, vcc
	v_lshlrev_b32_e32 v1, 2, v1
	ds_bpermute_b32 v1, v1, v0
	v_cmp_eq_u32_e32 vcc, 0, v25
	s_and_b64 exec, exec, vcc
	s_cbranch_execz .LBB290_9
; %bb.8:
	s_waitcnt lgkmcnt(0)
	v_add_f32_e32 v0, v0, v1
	v_bfe_u32 v1, v0, 16, 1
	s_movk_i32 s0, 0x7fff
	v_add3_u32 v1, v0, v1, s0
	v_cmp_o_f32_e32 vcc, v0, v0
	v_mov_b32_e32 v0, 0x7fc0
	s_mul_i32 s0, s6, s8
	v_cndmask_b32_sdwa v2, v0, v1, vcc dst_sel:DWORD dst_unused:UNUSED_PAD src0_sel:DWORD src1_sel:WORD_1
	v_add_u32_e32 v0, s0, v24
	v_mov_b32_e32 v1, 0
	v_lshl_add_u64 v[0:1], v[0:1], 1, s[2:3]
	global_store_short v[0:1], v2, off
.LBB290_9:
	s_endpgm
	.section	.rodata,"a",@progbits
	.p2align	6, 0x0
	.amdhsa_kernel _ZL9moe_vec_qIN3c108BFloat16ELi256ELi8E11block_iq3_sLi1EXadL_ZL18vec_dot_iq3_s_q8_1PKvPK10block_q8_1RKiEEEvS4_S4_PT_PS8_iiii
		.amdhsa_group_segment_fixed_size 0
		.amdhsa_private_segment_fixed_size 0
		.amdhsa_kernarg_size 304
		.amdhsa_user_sgpr_count 2
		.amdhsa_user_sgpr_dispatch_ptr 0
		.amdhsa_user_sgpr_queue_ptr 0
		.amdhsa_user_sgpr_kernarg_segment_ptr 1
		.amdhsa_user_sgpr_dispatch_id 0
		.amdhsa_user_sgpr_kernarg_preload_length 0
		.amdhsa_user_sgpr_kernarg_preload_offset 0
		.amdhsa_user_sgpr_private_segment_size 0
		.amdhsa_uses_dynamic_stack 0
		.amdhsa_enable_private_segment 0
		.amdhsa_system_sgpr_workgroup_id_x 1
		.amdhsa_system_sgpr_workgroup_id_y 0
		.amdhsa_system_sgpr_workgroup_id_z 1
		.amdhsa_system_sgpr_workgroup_info 0
		.amdhsa_system_vgpr_workitem_id 1
		.amdhsa_next_free_vgpr 48
		.amdhsa_next_free_sgpr 21
		.amdhsa_accum_offset 48
		.amdhsa_reserve_vcc 1
		.amdhsa_float_round_mode_32 0
		.amdhsa_float_round_mode_16_64 0
		.amdhsa_float_denorm_mode_32 3
		.amdhsa_float_denorm_mode_16_64 3
		.amdhsa_dx10_clamp 1
		.amdhsa_ieee_mode 1
		.amdhsa_fp16_overflow 0
		.amdhsa_tg_split 0
		.amdhsa_exception_fp_ieee_invalid_op 0
		.amdhsa_exception_fp_denorm_src 0
		.amdhsa_exception_fp_ieee_div_zero 0
		.amdhsa_exception_fp_ieee_overflow 0
		.amdhsa_exception_fp_ieee_underflow 0
		.amdhsa_exception_fp_ieee_inexact 0
		.amdhsa_exception_int_div_zero 0
	.end_amdhsa_kernel
	.section	.text._ZL9moe_vec_qIN3c108BFloat16ELi256ELi8E11block_iq3_sLi1EXadL_ZL18vec_dot_iq3_s_q8_1PKvPK10block_q8_1RKiEEEvS4_S4_PT_PS8_iiii,"axG",@progbits,_ZL9moe_vec_qIN3c108BFloat16ELi256ELi8E11block_iq3_sLi1EXadL_ZL18vec_dot_iq3_s_q8_1PKvPK10block_q8_1RKiEEEvS4_S4_PT_PS8_iiii,comdat
.Lfunc_end290:
	.size	_ZL9moe_vec_qIN3c108BFloat16ELi256ELi8E11block_iq3_sLi1EXadL_ZL18vec_dot_iq3_s_q8_1PKvPK10block_q8_1RKiEEEvS4_S4_PT_PS8_iiii, .Lfunc_end290-_ZL9moe_vec_qIN3c108BFloat16ELi256ELi8E11block_iq3_sLi1EXadL_ZL18vec_dot_iq3_s_q8_1PKvPK10block_q8_1RKiEEEvS4_S4_PT_PS8_iiii
                                        ; -- End function
	.set _ZL9moe_vec_qIN3c108BFloat16ELi256ELi8E11block_iq3_sLi1EXadL_ZL18vec_dot_iq3_s_q8_1PKvPK10block_q8_1RKiEEEvS4_S4_PT_PS8_iiii.num_vgpr, 48
	.set _ZL9moe_vec_qIN3c108BFloat16ELi256ELi8E11block_iq3_sLi1EXadL_ZL18vec_dot_iq3_s_q8_1PKvPK10block_q8_1RKiEEEvS4_S4_PT_PS8_iiii.num_agpr, 0
	.set _ZL9moe_vec_qIN3c108BFloat16ELi256ELi8E11block_iq3_sLi1EXadL_ZL18vec_dot_iq3_s_q8_1PKvPK10block_q8_1RKiEEEvS4_S4_PT_PS8_iiii.numbered_sgpr, 21
	.set _ZL9moe_vec_qIN3c108BFloat16ELi256ELi8E11block_iq3_sLi1EXadL_ZL18vec_dot_iq3_s_q8_1PKvPK10block_q8_1RKiEEEvS4_S4_PT_PS8_iiii.num_named_barrier, 0
	.set _ZL9moe_vec_qIN3c108BFloat16ELi256ELi8E11block_iq3_sLi1EXadL_ZL18vec_dot_iq3_s_q8_1PKvPK10block_q8_1RKiEEEvS4_S4_PT_PS8_iiii.private_seg_size, 0
	.set _ZL9moe_vec_qIN3c108BFloat16ELi256ELi8E11block_iq3_sLi1EXadL_ZL18vec_dot_iq3_s_q8_1PKvPK10block_q8_1RKiEEEvS4_S4_PT_PS8_iiii.uses_vcc, 1
	.set _ZL9moe_vec_qIN3c108BFloat16ELi256ELi8E11block_iq3_sLi1EXadL_ZL18vec_dot_iq3_s_q8_1PKvPK10block_q8_1RKiEEEvS4_S4_PT_PS8_iiii.uses_flat_scratch, 0
	.set _ZL9moe_vec_qIN3c108BFloat16ELi256ELi8E11block_iq3_sLi1EXadL_ZL18vec_dot_iq3_s_q8_1PKvPK10block_q8_1RKiEEEvS4_S4_PT_PS8_iiii.has_dyn_sized_stack, 0
	.set _ZL9moe_vec_qIN3c108BFloat16ELi256ELi8E11block_iq3_sLi1EXadL_ZL18vec_dot_iq3_s_q8_1PKvPK10block_q8_1RKiEEEvS4_S4_PT_PS8_iiii.has_recursion, 0
	.set _ZL9moe_vec_qIN3c108BFloat16ELi256ELi8E11block_iq3_sLi1EXadL_ZL18vec_dot_iq3_s_q8_1PKvPK10block_q8_1RKiEEEvS4_S4_PT_PS8_iiii.has_indirect_call, 0
	.section	.AMDGPU.csdata,"",@progbits
; Kernel info:
; codeLenInByte = 1452
; TotalNumSgprs: 27
; NumVgprs: 48
; NumAgprs: 0
; TotalNumVgprs: 48
; ScratchSize: 0
; MemoryBound: 0
; FloatMode: 240
; IeeeMode: 1
; LDSByteSize: 0 bytes/workgroup (compile time only)
; SGPRBlocks: 3
; VGPRBlocks: 5
; NumSGPRsForWavesPerEU: 27
; NumVGPRsForWavesPerEU: 48
; AccumOffset: 48
; Occupancy: 8
; WaveLimiterHint : 1
; COMPUTE_PGM_RSRC2:SCRATCH_EN: 0
; COMPUTE_PGM_RSRC2:USER_SGPR: 2
; COMPUTE_PGM_RSRC2:TRAP_HANDLER: 0
; COMPUTE_PGM_RSRC2:TGID_X_EN: 1
; COMPUTE_PGM_RSRC2:TGID_Y_EN: 0
; COMPUTE_PGM_RSRC2:TGID_Z_EN: 1
; COMPUTE_PGM_RSRC2:TIDIG_COMP_CNT: 1
; COMPUTE_PGM_RSRC3_GFX90A:ACCUM_OFFSET: 11
; COMPUTE_PGM_RSRC3_GFX90A:TG_SPLIT: 0
	.section	.text._ZL9moe_vec_qIN3c108BFloat16ELi256ELi8E11block_iq2_sLi1EXadL_ZL18vec_dot_iq2_s_q8_1PKvPK10block_q8_1RKiEEEvS4_S4_PT_PS8_iiii,"axG",@progbits,_ZL9moe_vec_qIN3c108BFloat16ELi256ELi8E11block_iq2_sLi1EXadL_ZL18vec_dot_iq2_s_q8_1PKvPK10block_q8_1RKiEEEvS4_S4_PT_PS8_iiii,comdat
	.globl	_ZL9moe_vec_qIN3c108BFloat16ELi256ELi8E11block_iq2_sLi1EXadL_ZL18vec_dot_iq2_s_q8_1PKvPK10block_q8_1RKiEEEvS4_S4_PT_PS8_iiii ; -- Begin function _ZL9moe_vec_qIN3c108BFloat16ELi256ELi8E11block_iq2_sLi1EXadL_ZL18vec_dot_iq2_s_q8_1PKvPK10block_q8_1RKiEEEvS4_S4_PT_PS8_iiii
	.p2align	8
	.type	_ZL9moe_vec_qIN3c108BFloat16ELi256ELi8E11block_iq2_sLi1EXadL_ZL18vec_dot_iq2_s_q8_1PKvPK10block_q8_1RKiEEEvS4_S4_PT_PS8_iiii,@function
_ZL9moe_vec_qIN3c108BFloat16ELi256ELi8E11block_iq2_sLi1EXadL_ZL18vec_dot_iq2_s_q8_1PKvPK10block_q8_1RKiEEEvS4_S4_PT_PS8_iiii: ; @_ZL9moe_vec_qIN3c108BFloat16ELi256ELi8E11block_iq2_sLi1EXadL_ZL18vec_dot_iq2_s_q8_1PKvPK10block_q8_1RKiEEEvS4_S4_PT_PS8_iiii
; %bb.0:
	s_mov_b32 s8, s3
	s_load_dword s3, s[0:1], 0x3c
	s_load_dwordx4 s[4:7], s[0:1], 0x20
	v_bfe_u32 v1, v0, 10, 10
	s_waitcnt lgkmcnt(0)
	s_lshr_b32 s3, s3, 16
	s_mul_i32 s2, s2, s3
	v_add_u32_e32 v14, s2, v1
	v_cmp_gt_u32_e32 vcc, s6, v14
	s_and_saveexec_b64 s[2:3], vcc
	s_cbranch_execz .LBB291_7
; %bb.1:
	s_load_dwordx2 s[2:3], s[0:1], 0x10
	s_ashr_i32 s9, s5, 31
	s_lshr_b32 s9, s9, 24
	s_add_i32 s5, s5, s9
	s_ashr_i32 s12, s5, 8
	v_bfe_u32 v16, v0, 3, 7
	v_and_b32_e32 v15, 0x3ff, v0
	v_cmp_gt_u32_e32 vcc, s12, v16
	v_mov_b32_e32 v17, 0
	s_and_saveexec_b64 s[10:11], vcc
	s_cbranch_execz .LBB291_5
; %bb.2:
	s_load_dwordx2 s[14:15], s[0:1], 0x18
	v_cvt_f32_u32_e32 v0, s4
	s_mov_b32 s9, 0
	s_lshl_b64 s[16:17], s[8:9], 2
	v_mov_b32_e32 v1, 0
	s_waitcnt lgkmcnt(0)
	s_add_u32 s14, s14, s16
	v_rcp_iflag_f32_e32 v0, v0
	s_addc_u32 s15, s15, s17
	s_load_dword s5, s[14:15], 0x0
	s_load_dwordx4 s[16:19], s[0:1], 0x0
	s_mul_i32 s0, s12, s6
	v_mul_f32_e32 v0, 0x4f7ffffe, v0
	v_cvt_u32_f32_e32 v0, v0
	s_waitcnt lgkmcnt(0)
	s_mul_i32 s0, s0, s5
	s_mul_hi_i32 s1, s0, 0x52
	s_mulk_i32 s0, 0x52
	s_add_u32 s0, s16, s0
	s_addc_u32 s1, s17, s1
	s_sub_i32 s5, 0, s4
	v_readfirstlane_b32 s14, v0
	s_mul_i32 s5, s5, s14
	s_mul_hi_u32 s5, s14, s5
	s_add_i32 s14, s14, s5
	s_mul_hi_u32 s5, s8, s14
	s_mul_i32 s14, s5, s4
	s_sub_i32 s14, s8, s14
	s_add_i32 s15, s5, 1
	s_sub_i32 s16, s14, s4
	s_cmp_ge_u32 s14, s4
	s_cselect_b32 s5, s15, s5
	s_cselect_b32 s14, s16, s14
	s_add_i32 s15, s5, 1
	s_cmp_ge_u32 s14, s4
	s_cselect_b32 s4, s15, s5
	s_mul_i32 s4, s4, s7
	s_mov_b32 s5, s9
	s_lshl_b64 s[4:5], s[4:5], 2
	s_add_u32 s4, s18, s4
	s_addc_u32 s5, s19, s5
	v_and_b32_e32 v0, 7, v15
	v_mad_u64_u32 v[2:3], s[4:5], v0, 36, s[4:5]
	s_movk_i32 s13, 0x52
	v_mul_lo_u32 v18, v14, s12
	v_lshlrev_b32_e32 v4, 2, v0
	v_mov_b32_e32 v5, v1
	v_lshlrev_b32_e32 v19, 3, v16
	s_mov_b64 s[4:5], 0
	v_mov_b64_e32 v[6:7], s[0:1]
	s_movk_i32 s7, 0x300
	s_mov_b32 s9, 0x1010101
	s_mov_b32 s14, 0x8040201
	;; [unrolled: 1-line block ×4, first 2 shown]
	v_mov_b32_e32 v20, 0xff0000
	s_movk_i32 s17, 0x200
	v_mov_b32_e32 v21, 0xff00
	v_mov_b32_e32 v22, 0xff
	s_mov_b32 s18, 0xc060c00
	v_mov_b32_e32 v23, 4
	v_mov_b32_e32 v17, v1
.LBB291_3:                              ; =>This Inner Loop Header: Depth=1
	v_add_u32_e32 v8, v18, v16
	v_mad_i64_i32 v[8:9], s[20:21], v8, s13, v[6:7]
	v_lshl_add_u64 v[10:11], v[8:9], 0, v[4:5]
	v_lshl_add_u64 v[12:13], v[8:9], 0, v[0:1]
	global_load_ushort v28, v[8:9], off
	global_load_dword v24, v[10:11], off offset:2
	global_load_ubyte v25, v[12:13], off offset:66
	global_load_dword v26, v[10:11], off offset:34
	global_load_ubyte v27, v[12:13], off offset:74
	s_getpc_b64 s[0:1]
	s_add_u32 s0, s0, _ZL9iq2s_grid@rel32@lo+4
	s_addc_u32 s1, s1, _ZL9iq2s_grid@rel32@hi+12
	v_add_u32_e32 v16, 8, v16
	s_waitcnt vmcnt(4)
	v_cvt_f32_f16_e32 v28, v28
	s_waitcnt vmcnt(3)
	v_and_b32_e32 v9, 0xff, v24
	s_waitcnt vmcnt(2)
	v_lshlrev_b32_e32 v10, 8, v25
	s_waitcnt vmcnt(1)
	v_and_b32_e32 v12, 15, v26
	v_lshrrev_b32_e32 v8, 24, v24
	v_bfe_u32 v29, v24, 8, 8
	v_bfe_u32 v24, v24, 16, 8
	v_lshlrev_b32_e32 v32, 4, v25
	v_and_or_b32 v9, v10, s7, v9
	v_mul_lo_u32 v10, v12, s9
	v_lshrrev_b16_e32 v13, 4, v26
	v_lshlrev_b32_e32 v30, 6, v25
	v_bfe_u32 v33, v26, 16, 4
	v_and_or_b32 v24, v32, s7, v24
	v_bitop3_b32 v32, v10, s14, v10 bitop3:0xc
	v_bfe_u32 v31, v26, 8, 4
	v_bfe_u32 v34, v26, 20, 4
	v_lshlrev_b32_e32 v25, 2, v25
	v_and_b32_e32 v12, 15, v13
	v_and_or_b32 v13, v30, s7, v29
	v_mul_lo_u32 v30, v33, s9
	v_bitop3_b32 v33, v10, s16, v10 bitop3:0xc
	v_cmp_gt_u32_e32 vcc, s15, v32
	v_lshrrev_b32_e32 v11, 8, v26
	v_mul_lo_u32 v29, v31, s9
	v_mul_lo_u32 v31, v34, s9
	v_and_or_b32 v8, v25, s7, v8
	v_lshlrev_b32_e32 v9, 3, v9
	v_bitop3_b32 v34, v10, s17, v10 bitop3:0xc
	v_cndmask_b32_e64 v32, 0, -1, vcc
	v_cmp_eq_u32_e32 vcc, 0, v33
	v_lshrrev_b16_e32 v11, 4, v11
	v_bitop3_b32 v10, v10, 1, v10 bitop3:0xc
	v_lshlrev_b32_e32 v13, 3, v13
	v_lshlrev_b32_e32 v45, 3, v8
	v_cndmask_b32_e32 v33, 0, v20, vcc
	global_load_dwordx2 v[8:9], v9, s[0:1]
	v_cmp_eq_u32_e32 vcc, 0, v34
	v_bfe_u32 v35, v26, 24, 4
	v_and_b32_e32 v12, 0xffff, v12
	v_and_b32_e32 v38, 15, v11
	v_lshlrev_b32_e32 v24, 3, v24
	v_cndmask_b32_e32 v34, 0, v21, vcc
	v_cmp_eq_u32_e32 vcc, 0, v10
	global_load_dwordx2 v[10:11], v13, s[0:1]
	v_mul_lo_u32 v25, v35, s9
	v_mul_lo_u32 v54, v12, s9
	global_load_dwordx2 v[12:13], v24, s[0:1]
	v_bitop3_b32 v46, v25, s14, v25 bitop3:0xc
	v_bitop3_b32 v47, v25, s16, v25 bitop3:0xc
	;; [unrolled: 1-line block ×4, first 2 shown]
	global_load_dwordx2 v[24:25], v45, s[0:1]
	v_bitop3_b32 v35, v29, s14, v29 bitop3:0xc
	v_bitop3_b32 v36, v29, s16, v29 bitop3:0xc
	v_cndmask_b32_e32 v53, 0, v22, vcc
	v_cmp_gt_u32_e32 vcc, s15, v35
	v_bitop3_b32 v37, v29, s17, v29 bitop3:0xc
	v_bitop3_b32 v29, v29, 1, v29 bitop3:0xc
	v_cndmask_b32_e64 v35, 0, -1, vcc
	v_cmp_eq_u32_e32 vcc, 0, v36
	v_bitop3_b32 v39, v30, s14, v30 bitop3:0xc
	v_bitop3_b32 v40, v30, s16, v30 bitop3:0xc
	v_cndmask_b32_e32 v36, 0, v20, vcc
	v_cmp_eq_u32_e32 vcc, 0, v37
	v_bitop3_b32 v41, v30, s17, v30 bitop3:0xc
	v_bitop3_b32 v30, v30, 1, v30 bitop3:0xc
	v_cndmask_b32_e32 v37, 0, v21, vcc
	;; [unrolled: 4-line block ×3, first 2 shown]
	v_cmp_gt_u32_e32 vcc, s15, v39
	v_bitop3_b32 v44, v31, s17, v31 bitop3:0xc
	v_bitop3_b32 v31, v31, 1, v31 bitop3:0xc
	v_cndmask_b32_e64 v39, 0, -1, vcc
	v_cmp_eq_u32_e32 vcc, 0, v40
	v_lshrrev_b16_sdwa v26, v23, v26 dst_sel:DWORD dst_unused:UNUSED_PAD src0_sel:DWORD src1_sel:BYTE_3
	v_mul_lo_u32 v26, v26, s9
	v_cndmask_b32_e32 v40, 0, v20, vcc
	v_cmp_eq_u32_e32 vcc, 0, v41
	v_bitop3_b32 v50, v26, s14, v26 bitop3:0xc
	v_bitop3_b32 v51, v26, s16, v26 bitop3:0xc
	v_cndmask_b32_e32 v41, 0, v21, vcc
	v_cmp_eq_u32_e32 vcc, 0, v30
	v_bitop3_b32 v52, v26, s17, v26 bitop3:0xc
	v_bitop3_b32 v26, v26, 1, v26 bitop3:0xc
	v_cndmask_b32_e32 v30, 0, v22, vcc
	v_cmp_gt_u32_e32 vcc, s15, v42
	v_bitop3_b32 v55, v54, s14, v54 bitop3:0xc
	v_and_b32_e32 v38, 0xffff, v38
	v_cndmask_b32_e64 v42, 0, -1, vcc
	v_cmp_eq_u32_e32 vcc, 0, v43
	v_bitop3_b32 v56, v54, s16, v54 bitop3:0xc
	v_bitop3_b32 v57, v54, s17, v54 bitop3:0xc
	v_cndmask_b32_e32 v43, 0, v20, vcc
	v_cmp_eq_u32_e32 vcc, 0, v44
	v_mul_lo_u32 v38, v38, s9
	v_bitop3_b32 v54, v54, 1, v54 bitop3:0xc
	v_cndmask_b32_e32 v44, 0, v21, vcc
	v_cmp_eq_u32_e32 vcc, 0, v31
	v_bitop3_b32 v59, v38, s14, v38 bitop3:0xc
	v_bitop3_b32 v60, v38, s16, v38 bitop3:0xc
	v_cndmask_b32_e32 v31, 0, v22, vcc
	v_cmp_gt_u32_e32 vcc, s15, v46
	v_cmp_gt_u32_e64 s[0:1], s15, v59
	v_bitop3_b32 v61, v38, s17, v38 bitop3:0xc
	v_cndmask_b32_e64 v45, 0, -1, vcc
	v_cmp_eq_u32_e32 vcc, 0, v47
	v_bitop3_b32 v38, v38, 1, v38 bitop3:0xc
	v_cndmask_b32_e64 v59, 0, -1, s[0:1]
	v_cndmask_b32_e32 v46, 0, v20, vcc
	v_cmp_eq_u32_e32 vcc, 0, v48
	v_cmp_eq_u32_e64 s[0:1], 0, v60
	v_lshlrev_b32_e32 v32, 24, v32
	v_cndmask_b32_e32 v47, 0, v21, vcc
	v_cmp_eq_u32_e32 vcc, 0, v49
	v_cndmask_b32_e64 v60, 0, v20, s[0:1]
	v_cmp_eq_u32_e64 s[0:1], 0, v61
	v_cndmask_b32_e32 v48, 0, v22, vcc
	v_cmp_gt_u32_e32 vcc, s15, v50
	v_lshlrev_b32_e32 v35, 24, v35
	v_or3_b32 v58, v37, v29, v36
	v_cndmask_b32_e64 v49, 0, -1, vcc
	v_cmp_eq_u32_e32 vcc, 0, v51
	v_cndmask_b32_e64 v61, 0, v21, s[0:1]
	v_lshlrev_b32_e32 v39, 24, v39
	v_cndmask_b32_e32 v50, 0, v20, vcc
	v_cmp_eq_u32_e32 vcc, 0, v52
	v_or3_b32 v52, v34, v53, v33
	s_waitcnt vmcnt(3)
	v_bitop3_b32 v8, v52, v8, v32 bitop3:0x36
	v_cndmask_b32_e32 v51, 0, v21, vcc
	v_cmp_eq_u32_e32 vcc, 0, v26
	v_lshlrev_b32_e32 v52, 24, v59
	s_waitcnt vmcnt(2)
	v_bitop3_b32 v10, v58, v10, v35 bitop3:0x36
	v_cndmask_b32_e32 v26, 0, v22, vcc
	v_cmp_gt_u32_e32 vcc, s15, v55
	v_or3_b32 v58, v41, v30, v40
	v_lshlrev_b32_e32 v42, 24, v42
	v_cndmask_b32_e64 v55, 0, -1, vcc
	v_cmp_eq_u32_e32 vcc, 0, v56
	v_lshlrev_b32_e32 v55, 24, v55
	v_lshlrev_b32_e32 v45, 24, v45
	v_cndmask_b32_e32 v56, 0, v20, vcc
	v_cmp_eq_u32_e32 vcc, 0, v57
	s_waitcnt vmcnt(1)
	v_bitop3_b32 v58, v58, v12, v39 bitop3:0x36
	v_or3_b32 v12, v47, v48, v46
	v_cndmask_b32_e32 v57, 0, v21, vcc
	v_cmp_eq_u32_e32 vcc, 0, v54
	v_lshlrev_b32_e32 v49, 24, v49
	s_waitcnt vmcnt(0)
	v_bitop3_b32 v62, v12, v24, v45 bitop3:0x36
	v_cndmask_b32_e32 v54, 0, v22, vcc
	v_cmp_eq_u32_e32 vcc, 0, v38
	v_or3_b32 v38, v57, v54, v56
	v_bitop3_b32 v9, v38, v9, v55 bitop3:0x36
	v_cndmask_b32_e32 v38, 0, v22, vcc
	v_or3_b32 v59, v61, v38, v60
	v_bitop3_b32 v11, v59, v11, v52 bitop3:0x36
	v_or3_b32 v59, v44, v31, v43
	v_bitop3_b32 v59, v59, v13, v42 bitop3:0x36
	v_or3_b32 v13, v51, v26, v50
	v_lshrrev_b16_e32 v12, 4, v27
	v_and_b32_e32 v24, 15, v27
	v_bitop3_b32 v63, v13, v25, v49 bitop3:0x36
	v_cvt_f32_ubyte0_e32 v13, v12
	v_cvt_f32_ubyte0_e32 v12, v24
	v_mad_i64_i32 v[24:25], s[0:1], v19, 36, v[2:3]
	v_sub_u32_e32 v32, v8, v32
	v_sub_u32_e32 v33, v8, v33
	;; [unrolled: 1-line block ×16, first 2 shown]
	global_load_dwordx4 v[8:11], v[24:25], off
	v_sub_u32_e32 v39, v58, v39
	v_sub_u32_e32 v40, v58, v40
	;; [unrolled: 1-line block ×8, first 2 shown]
	global_load_dword v58, v[24:25], off offset:32
	v_sub_u32_e32 v59, v63, v26
	global_load_dwordx4 v[24:27], v[24:25], off offset:16
	v_sub_u32_e32 v45, v62, v45
	v_sub_u32_e32 v46, v62, v46
	;; [unrolled: 1-line block ×4, first 2 shown]
	v_perm_b32 v33, v33, v53, s18
	v_perm_b32 v29, v36, v29, s18
	v_and_b32_e32 v39, 0xff000000, v39
	v_and_b32_e32 v41, 0xff00, v41
	v_perm_b32 v30, v40, v30, s18
	v_and_b32_e32 v34, 0xff00, v34
	v_sub_u32_e32 v47, v62, v47
	v_mov_b32_e32 v53, 0
	v_perm_b32 v54, v56, v54, s18
	v_mov_b32_e32 v56, 0
	v_and_b32_e32 v40, 0xff000000, v42
	v_and_b32_e32 v42, 0xff00, v44
	v_perm_b32 v31, v43, v31, s18
	v_and_b32_e32 v43, 0xff000000, v45
	v_perm_b32 v45, v46, v48, s18
	v_and_b32_e32 v46, 0xff000000, v49
	v_and_b32_e32 v49, 0xff00, v57
	v_or3_b32 v30, v30, v39, v41
	v_sub_u32_e32 v50, v63, v50
	v_sub_u32_e32 v51, v63, v51
	v_and_b32_e32 v35, 0xff000000, v35
	v_and_b32_e32 v44, 0xff00, v47
	;; [unrolled: 1-line block ×3, first 2 shown]
	v_or3_b32 v31, v31, v40, v42
	v_and_b32_e32 v52, 0xff000000, v52
	v_perm_b32 v38, v60, v38, s18
	v_and_b32_e32 v47, 0xff00, v51
	v_perm_b32 v48, v50, v59, s18
	v_and_b32_e32 v50, 0xff00, v61
	v_or3_b32 v39, v45, v43, v44
	v_or3_b32 v29, v29, v35, v37
	v_or3_b32 v40, v48, v46, v47
	v_cmp_le_u32_e32 vcc, s12, v16
	v_add_u32_e32 v19, 64, v19
	s_or_b64 s[4:5], vcc, s[4:5]
	s_waitcnt vmcnt(2)
	v_cvt_f32_f16_e32 v36, v8
	v_and_b32_e32 v8, 0xff000000, v32
	v_and_b32_e32 v32, 0xff000000, v55
	v_or3_b32 v8, v33, v8, v34
	v_or3_b32 v32, v54, v32, v49
	v_dot4c_i32_i8_e32 v56, v8, v9
	v_dot4c_i32_i8_e32 v56, v32, v10
	v_or3_b32 v33, v38, v52, v50
	v_dot4c_i32_i8_e32 v56, v29, v11
	v_pk_add_f32 v[10:11], v[12:13], 0.5 op_sel_hi:[1,0]
	v_mul_f32_e32 v12, v28, v36
	s_waitcnt vmcnt(0)
	v_dot4c_i32_i8_e32 v53, v30, v25
	v_dot4c_i32_i8_e32 v53, v31, v26
	;; [unrolled: 1-line block ×5, first 2 shown]
	v_mul_f32_e32 v12, 0x3e800000, v12
	s_nop 0
	v_cvt_f32_i32_e32 v9, v53
	v_cvt_f32_i32_e32 v8, v56
	v_pk_mul_f32 v[8:9], v[10:11], v[8:9]
	s_nop 0
	v_add_f32_e32 v8, v8, v9
	v_fmac_f32_e32 v17, v12, v8
	s_andn2_b64 exec, exec, s[4:5]
	s_cbranch_execnz .LBB291_3
; %bb.4:
	s_or_b64 exec, exec, s[4:5]
.LBB291_5:
	s_or_b64 exec, exec, s[10:11]
	v_mbcnt_lo_u32_b32 v0, -1, 0
	v_mbcnt_hi_u32_b32 v1, -1, v0
	v_and_b32_e32 v0, 64, v1
	v_add_u32_e32 v2, 64, v0
	v_xor_b32_e32 v0, 32, v1
	v_cmp_lt_i32_e32 vcc, v0, v2
	v_xor_b32_e32 v3, 16, v1
	v_xor_b32_e32 v4, 8, v1
	v_cndmask_b32_e32 v0, v1, v0, vcc
	v_lshlrev_b32_e32 v0, 2, v0
	ds_bpermute_b32 v0, v0, v17
	v_cmp_lt_i32_e32 vcc, v3, v2
	s_waitcnt lgkmcnt(0)
	v_add_f32_e32 v0, v17, v0
	v_cndmask_b32_e32 v3, v1, v3, vcc
	v_lshlrev_b32_e32 v3, 2, v3
	ds_bpermute_b32 v3, v3, v0
	v_cmp_lt_i32_e32 vcc, v4, v2
	s_waitcnt lgkmcnt(0)
	v_add_f32_e32 v0, v0, v3
	v_cndmask_b32_e32 v3, v1, v4, vcc
	v_lshlrev_b32_e32 v3, 2, v3
	ds_bpermute_b32 v3, v3, v0
	v_xor_b32_e32 v4, 4, v1
	v_cmp_lt_i32_e32 vcc, v4, v2
	s_waitcnt lgkmcnt(0)
	v_add_f32_e32 v0, v0, v3
	v_cndmask_b32_e32 v3, v1, v4, vcc
	v_lshlrev_b32_e32 v3, 2, v3
	ds_bpermute_b32 v3, v3, v0
	v_xor_b32_e32 v4, 2, v1
	;; [unrolled: 7-line block ×3, first 2 shown]
	v_cmp_lt_i32_e32 vcc, v4, v2
	s_waitcnt lgkmcnt(0)
	v_add_f32_e32 v0, v0, v3
	v_cndmask_b32_e32 v1, v1, v4, vcc
	v_lshlrev_b32_e32 v1, 2, v1
	ds_bpermute_b32 v1, v1, v0
	v_cmp_eq_u32_e32 vcc, 0, v15
	s_and_b64 exec, exec, vcc
	s_cbranch_execz .LBB291_7
; %bb.6:
	s_waitcnt lgkmcnt(0)
	v_add_f32_e32 v0, v0, v1
	v_bfe_u32 v1, v0, 16, 1
	s_movk_i32 s0, 0x7fff
	v_add3_u32 v1, v0, v1, s0
	v_cmp_o_f32_e32 vcc, v0, v0
	v_mov_b32_e32 v0, 0x7fc0
	s_mul_i32 s0, s6, s8
	v_cndmask_b32_sdwa v2, v0, v1, vcc dst_sel:DWORD dst_unused:UNUSED_PAD src0_sel:DWORD src1_sel:WORD_1
	v_add_u32_e32 v0, s0, v14
	v_mov_b32_e32 v1, 0
	v_lshl_add_u64 v[0:1], v[0:1], 1, s[2:3]
	global_store_short v[0:1], v2, off
.LBB291_7:
	s_endpgm
	.section	.rodata,"a",@progbits
	.p2align	6, 0x0
	.amdhsa_kernel _ZL9moe_vec_qIN3c108BFloat16ELi256ELi8E11block_iq2_sLi1EXadL_ZL18vec_dot_iq2_s_q8_1PKvPK10block_q8_1RKiEEEvS4_S4_PT_PS8_iiii
		.amdhsa_group_segment_fixed_size 0
		.amdhsa_private_segment_fixed_size 0
		.amdhsa_kernarg_size 304
		.amdhsa_user_sgpr_count 2
		.amdhsa_user_sgpr_dispatch_ptr 0
		.amdhsa_user_sgpr_queue_ptr 0
		.amdhsa_user_sgpr_kernarg_segment_ptr 1
		.amdhsa_user_sgpr_dispatch_id 0
		.amdhsa_user_sgpr_kernarg_preload_length 0
		.amdhsa_user_sgpr_kernarg_preload_offset 0
		.amdhsa_user_sgpr_private_segment_size 0
		.amdhsa_uses_dynamic_stack 0
		.amdhsa_enable_private_segment 0
		.amdhsa_system_sgpr_workgroup_id_x 1
		.amdhsa_system_sgpr_workgroup_id_y 0
		.amdhsa_system_sgpr_workgroup_id_z 1
		.amdhsa_system_sgpr_workgroup_info 0
		.amdhsa_system_vgpr_workitem_id 1
		.amdhsa_next_free_vgpr 64
		.amdhsa_next_free_sgpr 22
		.amdhsa_accum_offset 64
		.amdhsa_reserve_vcc 1
		.amdhsa_float_round_mode_32 0
		.amdhsa_float_round_mode_16_64 0
		.amdhsa_float_denorm_mode_32 3
		.amdhsa_float_denorm_mode_16_64 3
		.amdhsa_dx10_clamp 1
		.amdhsa_ieee_mode 1
		.amdhsa_fp16_overflow 0
		.amdhsa_tg_split 0
		.amdhsa_exception_fp_ieee_invalid_op 0
		.amdhsa_exception_fp_denorm_src 0
		.amdhsa_exception_fp_ieee_div_zero 0
		.amdhsa_exception_fp_ieee_overflow 0
		.amdhsa_exception_fp_ieee_underflow 0
		.amdhsa_exception_fp_ieee_inexact 0
		.amdhsa_exception_int_div_zero 0
	.end_amdhsa_kernel
	.section	.text._ZL9moe_vec_qIN3c108BFloat16ELi256ELi8E11block_iq2_sLi1EXadL_ZL18vec_dot_iq2_s_q8_1PKvPK10block_q8_1RKiEEEvS4_S4_PT_PS8_iiii,"axG",@progbits,_ZL9moe_vec_qIN3c108BFloat16ELi256ELi8E11block_iq2_sLi1EXadL_ZL18vec_dot_iq2_s_q8_1PKvPK10block_q8_1RKiEEEvS4_S4_PT_PS8_iiii,comdat
.Lfunc_end291:
	.size	_ZL9moe_vec_qIN3c108BFloat16ELi256ELi8E11block_iq2_sLi1EXadL_ZL18vec_dot_iq2_s_q8_1PKvPK10block_q8_1RKiEEEvS4_S4_PT_PS8_iiii, .Lfunc_end291-_ZL9moe_vec_qIN3c108BFloat16ELi256ELi8E11block_iq2_sLi1EXadL_ZL18vec_dot_iq2_s_q8_1PKvPK10block_q8_1RKiEEEvS4_S4_PT_PS8_iiii
                                        ; -- End function
	.set _ZL9moe_vec_qIN3c108BFloat16ELi256ELi8E11block_iq2_sLi1EXadL_ZL18vec_dot_iq2_s_q8_1PKvPK10block_q8_1RKiEEEvS4_S4_PT_PS8_iiii.num_vgpr, 64
	.set _ZL9moe_vec_qIN3c108BFloat16ELi256ELi8E11block_iq2_sLi1EXadL_ZL18vec_dot_iq2_s_q8_1PKvPK10block_q8_1RKiEEEvS4_S4_PT_PS8_iiii.num_agpr, 0
	.set _ZL9moe_vec_qIN3c108BFloat16ELi256ELi8E11block_iq2_sLi1EXadL_ZL18vec_dot_iq2_s_q8_1PKvPK10block_q8_1RKiEEEvS4_S4_PT_PS8_iiii.numbered_sgpr, 22
	.set _ZL9moe_vec_qIN3c108BFloat16ELi256ELi8E11block_iq2_sLi1EXadL_ZL18vec_dot_iq2_s_q8_1PKvPK10block_q8_1RKiEEEvS4_S4_PT_PS8_iiii.num_named_barrier, 0
	.set _ZL9moe_vec_qIN3c108BFloat16ELi256ELi8E11block_iq2_sLi1EXadL_ZL18vec_dot_iq2_s_q8_1PKvPK10block_q8_1RKiEEEvS4_S4_PT_PS8_iiii.private_seg_size, 0
	.set _ZL9moe_vec_qIN3c108BFloat16ELi256ELi8E11block_iq2_sLi1EXadL_ZL18vec_dot_iq2_s_q8_1PKvPK10block_q8_1RKiEEEvS4_S4_PT_PS8_iiii.uses_vcc, 1
	.set _ZL9moe_vec_qIN3c108BFloat16ELi256ELi8E11block_iq2_sLi1EXadL_ZL18vec_dot_iq2_s_q8_1PKvPK10block_q8_1RKiEEEvS4_S4_PT_PS8_iiii.uses_flat_scratch, 0
	.set _ZL9moe_vec_qIN3c108BFloat16ELi256ELi8E11block_iq2_sLi1EXadL_ZL18vec_dot_iq2_s_q8_1PKvPK10block_q8_1RKiEEEvS4_S4_PT_PS8_iiii.has_dyn_sized_stack, 0
	.set _ZL9moe_vec_qIN3c108BFloat16ELi256ELi8E11block_iq2_sLi1EXadL_ZL18vec_dot_iq2_s_q8_1PKvPK10block_q8_1RKiEEEvS4_S4_PT_PS8_iiii.has_recursion, 0
	.set _ZL9moe_vec_qIN3c108BFloat16ELi256ELi8E11block_iq2_sLi1EXadL_ZL18vec_dot_iq2_s_q8_1PKvPK10block_q8_1RKiEEEvS4_S4_PT_PS8_iiii.has_indirect_call, 0
	.section	.AMDGPU.csdata,"",@progbits
; Kernel info:
; codeLenInByte = 2404
; TotalNumSgprs: 28
; NumVgprs: 64
; NumAgprs: 0
; TotalNumVgprs: 64
; ScratchSize: 0
; MemoryBound: 0
; FloatMode: 240
; IeeeMode: 1
; LDSByteSize: 0 bytes/workgroup (compile time only)
; SGPRBlocks: 3
; VGPRBlocks: 7
; NumSGPRsForWavesPerEU: 28
; NumVGPRsForWavesPerEU: 64
; AccumOffset: 64
; Occupancy: 8
; WaveLimiterHint : 1
; COMPUTE_PGM_RSRC2:SCRATCH_EN: 0
; COMPUTE_PGM_RSRC2:USER_SGPR: 2
; COMPUTE_PGM_RSRC2:TRAP_HANDLER: 0
; COMPUTE_PGM_RSRC2:TGID_X_EN: 1
; COMPUTE_PGM_RSRC2:TGID_Y_EN: 0
; COMPUTE_PGM_RSRC2:TGID_Z_EN: 1
; COMPUTE_PGM_RSRC2:TIDIG_COMP_CNT: 1
; COMPUTE_PGM_RSRC3_GFX90A:ACCUM_OFFSET: 15
; COMPUTE_PGM_RSRC3_GFX90A:TG_SPLIT: 0
	.section	.text._ZL9moe_vec_qIN3c108BFloat16ELi256ELi8E12block_iq4_xsLi1EXadL_ZL19vec_dot_iq4_xs_q8_1PKvPK10block_q8_1RKiEEEvS4_S4_PT_PS8_iiii,"axG",@progbits,_ZL9moe_vec_qIN3c108BFloat16ELi256ELi8E12block_iq4_xsLi1EXadL_ZL19vec_dot_iq4_xs_q8_1PKvPK10block_q8_1RKiEEEvS4_S4_PT_PS8_iiii,comdat
	.globl	_ZL9moe_vec_qIN3c108BFloat16ELi256ELi8E12block_iq4_xsLi1EXadL_ZL19vec_dot_iq4_xs_q8_1PKvPK10block_q8_1RKiEEEvS4_S4_PT_PS8_iiii ; -- Begin function _ZL9moe_vec_qIN3c108BFloat16ELi256ELi8E12block_iq4_xsLi1EXadL_ZL19vec_dot_iq4_xs_q8_1PKvPK10block_q8_1RKiEEEvS4_S4_PT_PS8_iiii
	.p2align	8
	.type	_ZL9moe_vec_qIN3c108BFloat16ELi256ELi8E12block_iq4_xsLi1EXadL_ZL19vec_dot_iq4_xs_q8_1PKvPK10block_q8_1RKiEEEvS4_S4_PT_PS8_iiii,@function
_ZL9moe_vec_qIN3c108BFloat16ELi256ELi8E12block_iq4_xsLi1EXadL_ZL19vec_dot_iq4_xs_q8_1PKvPK10block_q8_1RKiEEEvS4_S4_PT_PS8_iiii: ; @_ZL9moe_vec_qIN3c108BFloat16ELi256ELi8E12block_iq4_xsLi1EXadL_ZL19vec_dot_iq4_xs_q8_1PKvPK10block_q8_1RKiEEEvS4_S4_PT_PS8_iiii
; %bb.0:
	s_mov_b32 s8, s3
	s_load_dword s3, s[0:1], 0x3c
	s_load_dwordx4 s[4:7], s[0:1], 0x20
	v_bfe_u32 v1, v0, 10, 10
	s_waitcnt lgkmcnt(0)
	s_lshr_b32 s3, s3, 16
	s_mul_i32 s2, s2, s3
	v_add_u32_e32 v18, s2, v1
	v_cmp_gt_u32_e32 vcc, s6, v18
	s_and_saveexec_b64 s[2:3], vcc
	s_cbranch_execz .LBB292_7
; %bb.1:
	s_load_dwordx2 s[2:3], s[0:1], 0x10
	s_ashr_i32 s9, s5, 31
	s_lshr_b32 s9, s9, 24
	s_add_i32 s5, s5, s9
	s_ashr_i32 s12, s5, 8
	v_bfe_u32 v20, v0, 3, 7
	v_and_b32_e32 v19, 0x3ff, v0
	v_cmp_gt_u32_e32 vcc, s12, v20
	v_mov_b32_e32 v21, 0
	s_and_saveexec_b64 s[10:11], vcc
	s_cbranch_execz .LBB292_5
; %bb.2:
	s_load_dwordx2 s[14:15], s[0:1], 0x18
	v_cvt_f32_u32_e32 v0, s4
	s_mov_b32 s9, 0
	s_lshl_b64 s[16:17], s[8:9], 2
	v_and_b32_e32 v1, 7, v19
	s_waitcnt lgkmcnt(0)
	s_add_u32 s14, s14, s16
	v_rcp_iflag_f32_e32 v0, v0
	s_addc_u32 s15, s15, s17
	s_load_dword s5, s[14:15], 0x0
	s_load_dwordx4 s[16:19], s[0:1], 0x0
	s_mul_i32 s0, s12, s6
	v_mul_f32_e32 v0, 0x4f7ffffe, v0
	v_cvt_u32_f32_e32 v0, v0
	s_waitcnt lgkmcnt(0)
	s_mul_i32 s0, s0, s5
	s_mul_hi_i32 s1, s0, 0x88
	s_mulk_i32 s0, 0x88
	s_add_u32 s14, s16, s0
	s_addc_u32 s15, s17, s1
	s_sub_i32 s0, 0, s4
	v_readfirstlane_b32 s1, v0
	s_mul_i32 s0, s0, s1
	s_mul_hi_u32 s0, s1, s0
	s_add_i32 s1, s1, s0
	s_mul_hi_u32 s0, s8, s1
	s_mul_i32 s1, s0, s4
	s_sub_i32 s1, s8, s1
	s_add_i32 s5, s0, 1
	s_sub_i32 s16, s1, s4
	s_cmp_ge_u32 s1, s4
	s_cselect_b32 s0, s5, s0
	s_cselect_b32 s1, s16, s1
	s_add_i32 s5, s0, 1
	s_cmp_ge_u32 s1, s4
	s_cselect_b32 s0, s5, s0
	s_mul_i32 s0, s0, s7
	s_mov_b32 s1, s9
	s_lshl_b64 s[0:1], s[0:1], 2
	s_add_u32 s0, s18, s0
	s_addc_u32 s1, s19, s1
	v_mad_u64_u32 v[8:9], s[0:1], v1, 36, s[0:1]
	v_lshlrev_b32_e32 v0, 2, v1
	v_mov_b32_e32 v11, 0
	v_lshlrev_b32_e32 v2, 2, v19
	s_movk_i32 s13, 0x88
	v_mul_lo_u32 v22, v18, s12
	v_bfe_u32 v10, v19, 1, 2
	v_and_b32_e32 v23, 4, v2
	v_lshlrev_b32_e32 v24, 1, v1
	v_lshlrev_b32_e32 v25, 3, v20
	s_mov_b64 s[0:1], 0
	v_mov_b64_e32 v[12:13], s[14:15]
	v_lshlrev_b32_e32 v14, 2, v0
	v_mov_b32_e32 v15, v11
	v_mov_b32_e32 v21, v11
.LBB292_3:                              ; =>This Inner Loop Header: Depth=1
	v_add_u32_e32 v0, v22, v20
	v_mad_i64_i32 v[26:27], s[14:15], v0, s13, v[12:13]
	v_lshl_add_u64 v[28:29], v[26:27], 0, v[14:15]
	v_mad_i64_i32 v[16:17], s[4:5], v25, 36, v[8:9]
	v_lshl_add_u64 v[30:31], v[26:27], 0, v[10:11]
	global_load_dwordx4 v[4:7], v[28:29], off offset:8
	global_load_ubyte v32, v[30:31], off offset:4
	global_load_dwordx4 v[0:3], v[16:17], off
	s_getpc_b64 s[4:5]
	s_add_u32 s4, s4, _ZL13kvalues_iq4nl@rel32@lo+4
	s_addc_u32 s5, s5, _ZL13kvalues_iq4nl@rel32@hi+12
	v_add_u32_e32 v20, 8, v20
	v_cmp_le_u32_e32 vcc, s12, v20
	v_add_u32_e32 v25, 64, v25
	s_or_b64 s[0:1], vcc, s[0:1]
	s_waitcnt vmcnt(2)
	v_bfe_u32 v28, v4, 24, 4
	v_and_b32_e32 v29, 15, v4
	v_bfe_u32 v30, v4, 8, 4
	v_bfe_u32 v31, v4, 16, 4
	v_bfe_u32 v33, v4, 20, 4
	v_lshrrev_b32_e32 v34, 28, v4
	v_bfe_u32 v35, v4, 4, 4
	v_bfe_u32 v36, v4, 12, 4
	v_bfe_u32 v37, v5, 24, 4
	v_and_b32_e32 v38, 15, v5
	v_bfe_u32 v39, v5, 8, 4
	v_bfe_u32 v40, v5, 16, 4
	v_bfe_u32 v41, v5, 20, 4
	v_lshrrev_b32_e32 v42, 28, v5
	v_bfe_u32 v43, v5, 4, 4
	v_bfe_u32 v44, v5, 12, 4
	;; [unrolled: 8-line block ×3, first 2 shown]
	v_bfe_u32 v53, v7, 24, 4
	v_bfe_u32 v55, v7, 8, 4
	;; [unrolled: 1-line block ×4, first 2 shown]
	v_lshrrev_b32_e32 v58, 28, v7
	v_and_b32_e32 v54, 15, v7
	v_bfe_u32 v59, v7, 4, 4
	v_bfe_u32 v60, v7, 12, 4
	global_load_dwordx4 v[4:7], v[16:17], off offset:16
	global_load_dword v61, v[26:27], off
	global_load_ubyte v62, v29, s[4:5]
	global_load_ubyte v63, v30, s[4:5]
                                        ; kill: killed $vgpr29
                                        ; kill: killed $vgpr30
                                        ; kill: killed $vgpr26_vgpr27
	s_nop 0
	global_load_ubyte v26, v31, s[4:5]
	global_load_ubyte v27, v35, s[4:5]
	;; [unrolled: 1-line block ×4, first 2 shown]
                                        ; kill: killed $vgpr33
                                        ; kill: killed $vgpr36
                                        ; kill: killed $vgpr31
                                        ; kill: killed $vgpr35
	s_nop 0
	global_load_ubyte v31, v34, s[4:5]
	global_load_ubyte v33, v28, s[4:5]
	;; [unrolled: 1-line block ×4, first 2 shown]
                                        ; kill: killed $vgpr39
                                        ; kill: killed $vgpr38
                                        ; kill: killed $vgpr28
                                        ; kill: killed $vgpr34
	s_nop 0
	global_load_ubyte v28, v40, s[4:5]
	global_load_ubyte v34, v43, s[4:5]
	;; [unrolled: 1-line block ×4, first 2 shown]
                                        ; kill: killed $vgpr44
                                        ; kill: killed $vgpr43
                                        ; kill: killed $vgpr41
                                        ; kill: killed $vgpr40
	s_nop 0
	global_load_ubyte v40, v42, s[4:5]
	global_load_ubyte v41, v37, s[4:5]
	;; [unrolled: 1-line block ×4, first 2 shown]
                                        ; kill: killed $vgpr47
                                        ; kill: killed $vgpr46
                                        ; kill: killed $vgpr42
                                        ; kill: killed $vgpr37
	s_nop 0
	global_load_ubyte v37, v48, s[4:5]
	global_load_ubyte v42, v51, s[4:5]
	;; [unrolled: 1-line block ×4, first 2 shown]
                                        ; kill: killed $vgpr52
                                        ; kill: killed $vgpr51
                                        ; kill: killed $vgpr49
                                        ; kill: killed $vgpr48
	s_nop 0
	global_load_ubyte v48, v50, s[4:5]
	global_load_ubyte v49, v45, s[4:5]
	;; [unrolled: 1-line block ×4, first 2 shown]
                                        ; kill: killed $vgpr50
                                        ; kill: killed $vgpr45
                                        ; kill: killed $vgpr56
                                        ; kill: killed $vgpr55
	s_nop 0
	global_load_ubyte v45, v60, s[4:5]
	global_load_ubyte v50, v57, s[4:5]
	;; [unrolled: 1-line block ×4, first 2 shown]
                                        ; kill: killed $vgpr58
                                        ; kill: killed $vgpr60
                                        ; kill: killed $vgpr53
                                        ; kill: killed $vgpr57
	s_nop 0
	global_load_ubyte v53, v54, s[4:5]
	global_load_ubyte v57, v59, s[4:5]
	global_load_dword v58, v[16:17], off offset:32
	v_mov_b32_e32 v16, 0
	v_mov_b32_e32 v17, 0
	s_waitcnt vmcnt(36)
	v_bfe_u32 v32, v32, v23, 4
	s_waitcnt vmcnt(35)
	v_cvt_f32_f16_e32 v0, v0
	s_waitcnt vmcnt(33)
	v_lshrrev_b32_sdwa v54, v24, v61 dst_sel:DWORD dst_unused:UNUSED_PAD src0_sel:DWORD src1_sel:WORD_1
	v_lshlrev_b32_e32 v54, 4, v54
	s_waitcnt vmcnt(31)
	v_lshl_or_b32 v59, v63, 8, v62
	v_and_or_b32 v32, v54, 48, v32
	v_subrev_u32_e32 v32, 32, v32
	v_cvt_f32_f16_e32 v54, v61
	s_waitcnt vmcnt(30)
	v_lshlrev_b32_e32 v26, 16, v26
	v_cvt_f32_i32_e32 v32, v32
	s_waitcnt vmcnt(28)
	v_lshl_or_b32 v27, v29, 8, v27
	s_waitcnt vmcnt(27)
	v_lshlrev_b32_e32 v30, 16, v30
	s_waitcnt vmcnt(26)
	v_lshlrev_b32_e32 v31, 24, v31
	;; [unrolled: 2-line block ×3, first 2 shown]
	v_or3_b32 v26, v59, v26, v33
	s_waitcnt vmcnt(23)
	v_lshl_or_b32 v35, v36, 8, v35
	v_or3_b32 v27, v27, v30, v31
	v_dot4c_i32_i8_e32 v16, v26, v1
	v_dot4c_i32_i8_e32 v17, v27, v5
	s_waitcnt vmcnt(22)
	v_lshlrev_b32_e32 v28, 16, v28
	s_waitcnt vmcnt(20)
	v_lshl_or_b32 v34, v38, 8, v34
	s_waitcnt vmcnt(19)
	v_lshlrev_b32_e32 v39, 16, v39
	s_waitcnt vmcnt(18)
	v_lshlrev_b32_e32 v36, 24, v40
	;; [unrolled: 2-line block ×3, first 2 shown]
	v_or3_b32 v28, v35, v28, v29
	s_waitcnt vmcnt(15)
	v_lshl_or_b32 v40, v44, 8, v43
	v_or3_b32 v29, v34, v39, v36
	v_dot4c_i32_i8_e32 v16, v28, v2
	v_dot4c_i32_i8_e32 v17, v29, v6
	v_mul_f32_e32 v2, v54, v32
	s_waitcnt vmcnt(14)
	v_lshlrev_b32_e32 v37, 16, v37
	v_mul_f32_e32 v0, v2, v0
	s_waitcnt vmcnt(12)
	v_lshl_or_b32 v42, v46, 8, v42
	s_waitcnt vmcnt(11)
	v_lshlrev_b32_e32 v43, 16, v47
	s_waitcnt vmcnt(10)
	v_lshlrev_b32_e32 v41, 24, v48
	s_waitcnt vmcnt(9)
	v_lshlrev_b32_e32 v38, 24, v49
	v_or3_b32 v30, v40, v37, v38
	s_waitcnt vmcnt(7)
	v_lshlrev_b32_e32 v46, 16, v52
	v_or3_b32 v31, v42, v43, v41
	v_dot4c_i32_i8_e32 v16, v30, v3
	v_dot4c_i32_i8_e32 v17, v31, v7
	s_waitcnt vmcnt(5)
	v_lshlrev_b32_e32 v49, 16, v50
	s_waitcnt vmcnt(4)
	v_lshlrev_b32_e32 v48, 24, v55
	;; [unrolled: 2-line block ×3, first 2 shown]
	s_waitcnt vmcnt(2)
	v_lshl_or_b32 v47, v51, 8, v53
	s_waitcnt vmcnt(1)
	v_lshl_or_b32 v45, v45, 8, v57
	v_or3_b32 v33, v47, v46, v44
	v_or3_b32 v34, v45, v49, v48
	v_dot4c_i32_i8_e32 v16, v33, v4
	s_waitcnt vmcnt(0)
	v_dot4c_i32_i8_e32 v17, v34, v58
	s_nop 2
	v_add_u32_e32 v1, v17, v16
	v_cvt_f32_i32_e32 v1, v1
	v_fmac_f32_e32 v21, v0, v1
	s_andn2_b64 exec, exec, s[0:1]
	s_cbranch_execnz .LBB292_3
; %bb.4:
	s_or_b64 exec, exec, s[0:1]
.LBB292_5:
	s_or_b64 exec, exec, s[10:11]
	v_mbcnt_lo_u32_b32 v0, -1, 0
	v_mbcnt_hi_u32_b32 v1, -1, v0
	v_and_b32_e32 v0, 64, v1
	v_add_u32_e32 v2, 64, v0
	v_xor_b32_e32 v0, 32, v1
	v_cmp_lt_i32_e32 vcc, v0, v2
	v_xor_b32_e32 v3, 16, v1
	v_xor_b32_e32 v4, 8, v1
	v_cndmask_b32_e32 v0, v1, v0, vcc
	v_lshlrev_b32_e32 v0, 2, v0
	ds_bpermute_b32 v0, v0, v21
	v_cmp_lt_i32_e32 vcc, v3, v2
	s_waitcnt lgkmcnt(0)
	v_add_f32_e32 v0, v21, v0
	v_cndmask_b32_e32 v3, v1, v3, vcc
	v_lshlrev_b32_e32 v3, 2, v3
	ds_bpermute_b32 v3, v3, v0
	v_cmp_lt_i32_e32 vcc, v4, v2
	s_waitcnt lgkmcnt(0)
	v_add_f32_e32 v0, v0, v3
	v_cndmask_b32_e32 v3, v1, v4, vcc
	v_lshlrev_b32_e32 v3, 2, v3
	ds_bpermute_b32 v3, v3, v0
	v_xor_b32_e32 v4, 4, v1
	v_cmp_lt_i32_e32 vcc, v4, v2
	s_waitcnt lgkmcnt(0)
	v_add_f32_e32 v0, v0, v3
	v_cndmask_b32_e32 v3, v1, v4, vcc
	v_lshlrev_b32_e32 v3, 2, v3
	ds_bpermute_b32 v3, v3, v0
	v_xor_b32_e32 v4, 2, v1
	;; [unrolled: 7-line block ×3, first 2 shown]
	v_cmp_lt_i32_e32 vcc, v4, v2
	s_waitcnt lgkmcnt(0)
	v_add_f32_e32 v0, v0, v3
	v_cndmask_b32_e32 v1, v1, v4, vcc
	v_lshlrev_b32_e32 v1, 2, v1
	ds_bpermute_b32 v1, v1, v0
	v_cmp_eq_u32_e32 vcc, 0, v19
	s_and_b64 exec, exec, vcc
	s_cbranch_execz .LBB292_7
; %bb.6:
	s_waitcnt lgkmcnt(0)
	v_add_f32_e32 v0, v0, v1
	v_bfe_u32 v1, v0, 16, 1
	s_movk_i32 s0, 0x7fff
	v_add3_u32 v1, v0, v1, s0
	v_cmp_o_f32_e32 vcc, v0, v0
	v_mov_b32_e32 v0, 0x7fc0
	s_mul_i32 s0, s6, s8
	v_cndmask_b32_sdwa v2, v0, v1, vcc dst_sel:DWORD dst_unused:UNUSED_PAD src0_sel:DWORD src1_sel:WORD_1
	v_add_u32_e32 v0, s0, v18
	v_mov_b32_e32 v1, 0
	v_lshl_add_u64 v[0:1], v[0:1], 1, s[2:3]
	global_store_short v[0:1], v2, off
.LBB292_7:
	s_endpgm
	.section	.rodata,"a",@progbits
	.p2align	6, 0x0
	.amdhsa_kernel _ZL9moe_vec_qIN3c108BFloat16ELi256ELi8E12block_iq4_xsLi1EXadL_ZL19vec_dot_iq4_xs_q8_1PKvPK10block_q8_1RKiEEEvS4_S4_PT_PS8_iiii
		.amdhsa_group_segment_fixed_size 0
		.amdhsa_private_segment_fixed_size 0
		.amdhsa_kernarg_size 304
		.amdhsa_user_sgpr_count 2
		.amdhsa_user_sgpr_dispatch_ptr 0
		.amdhsa_user_sgpr_queue_ptr 0
		.amdhsa_user_sgpr_kernarg_segment_ptr 1
		.amdhsa_user_sgpr_dispatch_id 0
		.amdhsa_user_sgpr_kernarg_preload_length 0
		.amdhsa_user_sgpr_kernarg_preload_offset 0
		.amdhsa_user_sgpr_private_segment_size 0
		.amdhsa_uses_dynamic_stack 0
		.amdhsa_enable_private_segment 0
		.amdhsa_system_sgpr_workgroup_id_x 1
		.amdhsa_system_sgpr_workgroup_id_y 0
		.amdhsa_system_sgpr_workgroup_id_z 1
		.amdhsa_system_sgpr_workgroup_info 0
		.amdhsa_system_vgpr_workitem_id 1
		.amdhsa_next_free_vgpr 64
		.amdhsa_next_free_sgpr 20
		.amdhsa_accum_offset 64
		.amdhsa_reserve_vcc 1
		.amdhsa_float_round_mode_32 0
		.amdhsa_float_round_mode_16_64 0
		.amdhsa_float_denorm_mode_32 3
		.amdhsa_float_denorm_mode_16_64 3
		.amdhsa_dx10_clamp 1
		.amdhsa_ieee_mode 1
		.amdhsa_fp16_overflow 0
		.amdhsa_tg_split 0
		.amdhsa_exception_fp_ieee_invalid_op 0
		.amdhsa_exception_fp_denorm_src 0
		.amdhsa_exception_fp_ieee_div_zero 0
		.amdhsa_exception_fp_ieee_overflow 0
		.amdhsa_exception_fp_ieee_underflow 0
		.amdhsa_exception_fp_ieee_inexact 0
		.amdhsa_exception_int_div_zero 0
	.end_amdhsa_kernel
	.section	.text._ZL9moe_vec_qIN3c108BFloat16ELi256ELi8E12block_iq4_xsLi1EXadL_ZL19vec_dot_iq4_xs_q8_1PKvPK10block_q8_1RKiEEEvS4_S4_PT_PS8_iiii,"axG",@progbits,_ZL9moe_vec_qIN3c108BFloat16ELi256ELi8E12block_iq4_xsLi1EXadL_ZL19vec_dot_iq4_xs_q8_1PKvPK10block_q8_1RKiEEEvS4_S4_PT_PS8_iiii,comdat
.Lfunc_end292:
	.size	_ZL9moe_vec_qIN3c108BFloat16ELi256ELi8E12block_iq4_xsLi1EXadL_ZL19vec_dot_iq4_xs_q8_1PKvPK10block_q8_1RKiEEEvS4_S4_PT_PS8_iiii, .Lfunc_end292-_ZL9moe_vec_qIN3c108BFloat16ELi256ELi8E12block_iq4_xsLi1EXadL_ZL19vec_dot_iq4_xs_q8_1PKvPK10block_q8_1RKiEEEvS4_S4_PT_PS8_iiii
                                        ; -- End function
	.set _ZL9moe_vec_qIN3c108BFloat16ELi256ELi8E12block_iq4_xsLi1EXadL_ZL19vec_dot_iq4_xs_q8_1PKvPK10block_q8_1RKiEEEvS4_S4_PT_PS8_iiii.num_vgpr, 64
	.set _ZL9moe_vec_qIN3c108BFloat16ELi256ELi8E12block_iq4_xsLi1EXadL_ZL19vec_dot_iq4_xs_q8_1PKvPK10block_q8_1RKiEEEvS4_S4_PT_PS8_iiii.num_agpr, 0
	.set _ZL9moe_vec_qIN3c108BFloat16ELi256ELi8E12block_iq4_xsLi1EXadL_ZL19vec_dot_iq4_xs_q8_1PKvPK10block_q8_1RKiEEEvS4_S4_PT_PS8_iiii.numbered_sgpr, 20
	.set _ZL9moe_vec_qIN3c108BFloat16ELi256ELi8E12block_iq4_xsLi1EXadL_ZL19vec_dot_iq4_xs_q8_1PKvPK10block_q8_1RKiEEEvS4_S4_PT_PS8_iiii.num_named_barrier, 0
	.set _ZL9moe_vec_qIN3c108BFloat16ELi256ELi8E12block_iq4_xsLi1EXadL_ZL19vec_dot_iq4_xs_q8_1PKvPK10block_q8_1RKiEEEvS4_S4_PT_PS8_iiii.private_seg_size, 0
	.set _ZL9moe_vec_qIN3c108BFloat16ELi256ELi8E12block_iq4_xsLi1EXadL_ZL19vec_dot_iq4_xs_q8_1PKvPK10block_q8_1RKiEEEvS4_S4_PT_PS8_iiii.uses_vcc, 1
	.set _ZL9moe_vec_qIN3c108BFloat16ELi256ELi8E12block_iq4_xsLi1EXadL_ZL19vec_dot_iq4_xs_q8_1PKvPK10block_q8_1RKiEEEvS4_S4_PT_PS8_iiii.uses_flat_scratch, 0
	.set _ZL9moe_vec_qIN3c108BFloat16ELi256ELi8E12block_iq4_xsLi1EXadL_ZL19vec_dot_iq4_xs_q8_1PKvPK10block_q8_1RKiEEEvS4_S4_PT_PS8_iiii.has_dyn_sized_stack, 0
	.set _ZL9moe_vec_qIN3c108BFloat16ELi256ELi8E12block_iq4_xsLi1EXadL_ZL19vec_dot_iq4_xs_q8_1PKvPK10block_q8_1RKiEEEvS4_S4_PT_PS8_iiii.has_recursion, 0
	.set _ZL9moe_vec_qIN3c108BFloat16ELi256ELi8E12block_iq4_xsLi1EXadL_ZL19vec_dot_iq4_xs_q8_1PKvPK10block_q8_1RKiEEEvS4_S4_PT_PS8_iiii.has_indirect_call, 0
	.section	.AMDGPU.csdata,"",@progbits
; Kernel info:
; codeLenInByte = 1732
; TotalNumSgprs: 26
; NumVgprs: 64
; NumAgprs: 0
; TotalNumVgprs: 64
; ScratchSize: 0
; MemoryBound: 0
; FloatMode: 240
; IeeeMode: 1
; LDSByteSize: 0 bytes/workgroup (compile time only)
; SGPRBlocks: 3
; VGPRBlocks: 7
; NumSGPRsForWavesPerEU: 26
; NumVGPRsForWavesPerEU: 64
; AccumOffset: 64
; Occupancy: 8
; WaveLimiterHint : 1
; COMPUTE_PGM_RSRC2:SCRATCH_EN: 0
; COMPUTE_PGM_RSRC2:USER_SGPR: 2
; COMPUTE_PGM_RSRC2:TRAP_HANDLER: 0
; COMPUTE_PGM_RSRC2:TGID_X_EN: 1
; COMPUTE_PGM_RSRC2:TGID_Y_EN: 0
; COMPUTE_PGM_RSRC2:TGID_Z_EN: 1
; COMPUTE_PGM_RSRC2:TIDIG_COMP_CNT: 1
; COMPUTE_PGM_RSRC3_GFX90A:ACCUM_OFFSET: 15
; COMPUTE_PGM_RSRC3_GFX90A:TG_SPLIT: 0
	.section	.text._ZL9moe_vec_qIN3c108BFloat16ELi256ELi8E11block_iq1_mLi1EXadL_ZL18vec_dot_iq1_m_q8_1PKvPK10block_q8_1RKiEEEvS4_S4_PT_PS8_iiii,"axG",@progbits,_ZL9moe_vec_qIN3c108BFloat16ELi256ELi8E11block_iq1_mLi1EXadL_ZL18vec_dot_iq1_m_q8_1PKvPK10block_q8_1RKiEEEvS4_S4_PT_PS8_iiii,comdat
	.globl	_ZL9moe_vec_qIN3c108BFloat16ELi256ELi8E11block_iq1_mLi1EXadL_ZL18vec_dot_iq1_m_q8_1PKvPK10block_q8_1RKiEEEvS4_S4_PT_PS8_iiii ; -- Begin function _ZL9moe_vec_qIN3c108BFloat16ELi256ELi8E11block_iq1_mLi1EXadL_ZL18vec_dot_iq1_m_q8_1PKvPK10block_q8_1RKiEEEvS4_S4_PT_PS8_iiii
	.p2align	8
	.type	_ZL9moe_vec_qIN3c108BFloat16ELi256ELi8E11block_iq1_mLi1EXadL_ZL18vec_dot_iq1_m_q8_1PKvPK10block_q8_1RKiEEEvS4_S4_PT_PS8_iiii,@function
_ZL9moe_vec_qIN3c108BFloat16ELi256ELi8E11block_iq1_mLi1EXadL_ZL18vec_dot_iq1_m_q8_1PKvPK10block_q8_1RKiEEEvS4_S4_PT_PS8_iiii: ; @_ZL9moe_vec_qIN3c108BFloat16ELi256ELi8E11block_iq1_mLi1EXadL_ZL18vec_dot_iq1_m_q8_1PKvPK10block_q8_1RKiEEEvS4_S4_PT_PS8_iiii
; %bb.0:
	s_mov_b32 s8, s3
	s_load_dword s3, s[0:1], 0x3c
	s_load_dwordx4 s[4:7], s[0:1], 0x20
	v_bfe_u32 v1, v0, 10, 10
	s_waitcnt lgkmcnt(0)
	s_lshr_b32 s3, s3, 16
	s_mul_i32 s2, s2, s3
	v_add_u32_e32 v18, s2, v1
	v_cmp_gt_u32_e32 vcc, s6, v18
	s_and_saveexec_b64 s[2:3], vcc
	s_cbranch_execz .LBB293_7
; %bb.1:
	s_load_dwordx2 s[2:3], s[0:1], 0x10
	s_ashr_i32 s9, s5, 31
	s_lshr_b32 s9, s9, 24
	s_add_i32 s5, s5, s9
	s_ashr_i32 s13, s5, 8
	v_bfe_u32 v20, v0, 3, 7
	v_and_b32_e32 v19, 0x3ff, v0
	v_cmp_gt_u32_e32 vcc, s13, v20
	v_mov_b32_e32 v22, 0
	s_and_saveexec_b64 s[10:11], vcc
	s_cbranch_execz .LBB293_5
; %bb.2:
	s_load_dwordx2 s[14:15], s[0:1], 0x18
	v_cvt_f32_u32_e32 v0, s4
	s_mov_b32 s9, 0
	s_lshl_b64 s[16:17], s[8:9], 2
	v_and_b32_e32 v1, 1, v19
	v_rcp_iflag_f32_e32 v0, v0
	s_waitcnt lgkmcnt(0)
	s_add_u32 s14, s14, s16
	s_addc_u32 s15, s15, s17
	s_load_dword s5, s[14:15], 0x0
	s_load_dwordx4 s[16:19], s[0:1], 0x0
	v_mul_f32_e32 v0, 0x4f7ffffe, v0
	s_mul_i32 s0, s13, s6
	v_cvt_u32_f32_e32 v0, v0
	s_waitcnt lgkmcnt(0)
	s_mul_i32 s0, s0, s5
	s_mul_hi_i32 s1, s0, 56
	s_mul_i32 s0, s0, 56
	s_add_u32 s0, s16, s0
	s_addc_u32 s1, s17, s1
	s_sub_i32 s5, 0, s4
	v_readfirstlane_b32 s12, v0
	s_mul_i32 s5, s5, s12
	s_mul_hi_u32 s5, s12, s5
	s_add_i32 s12, s12, s5
	s_mul_hi_u32 s5, s8, s12
	s_mul_i32 s12, s5, s4
	s_sub_i32 s12, s8, s12
	s_add_i32 s14, s5, 1
	s_sub_i32 s15, s12, s4
	s_cmp_ge_u32 s12, s4
	s_cselect_b32 s5, s14, s5
	s_cselect_b32 s12, s15, s12
	s_add_i32 s14, s5, 1
	s_cmp_ge_u32 s12, s4
	s_cselect_b32 s4, s14, s5
	s_mul_i32 s4, s4, s7
	s_mov_b32 s5, s9
	s_lshl_b64 s[4:5], s[4:5], 2
	s_add_u32 s4, s18, s4
	s_addc_u32 s5, s19, s5
	v_and_b32_e32 v0, 7, v19
	v_mov_b32_e32 v9, 0
	v_mad_u64_u32 v[10:11], s[4:5], v0, 36, s[4:5]
	v_bfe_u32 v2, v19, 1, 2
	v_cmp_eq_u32_e32 vcc, 1, v1
	s_mov_b32 s14, 0xbf600000
	v_mul_lo_u32 v21, v18, s13
	v_lshlrev_b32_e32 v8, 1, v0
	v_cndmask_b32_e64 v23, 0, 6, vcc
	v_lshlrev_b32_e32 v24, 3, v20
	s_mov_b64 s[4:5], 0
	v_lshlrev_b32_e32 v12, 2, v0
	v_mov_b32_e32 v13, v9
	s_movk_i32 s7, 0x700
	s_mov_b32 s12, 0x3d000000
	v_mov_b64_e32 v[14:15], s[14:15]
	s_mov_b32 s9, 0x8000c
	s_movk_i32 s16, 0xf0
	v_lshlrev_b32_e32 v16, 1, v2
	v_mov_b32_e32 v17, v9
	v_mov_b32_e32 v25, 8
	;; [unrolled: 1-line block ×4, first 2 shown]
.LBB293_3:                              ; =>This Inner Loop Header: Depth=1
	v_add_u32_e32 v0, v21, v20
	v_mad_i64_i32 v[28:29], s[14:15], v0, 56, s[0:1]
	v_lshl_add_u64 v[0:1], v[28:29], 0, v[12:13]
	v_lshl_add_u64 v[2:3], v[28:29], 0, v[8:9]
	global_load_dword v27, v[0:1], off
	global_load_ushort v34, v[2:3], off offset:32
	v_mad_i64_i32 v[30:31], s[14:15], v24, 36, v[10:11]
	global_load_dwordx4 v[0:3], v[30:31], off
	global_load_dwordx4 v[4:7], v[30:31], off offset:16
	global_load_dword v38, v[30:31], off offset:32
	v_lshl_add_u64 v[30:31], v[28:29], 0, v[16:17]
	global_load_dwordx2 v[32:33], v[28:29], off offset:48
	global_load_ushort v35, v[30:31], off offset:48
	s_getpc_b64 s[14:15]
	s_add_u32 s14, s14, _ZL13iq1s_grid_gpu@rel32@lo+4
	s_addc_u32 s15, s15, _ZL13iq1s_grid_gpu@rel32@hi+12
	v_mov_b32_e32 v43, 0
	v_add_u32_e32 v20, 8, v20
	v_cmp_le_u32_e32 vcc, s13, v20
	v_add_u32_e32 v24, 64, v24
	s_or_b64 s[4:5], vcc, s[4:5]
	s_waitcnt vmcnt(6)
	v_and_b32_e32 v29, 0xff, v27
	s_waitcnt vmcnt(5)
	v_lshlrev_b32_e32 v30, 8, v34
	v_lshrrev_b32_e32 v28, 24, v27
	v_bfe_u32 v31, v27, 8, 8
	v_lshlrev_b32_e32 v36, 4, v34
	v_bfe_u32 v27, v27, 16, 8
	v_lshlrev_b32_sdwa v37, v25, v34 dst_sel:DWORD dst_unused:UNUSED_PAD src0_sel:DWORD src1_sel:BYTE_1
	v_lshlrev_b32_sdwa v39, v26, v34 dst_sel:DWORD dst_unused:UNUSED_PAD src0_sel:DWORD src1_sel:BYTE_1
	v_and_or_b32 v29, v30, s7, v29
	v_and_or_b32 v30, v36, s7, v31
	;; [unrolled: 1-line block ×4, first 2 shown]
	v_lshlrev_b32_e32 v29, 3, v29
	v_lshlrev_b32_e32 v30, 3, v30
	;; [unrolled: 1-line block ×4, first 2 shown]
	global_load_dword v39, v29, s[14:15]
	global_load_dword v40, v30, s[14:15]
	;; [unrolled: 1-line block ×4, first 2 shown]
	v_mov_b32_e32 v28, 0
	v_mov_b32_e32 v29, 0
	s_waitcnt vmcnt(8)
	v_dot4c_i32_i8_e32 v28, 0x1010101, v1
	v_dot4c_i32_i8_e32 v29, 0x1010101, v3
	;; [unrolled: 1-line block ×3, first 2 shown]
	s_waitcnt vmcnt(7)
	v_dot4c_i32_i8_e32 v29, 0x1010101, v4
	v_mov_b32_e32 v30, 0
	v_mov_b32_e32 v31, 0
	v_bfe_u32 v36, v34, 4, 4
	v_cvt_f32_i32_e32 v29, v29
	v_cvt_f32_i32_e32 v28, v28
	v_dot4c_i32_i8_e32 v30, 0x1010101, v5
	v_dot4c_i32_i8_e32 v31, 0x1010101, v7
	v_and_b32_sdwa v37, v34, v25 dst_sel:DWORD dst_unused:UNUSED_PAD src0_sel:BYTE_0 src1_sel:DWORD
	s_waitcnt vmcnt(5)
	v_pk_lshrrev_b16 v33, 4, v33
	v_and_b32_e32 v36, 8, v36
	v_dot4c_i32_i8_e32 v30, 0x1010101, v6
	v_dot4c_i32_i8_e32 v31, 0x1010101, v38
	v_pk_lshrrev_b16 v45, s9, v32
	v_cvt_f32_ubyte0_e32 v32, v37
	v_and_b32_e32 v46, 0xf0000f00, v33
	v_cvt_f32_ubyte0_e32 v33, v36
	v_lshrrev_b32_sdwa v44, v26, v34 dst_sel:DWORD dst_unused:UNUSED_PAD src0_sel:DWORD src1_sel:BYTE_1
	v_cvt_f32_i32_e32 v31, v31
	v_cvt_f32_i32_e32 v30, v30
	v_pk_fma_f32 v[32:33], v[32:33], s[12:13], v[14:15] op_sel_hi:[1,0,0] neg_lo:[1,0,0] neg_hi:[1,0,0]
	v_and_b32_sdwa v34, v34, v25 dst_sel:DWORD dst_unused:UNUSED_PAD src0_sel:BYTE_1 src1_sel:DWORD
	s_waitcnt vmcnt(4)
	v_lshrrev_b32_e32 v35, v23, v35
	v_and_b32_e32 v37, 8, v44
	v_pk_mul_f32 v[28:29], v[32:33], v[28:29]
	v_cvt_f32_ubyte0_e32 v34, v34
	v_lshlrev_b32_e32 v47, 1, v35
	v_lshrrev_b32_e32 v48, 2, v35
	v_cvt_f32_ubyte0_e32 v35, v37
	v_add_f32_e32 v28, 0, v28
	v_mov_b32_e32 v27, 0
	v_pk_fma_f32 v[34:35], v[34:35], s[12:13], v[14:15] op_sel_hi:[1,0,0] neg_lo:[1,0,0] neg_hi:[1,0,0]
	v_add_f32_e32 v28, v28, v29
	v_pk_mul_f32 v[30:31], v[34:35], v[30:31]
	v_lshrrev_b32_e32 v44, 16, v45
	v_bitop3_b16 v36, v44, v45, s16 bitop3:0xec
	v_lshrrev_b32_e32 v37, 16, v46
	v_bitop3_b16 v36, v36, v37, v46 bitop3:0xfe
	v_cvt_f32_f16_e32 v0, v0
	v_cvt_f32_f16_e32 v36, v36
	v_and_or_b32 v44, v47, 14, 1
	v_add_f32_e32 v30, 0, v30
	v_and_or_b32 v45, v48, 14, 1
	v_cvt_f32_ubyte0_e32 v37, v44
	v_cvt_f32_ubyte0_e32 v44, v45
	s_waitcnt vmcnt(3)
	v_and_b32_e32 v29, 0xf0f0f0f, v39
	v_lshrrev_b32_e32 v32, 4, v39
	s_waitcnt vmcnt(1)
	v_and_b32_e32 v35, 0xf0f0f0f, v41
	v_lshrrev_b32_e32 v39, 4, v41
	v_and_b32_e32 v32, 0xf0f0f0f, v32
	v_dot4c_i32_i8_e32 v27, v29, v1
	v_and_b32_e32 v33, 0xf0f0f0f, v40
	v_lshrrev_b32_e32 v34, 4, v40
	v_and_b32_e32 v29, 0xf0f0f0f, v39
	v_dot4c_i32_i8_e32 v43, v35, v5
	v_dot4c_i32_i8_e32 v27, v32, v2
	s_waitcnt vmcnt(0)
	v_and_b32_e32 v40, 0xf0f0f0f, v42
	v_lshrrev_b32_e32 v41, 4, v42
	v_and_b32_e32 v1, 0xf0f0f0f, v34
	v_dot4c_i32_i8_e32 v43, v29, v6
	v_dot4c_i32_i8_e32 v27, v33, v3
	v_and_b32_e32 v5, 0xf0f0f0f, v41
	v_dot4c_i32_i8_e32 v43, v40, v7
	v_dot4c_i32_i8_e32 v27, v1, v4
	;; [unrolled: 1-line block ×3, first 2 shown]
	v_add_f32_e32 v3, v30, v31
	s_nop 0
	v_cvt_f32_i32_e32 v1, v27
	v_cvt_f32_i32_e32 v2, v43
	v_add_f32_e32 v1, v28, v1
	v_add_f32_e32 v2, v3, v2
	v_pk_mul_f32 v[0:1], v[0:1], v[36:37]
	s_nop 0
	v_fma_f32 v1, v2, v44, v1
	v_fmac_f32_e32 v22, v0, v1
	s_andn2_b64 exec, exec, s[4:5]
	s_cbranch_execnz .LBB293_3
; %bb.4:
	s_or_b64 exec, exec, s[4:5]
.LBB293_5:
	s_or_b64 exec, exec, s[10:11]
	v_mbcnt_lo_u32_b32 v0, -1, 0
	v_mbcnt_hi_u32_b32 v1, -1, v0
	v_and_b32_e32 v0, 64, v1
	v_add_u32_e32 v2, 64, v0
	v_xor_b32_e32 v0, 32, v1
	v_cmp_lt_i32_e32 vcc, v0, v2
	v_xor_b32_e32 v3, 16, v1
	v_xor_b32_e32 v4, 8, v1
	v_cndmask_b32_e32 v0, v1, v0, vcc
	v_lshlrev_b32_e32 v0, 2, v0
	ds_bpermute_b32 v0, v0, v22
	v_cmp_lt_i32_e32 vcc, v3, v2
	s_waitcnt lgkmcnt(0)
	v_add_f32_e32 v0, v22, v0
	v_cndmask_b32_e32 v3, v1, v3, vcc
	v_lshlrev_b32_e32 v3, 2, v3
	ds_bpermute_b32 v3, v3, v0
	v_cmp_lt_i32_e32 vcc, v4, v2
	s_waitcnt lgkmcnt(0)
	v_add_f32_e32 v0, v0, v3
	v_cndmask_b32_e32 v3, v1, v4, vcc
	v_lshlrev_b32_e32 v3, 2, v3
	ds_bpermute_b32 v3, v3, v0
	v_xor_b32_e32 v4, 4, v1
	v_cmp_lt_i32_e32 vcc, v4, v2
	s_waitcnt lgkmcnt(0)
	v_add_f32_e32 v0, v0, v3
	v_cndmask_b32_e32 v3, v1, v4, vcc
	v_lshlrev_b32_e32 v3, 2, v3
	ds_bpermute_b32 v3, v3, v0
	v_xor_b32_e32 v4, 2, v1
	v_cmp_lt_i32_e32 vcc, v4, v2
	s_waitcnt lgkmcnt(0)
	v_add_f32_e32 v0, v0, v3
	v_cndmask_b32_e32 v3, v1, v4, vcc
	v_lshlrev_b32_e32 v3, 2, v3
	ds_bpermute_b32 v3, v3, v0
	v_xor_b32_e32 v4, 1, v1
	v_cmp_lt_i32_e32 vcc, v4, v2
	s_waitcnt lgkmcnt(0)
	v_add_f32_e32 v0, v0, v3
	v_cndmask_b32_e32 v1, v1, v4, vcc
	v_lshlrev_b32_e32 v1, 2, v1
	ds_bpermute_b32 v1, v1, v0
	v_cmp_eq_u32_e32 vcc, 0, v19
	s_and_b64 exec, exec, vcc
	s_cbranch_execz .LBB293_7
; %bb.6:
	s_waitcnt lgkmcnt(0)
	v_add_f32_e32 v0, v0, v1
	v_bfe_u32 v1, v0, 16, 1
	s_movk_i32 s0, 0x7fff
	v_add3_u32 v1, v0, v1, s0
	v_cmp_o_f32_e32 vcc, v0, v0
	v_mov_b32_e32 v0, 0x7fc0
	s_mul_i32 s0, s6, s8
	v_cndmask_b32_sdwa v2, v0, v1, vcc dst_sel:DWORD dst_unused:UNUSED_PAD src0_sel:DWORD src1_sel:WORD_1
	v_add_u32_e32 v0, s0, v18
	v_mov_b32_e32 v1, 0
	v_lshl_add_u64 v[0:1], v[0:1], 1, s[2:3]
	global_store_short v[0:1], v2, off
.LBB293_7:
	s_endpgm
	.section	.rodata,"a",@progbits
	.p2align	6, 0x0
	.amdhsa_kernel _ZL9moe_vec_qIN3c108BFloat16ELi256ELi8E11block_iq1_mLi1EXadL_ZL18vec_dot_iq1_m_q8_1PKvPK10block_q8_1RKiEEEvS4_S4_PT_PS8_iiii
		.amdhsa_group_segment_fixed_size 0
		.amdhsa_private_segment_fixed_size 0
		.amdhsa_kernarg_size 304
		.amdhsa_user_sgpr_count 2
		.amdhsa_user_sgpr_dispatch_ptr 0
		.amdhsa_user_sgpr_queue_ptr 0
		.amdhsa_user_sgpr_kernarg_segment_ptr 1
		.amdhsa_user_sgpr_dispatch_id 0
		.amdhsa_user_sgpr_kernarg_preload_length 0
		.amdhsa_user_sgpr_kernarg_preload_offset 0
		.amdhsa_user_sgpr_private_segment_size 0
		.amdhsa_uses_dynamic_stack 0
		.amdhsa_enable_private_segment 0
		.amdhsa_system_sgpr_workgroup_id_x 1
		.amdhsa_system_sgpr_workgroup_id_y 0
		.amdhsa_system_sgpr_workgroup_id_z 1
		.amdhsa_system_sgpr_workgroup_info 0
		.amdhsa_system_vgpr_workitem_id 1
		.amdhsa_next_free_vgpr 49
		.amdhsa_next_free_sgpr 20
		.amdhsa_accum_offset 52
		.amdhsa_reserve_vcc 1
		.amdhsa_float_round_mode_32 0
		.amdhsa_float_round_mode_16_64 0
		.amdhsa_float_denorm_mode_32 3
		.amdhsa_float_denorm_mode_16_64 3
		.amdhsa_dx10_clamp 1
		.amdhsa_ieee_mode 1
		.amdhsa_fp16_overflow 0
		.amdhsa_tg_split 0
		.amdhsa_exception_fp_ieee_invalid_op 0
		.amdhsa_exception_fp_denorm_src 0
		.amdhsa_exception_fp_ieee_div_zero 0
		.amdhsa_exception_fp_ieee_overflow 0
		.amdhsa_exception_fp_ieee_underflow 0
		.amdhsa_exception_fp_ieee_inexact 0
		.amdhsa_exception_int_div_zero 0
	.end_amdhsa_kernel
	.section	.text._ZL9moe_vec_qIN3c108BFloat16ELi256ELi8E11block_iq1_mLi1EXadL_ZL18vec_dot_iq1_m_q8_1PKvPK10block_q8_1RKiEEEvS4_S4_PT_PS8_iiii,"axG",@progbits,_ZL9moe_vec_qIN3c108BFloat16ELi256ELi8E11block_iq1_mLi1EXadL_ZL18vec_dot_iq1_m_q8_1PKvPK10block_q8_1RKiEEEvS4_S4_PT_PS8_iiii,comdat
.Lfunc_end293:
	.size	_ZL9moe_vec_qIN3c108BFloat16ELi256ELi8E11block_iq1_mLi1EXadL_ZL18vec_dot_iq1_m_q8_1PKvPK10block_q8_1RKiEEEvS4_S4_PT_PS8_iiii, .Lfunc_end293-_ZL9moe_vec_qIN3c108BFloat16ELi256ELi8E11block_iq1_mLi1EXadL_ZL18vec_dot_iq1_m_q8_1PKvPK10block_q8_1RKiEEEvS4_S4_PT_PS8_iiii
                                        ; -- End function
	.set _ZL9moe_vec_qIN3c108BFloat16ELi256ELi8E11block_iq1_mLi1EXadL_ZL18vec_dot_iq1_m_q8_1PKvPK10block_q8_1RKiEEEvS4_S4_PT_PS8_iiii.num_vgpr, 49
	.set _ZL9moe_vec_qIN3c108BFloat16ELi256ELi8E11block_iq1_mLi1EXadL_ZL18vec_dot_iq1_m_q8_1PKvPK10block_q8_1RKiEEEvS4_S4_PT_PS8_iiii.num_agpr, 0
	.set _ZL9moe_vec_qIN3c108BFloat16ELi256ELi8E11block_iq1_mLi1EXadL_ZL18vec_dot_iq1_m_q8_1PKvPK10block_q8_1RKiEEEvS4_S4_PT_PS8_iiii.numbered_sgpr, 20
	.set _ZL9moe_vec_qIN3c108BFloat16ELi256ELi8E11block_iq1_mLi1EXadL_ZL18vec_dot_iq1_m_q8_1PKvPK10block_q8_1RKiEEEvS4_S4_PT_PS8_iiii.num_named_barrier, 0
	.set _ZL9moe_vec_qIN3c108BFloat16ELi256ELi8E11block_iq1_mLi1EXadL_ZL18vec_dot_iq1_m_q8_1PKvPK10block_q8_1RKiEEEvS4_S4_PT_PS8_iiii.private_seg_size, 0
	.set _ZL9moe_vec_qIN3c108BFloat16ELi256ELi8E11block_iq1_mLi1EXadL_ZL18vec_dot_iq1_m_q8_1PKvPK10block_q8_1RKiEEEvS4_S4_PT_PS8_iiii.uses_vcc, 1
	.set _ZL9moe_vec_qIN3c108BFloat16ELi256ELi8E11block_iq1_mLi1EXadL_ZL18vec_dot_iq1_m_q8_1PKvPK10block_q8_1RKiEEEvS4_S4_PT_PS8_iiii.uses_flat_scratch, 0
	.set _ZL9moe_vec_qIN3c108BFloat16ELi256ELi8E11block_iq1_mLi1EXadL_ZL18vec_dot_iq1_m_q8_1PKvPK10block_q8_1RKiEEEvS4_S4_PT_PS8_iiii.has_dyn_sized_stack, 0
	.set _ZL9moe_vec_qIN3c108BFloat16ELi256ELi8E11block_iq1_mLi1EXadL_ZL18vec_dot_iq1_m_q8_1PKvPK10block_q8_1RKiEEEvS4_S4_PT_PS8_iiii.has_recursion, 0
	.set _ZL9moe_vec_qIN3c108BFloat16ELi256ELi8E11block_iq1_mLi1EXadL_ZL18vec_dot_iq1_m_q8_1PKvPK10block_q8_1RKiEEEvS4_S4_PT_PS8_iiii.has_indirect_call, 0
	.section	.AMDGPU.csdata,"",@progbits
; Kernel info:
; codeLenInByte = 1488
; TotalNumSgprs: 26
; NumVgprs: 49
; NumAgprs: 0
; TotalNumVgprs: 49
; ScratchSize: 0
; MemoryBound: 0
; FloatMode: 240
; IeeeMode: 1
; LDSByteSize: 0 bytes/workgroup (compile time only)
; SGPRBlocks: 3
; VGPRBlocks: 6
; NumSGPRsForWavesPerEU: 26
; NumVGPRsForWavesPerEU: 49
; AccumOffset: 52
; Occupancy: 8
; WaveLimiterHint : 1
; COMPUTE_PGM_RSRC2:SCRATCH_EN: 0
; COMPUTE_PGM_RSRC2:USER_SGPR: 2
; COMPUTE_PGM_RSRC2:TRAP_HANDLER: 0
; COMPUTE_PGM_RSRC2:TGID_X_EN: 1
; COMPUTE_PGM_RSRC2:TGID_Y_EN: 0
; COMPUTE_PGM_RSRC2:TGID_Z_EN: 1
; COMPUTE_PGM_RSRC2:TIDIG_COMP_CNT: 1
; COMPUTE_PGM_RSRC3_GFX90A:ACCUM_OFFSET: 12
; COMPUTE_PGM_RSRC3_GFX90A:TG_SPLIT: 0
	.section	.AMDGPU.gpr_maximums,"",@progbits
	.set amdgpu.max_num_vgpr, 0
	.set amdgpu.max_num_agpr, 0
	.set amdgpu.max_num_sgpr, 0
	.section	.AMDGPU.csdata,"",@progbits
	.type	_ZL11iq2xxs_grid,@object        ; @_ZL11iq2xxs_grid
	.section	.rodata,"a",@progbits
	.p2align	4, 0x0
_ZL11iq2xxs_grid:
	.quad	578721382704613384              ; 0x808080808080808
	.quad	578721382704613419              ; 0x80808080808082b
	;; [unrolled: 1-line block ×132, first 2 shown]
	.quad	1803700481349388313             ; 0x1908080808080819
	.quad	1803700481349392648             ; 0x1908080808081908
	;; [unrolled: 1-line block ×124, first 2 shown]
	.size	_ZL11iq2xxs_grid, 2048

	.type	_ZL12ksigns_iq2xs,@object       ; @_ZL12ksigns_iq2xs
	.p2align	4, 0x0
_ZL12ksigns_iq2xs:
	.ascii	"\000\201\202\003\204\005\006\207\210\t\n\213\f\215\216\017\220\021\022\223\024\225\226\027\030\231\232\033\234\035\036\237\240!\"\243$\245\246'(\251\252+\254-.\2570\261\2623\26456\267\2709:\273<\275\276?\300AB\303D\305\306GH\311\312K\314MN\317P\321\322S\324UV\327\330YZ\333\\\335\336_`\341\342c\344ef\347\350ij\353l\355\356o\360qr\363t\365\366wx\371\372{\374}~\377"
	.size	_ZL12ksigns_iq2xs, 128

	.type	_ZL10iq2xs_grid,@object         ; @_ZL10iq2xs_grid
	.p2align	4, 0x0
_ZL10iq2xs_grid:
	.quad	578721382704613384              ; 0x808080808080808
	.quad	578721382704613419              ; 0x80808080808082b
	;; [unrolled: 1-line block ×254, first 2 shown]
	.quad	1803700481349388313             ; 0x1908080808080819
	.quad	1803700481349392648             ; 0x1908080808081908
	;; [unrolled: 1-line block ×258, first 2 shown]
	.size	_ZL10iq2xs_grid, 4096

	.type	_ZL11iq3xxs_grid,@object        ; @_ZL11iq3xxs_grid
	.p2align	4, 0x0
_ZL11iq3xxs_grid:
	.long	67372036                        ; 0x4040404
	.long	67372052                        ; 0x4040414
	;; [unrolled: 1-line block ×58, first 2 shown]
	.long	201589772                       ; 0xc04040c
	.long	201589788                       ; 0xc04041c
	;; [unrolled: 1-line block ×177, first 2 shown]
	.long	1040450588                      ; 0x3e04041c
	.long	1040450604                      ; 0x3e04042c
	;; [unrolled: 1-line block ×21, first 2 shown]
	.size	_ZL11iq3xxs_grid, 1024

	.type	_ZL13iq1s_grid_gpu,@object      ; @_ZL13iq1s_grid_gpu
	.p2align	4, 0x0
_ZL13iq1s_grid_gpu:
	.quad	0                               ; 0x0
	.quad	2                               ; 0x2
	.quad	257                             ; 0x101
	.quad	512                             ; 0x200
	;; [unrolled: 1-line block ×3, first 2 shown]
	.quad	65537                           ; 0x10001
	.quad	65793                           ; 0x10101
	.quad	131072                          ; 0x20000
	.quad	131074                          ; 0x20002
	;; [unrolled: 1-line block ×4, first 2 shown]
	.quad	16777473                        ; 0x1000101
	.quad	16842753                        ; 0x1010001
	;; [unrolled: 1-line block ×14, first 2 shown]
	.quad	272                             ; 0x110
	.quad	273                             ; 0x111
	.quad	65553                           ; 0x10011
	.quad	65808                           ; 0x10110
	;; [unrolled: 1-line block ×5, first 2 shown]
	.quad	131345                          ; 0x20111
	.quad	16777233                        ; 0x1000011
	.quad	16777490                        ; 0x1000112
	;; [unrolled: 1-line block ×15, first 2 shown]
	.quad	32                              ; 0x20
	.quad	34                              ; 0x22
	.quad	544                             ; 0x220
	.quad	546                             ; 0x222
	.quad	65825                           ; 0x10121
	.quad	131104                          ; 0x20020
	.quad	131106                          ; 0x20022
	;; [unrolled: 1-line block ×4, first 2 shown]
	.quad	16777505                        ; 0x1000121
	.quad	16842785                        ; 0x1010021
	;; [unrolled: 1-line block ×16, first 2 shown]
	.quad	69633                           ; 0x11001
	.quad	69888                           ; 0x11100
	;; [unrolled: 1-line block ×3, first 2 shown]
	.quad	135425                          ; 0x21101
	.quad	16781313                        ; 0x1001001
	.quad	16781825                        ; 0x1001201
	;; [unrolled: 1-line block ×9, first 2 shown]
	.quad	4113                            ; 0x1011
	.quad	4368                            ; 0x1110
	;; [unrolled: 1-line block ×4, first 2 shown]
	.quad	69905                           ; 0x11111
	.quad	70160                           ; 0x11210
	;; [unrolled: 1-line block ×3, first 2 shown]
	.quad	135697                          ; 0x21211
	.quad	16781328                        ; 0x1001010
	.quad	16781585                        ; 0x1001111
	;; [unrolled: 1-line block ×24, first 2 shown]
	.quad	69920                           ; 0x11120
	.quad	70177                           ; 0x11221
	.quad	16781345                        ; 0x1001021
	.quad	16781600                        ; 0x1001120
	;; [unrolled: 1-line block ×14, first 2 shown]
	.quad	8192                            ; 0x2000
	.quad	8194                            ; 0x2002
	;; [unrolled: 1-line block ×4, first 2 shown]
	.quad	73985                           ; 0x12101
	.quad	139264                          ; 0x22000
	.quad	139266                          ; 0x22002
	;; [unrolled: 1-line block ×4, first 2 shown]
	.quad	16785665                        ; 0x1002101
	.quad	16850945                        ; 0x1012001
	;; [unrolled: 1-line block ×13, first 2 shown]
	.quad	8465                            ; 0x2111
	.quad	73745                           ; 0x12011
	.quad	74000                           ; 0x12110
	.quad	74257                           ; 0x12211
	.quad	139536                          ; 0x22110
	.quad	139537                          ; 0x22111
	.quad	16785425                        ; 0x1002011
	.quad	16850960                        ; 0x1012010
	;; [unrolled: 1-line block ×12, first 2 shown]
	.quad	8224                            ; 0x2020
	.quad	8226                            ; 0x2022
	;; [unrolled: 1-line block ×4, first 2 shown]
	.quad	74017                           ; 0x12121
	.quad	139296                          ; 0x22020
	.quad	139298                          ; 0x22022
	;; [unrolled: 1-line block ×4, first 2 shown]
	.quad	16785697                        ; 0x1002121
	.quad	16850977                        ; 0x1012021
	;; [unrolled: 1-line block ×15, first 2 shown]
	.quad	1114112                         ; 0x110000
	.quad	1114113                         ; 0x110001
	;; [unrolled: 1-line block ×6, first 2 shown]
	.quad	17825793                        ; 0x1100001
	.quad	17826048                        ; 0x1100100
	;; [unrolled: 1-line block ×14, first 2 shown]
	.quad	1048593                         ; 0x100011
	.quad	1048848                         ; 0x100110
	;; [unrolled: 1-line block ×11, first 2 shown]
	.quad	17826065                        ; 0x1100111
	.quad	17826322                        ; 0x1100212
	;; [unrolled: 1-line block ×16, first 2 shown]
	.quad	1114145                         ; 0x110021
	.quad	1114400                         ; 0x110120
	.quad	1114402                         ; 0x110122
	.quad	1179937                         ; 0x120121
	.quad	17825824                        ; 0x1100020
	.quad	17826082                        ; 0x1100122
	;; [unrolled: 1-line block ×14, first 2 shown]
	.quad	1052673                         ; 0x101001
	.quad	1052930                         ; 0x101102
	;; [unrolled: 1-line block ×9, first 2 shown]
	.quad	17829889                        ; 0x1101001
	.quad	17830145                        ; 0x1101101
	;; [unrolled: 1-line block ×25, first 2 shown]
	.quad	1052690                         ; 0x101012
	.quad	1052945                         ; 0x101111
	;; [unrolled: 1-line block ×13, first 2 shown]
	.quad	17829905                        ; 0x1101011
	.quad	17830160                        ; 0x1101110
	;; [unrolled: 1-line block ×32, first 2 shown]
	.quad	1052705                         ; 0x101021
	.quad	1052960                         ; 0x101120
	;; [unrolled: 1-line block ×10, first 2 shown]
	.quad	17829920                        ; 0x1101020
	.quad	17829922                        ; 0x1101022
	.quad	17830176                        ; 0x1101120
	.quad	17830177                        ; 0x1101121
	.quad	17830432                        ; 0x1101220
	.quad	17830434                        ; 0x1101222
	.quad	17895457                        ; 0x1111021
	.quad	17895713                        ; 0x1111121
	.quad	17895714                        ; 0x1111122
	.quad	17895968                        ; 0x1111220
	.quad	17895969                        ; 0x1111221
	.quad	17960993                        ; 0x1121021
	.quad	17961248                        ; 0x1121120
	.quad	17961249                        ; 0x1121121
	.quad	17961504                        ; 0x1121220
	.quad	17961505                        ; 0x1121221
	.quad	17961506                        ; 0x1121222
	.quad	34607394                        ; 0x2101122
	.quad	34607650                        ; 0x2101222
	.quad	34672674                        ; 0x2111022
	.quad	34672929                        ; 0x2111121
	.quad	34738464                        ; 0x2121120
	.quad	34738721                        ; 0x2121221
	.quad	1122305                         ; 0x112001
	.quad	1122562                         ; 0x112102
	;; [unrolled: 1-line block ×3, first 2 shown]
	.quad	17833985                        ; 0x1102001
	.quad	17834240                        ; 0x1102100
	;; [unrolled: 1-line block ×17, first 2 shown]
	.quad	1122320                         ; 0x112010
	.quad	1122322                         ; 0x112012
	;; [unrolled: 1-line block ×6, first 2 shown]
	.quad	17834002                        ; 0x1102012
	.quad	17834256                        ; 0x1102110
	;; [unrolled: 1-line block ×21, first 2 shown]
	.quad	1057313                         ; 0x102221
	.quad	1122594                         ; 0x112122
	;; [unrolled: 1-line block ×4, first 2 shown]
	.quad	17834272                        ; 0x1102120
	.quad	17834274                        ; 0x1102122
	.quad	17834529                        ; 0x1102221
	.quad	17899552                        ; 0x1112020
	.quad	17899554                        ; 0x1112022
	.quad	17899809                        ; 0x1112121
	.quad	17900064                        ; 0x1112220
	.quad	17965089                        ; 0x1122021
	.quad	17965346                        ; 0x1122122
	.quad	17965601                        ; 0x1122221
	.quad	34611489                        ; 0x2102121
	.quad	34676769                        ; 0x2112021
	.quad	34677026                        ; 0x2112122
	.quad	34677282                        ; 0x2112222
	.quad	2097152                         ; 0x200000
	.quad	2097154                         ; 0x200002
	;; [unrolled: 1-line block ×10, first 2 shown]
	.quad	18874625                        ; 0x1200101
	.quad	18939905                        ; 0x1210001
	;; [unrolled: 1-line block ×15, first 2 shown]
	.quad	2097425                         ; 0x200111
	.quad	2162705                         ; 0x210011
	;; [unrolled: 1-line block ×5, first 2 shown]
	.quad	18874386                        ; 0x1200012
	.quad	18874640                        ; 0x1200110
	;; [unrolled: 1-line block ×15, first 2 shown]
	.quad	2097185                         ; 0x200021
	.quad	2097696                         ; 0x200220
	.quad	2097698                         ; 0x200222
	.quad	2162721                         ; 0x210021
	.quad	2162977                         ; 0x210121
	.quad	2228256                         ; 0x220020
	.quad	2228258                         ; 0x220022
	.quad	2228768                         ; 0x220220
	.quad	2228770                         ; 0x220222
	.quad	18874657                        ; 0x1200121
	.quad	18939937                        ; 0x1210021
	.quad	18940194                        ; 0x1210122
	.quad	18940449                        ; 0x1210221
	.quad	19005729                        ; 0x1220121
	.quad	35651617                        ; 0x2200021
	.quad	35652128                        ; 0x2200220
	.quad	35652130                        ; 0x2200222
	.quad	35717153                        ; 0x2210021
	.quad	35717409                        ; 0x2210121
	.quad	35782688                        ; 0x2220020
	.quad	35782690                        ; 0x2220022
	.quad	35783200                        ; 0x2220220
	.quad	35783202                        ; 0x2220222
	.quad	2101505                         ; 0x201101
	.quad	2167040                         ; 0x211100
	;; [unrolled: 1-line block ×5, first 2 shown]
	.quad	18878720                        ; 0x1201100
	.quad	18878721                        ; 0x1201101
	;; [unrolled: 1-line block ×15, first 2 shown]
	.quad	2101777                         ; 0x201211
	.quad	2167057                         ; 0x211111
	;; [unrolled: 1-line block ×4, first 2 shown]
	.quad	18878480                        ; 0x1201010
	.quad	18878737                        ; 0x1201111
	;; [unrolled: 1-line block ×20, first 2 shown]
	.quad	2101537                         ; 0x201121
	.quad	2166816                         ; 0x211020
	;; [unrolled: 1-line block ×5, first 2 shown]
	.quad	18878497                        ; 0x1201021
	.quad	18879009                        ; 0x1201221
	;; [unrolled: 1-line block ×10, first 2 shown]
	.quad	2105344                         ; 0x202000
	.quad	2105346                         ; 0x202002
	;; [unrolled: 1-line block ×9, first 2 shown]
	.quad	18882817                        ; 0x1202101
	.quad	18948097                        ; 0x1212001
	;; [unrolled: 1-line block ×12, first 2 shown]
	.quad	2105873                         ; 0x202211
	.quad	2170897                         ; 0x212011
	;; [unrolled: 1-line block ×5, first 2 shown]
	.quad	18882834                        ; 0x1202112
	.quad	18883089                        ; 0x1202211
	;; [unrolled: 1-line block ×14, first 2 shown]
	.quad	2105376                         ; 0x202020
	.quad	2105378                         ; 0x202022
	;; [unrolled: 1-line block ×8, first 2 shown]
	.quad	18882849                        ; 0x1202121
	.quad	18948129                        ; 0x1212021
	;; [unrolled: 1-line block ×14, first 2 shown]
	.quad	268435713                       ; 0x10000101
	.quad	268500993                       ; 0x10010001
	;; [unrolled: 1-line block ×1419, first 2 shown]
	.size	_ZL13iq1s_grid_gpu, 16384

	.type	_ZL13kvalues_iq4nl,@object      ; @_ZL13kvalues_iq4nl
	.section	.rodata.cst16,"aM",@progbits,16
	.p2align	4, 0x0
_ZL13kvalues_iq4nl:
	.ascii	"\201\230\255\277\317\335\352\366\001\r\031&5EYq"
	.size	_ZL13kvalues_iq4nl, 16

	.type	_ZL10iq3xs_grid,@object         ; @_ZL10iq3xs_grid
	.section	.rodata,"a",@progbits
	.p2align	4, 0x0
_ZL10iq3xs_grid:
	.long	67372036                        ; 0x4040404
	.long	67372044                        ; 0x404040c
	;; [unrolled: 1-line block ×109, first 2 shown]
	.long	201589764                       ; 0xc040404
	.long	201589772                       ; 0xc04040c
	.long	201589780                       ; 0xc040414
	.long	201589796                       ; 0xc040424
	.long	201591812                       ; 0xc040c04
	.long	201591820                       ; 0xc040c0c
	.long	201591836                       ; 0xc040c1c
	.long	201591852                       ; 0xc040c2c
	.long	201591870                       ; 0xc040c3e
	.long	201593860                       ; 0xc041404
	.long	201593876                       ; 0xc041414
	.long	201595916                       ; 0xc041c0c
	.long	201595940                       ; 0xc041c24
	.long	201595956                       ; 0xc041c34
	.long	201600036                       ; 0xc042c24
	.long	201600052                       ; 0xc042c34
	.long	201602060                       ; 0xc04340c
	.long	201604628                       ; 0xc043e14
	.long	202114052                       ; 0xc0c0404
	.long	202114060                       ; 0xc0c040c
	.long	202114076                       ; 0xc0c041c
	.long	202114100                       ; 0xc0c0434
	.long	202116100                       ; 0xc0c0c04
	.long	202116132                       ; 0xc0c0c24
	.long	202118156                       ; 0xc0c140c
	.long	202120196                       ; 0xc0c1c04
	.long	202120220                       ; 0xc0c1c1c
	.long	202122252                       ; 0xc0c240c
	.long	202124292                       ; 0xc0c2c04
	.long	202124308                       ; 0xc0c2c14
	.long	202128900                       ; 0xc0c3e04
	.long	202128948                       ; 0xc0c3e34
	.long	202638340                       ; 0xc140404
	.long	202640404                       ; 0xc140c14
	.long	202640428                       ; 0xc140c2c
	.long	202640446                       ; 0xc140c3e
	.long	202642436                       ; 0xc141404
	.long	202642468                       ; 0xc141424
	.long	202644500                       ; 0xc141c14
	.long	202646532                       ; 0xc142404
	.long	202646556                       ; 0xc14241c
	.long	202648620                       ; 0xc142c2c
	.long	202650628                       ; 0xc143404
	.long	202653204                       ; 0xc143e14
	.long	203162636                       ; 0xc1c040c
	.long	203162660                       ; 0xc1c0424
	.long	203162686                       ; 0xc1c043e
	.long	203164676                       ; 0xc1c0c04
	.long	203164700                       ; 0xc1c0c1c
	.long	203166732                       ; 0xc1c140c
	.long	203166782                       ; 0xc1c143e
	.long	203168772                       ; 0xc1c1c04
	.long	203168804                       ; 0xc1c1c24
	.long	203170828                       ; 0xc1c240c
	.long	203174932                       ; 0xc1c3414
	.long	203177476                       ; 0xc1c3e04
	.long	203686940                       ; 0xc24041c
	.long	203686956                       ; 0xc24042c
	.long	203688980                       ; 0xc240c14
	.long	203688996                       ; 0xc240c24
	.long	203693068                       ; 0xc241c0c
	.long	203693084                       ; 0xc241c1c
	.long	203695124                       ; 0xc242414
	.long	203695156                       ; 0xc242434
	.long	203697156                       ; 0xc242c04
	.long	203697188                       ; 0xc242c24
	.long	204211212                       ; 0xc2c040c
	.long	204213252                       ; 0xc2c0c04
	.long	204213276                       ; 0xc2c0c1c
	.long	204215308                       ; 0xc2c140c
	.long	204217348                       ; 0xc2c1c04
	.long	204217364                       ; 0xc2c1c14
	.long	204221452                       ; 0xc2c2c0c
	.long	204739588                       ; 0xc341404
	.long	204739620                       ; 0xc341424
	.long	204739646                       ; 0xc34143e
	.long	204743716                       ; 0xc342424
	.long	204743732                       ; 0xc342434
	.long	205390860                       ; 0xc3e040c
	.long	205390876                       ; 0xc3e041c
	.long	205392900                       ; 0xc3e0c04
	.long	205392916                       ; 0xc3e0c14
	.long	205394956                       ; 0xc3e140c
	.long	205397036                       ; 0xc3e1c2c
	.long	205399052                       ; 0xc3e240c
	.long	205403156                       ; 0xc3e3414
	.long	205405700                       ; 0xc3e3e04
	.long	335807492                       ; 0x14040404
	.long	335807500                       ; 0x1404040c
	.long	335807516                       ; 0x1404041c
	.long	335807532                       ; 0x1404042c
	.long	335807550                       ; 0x1404043e
	.long	335809540                       ; 0x14040c04
	.long	335809556                       ; 0x14040c14
	.long	335809572                       ; 0x14040c24
	.long	335809588                       ; 0x14040c34
	.long	335811596                       ; 0x1404140c
	.long	335811612                       ; 0x1404141c
	.long	335811646                       ; 0x1404143e
	.long	335813636                       ; 0x14041c04
	.long	335813652                       ; 0x14041c14
	.long	335815692                       ; 0x1404240c
	.long	335815708                       ; 0x1404241c
	.long	335815724                       ; 0x1404242c
	.long	335817732                       ; 0x14042c04
	.long	335817748                       ; 0x14042c14
	.long	335819838                       ; 0x1404343e
	.long	335822340                       ; 0x14043e04
	.long	335822364                       ; 0x14043e1c
	.long	335822380                       ; 0x14043e2c
	.long	336331780                       ; 0x140c0404
	.long	336331796                       ; 0x140c0414
	.long	336333828                       ; 0x140c0c04
	.long	336333852                       ; 0x140c0c1c
	.long	336333886                       ; 0x140c0c3e
	.long	336335892                       ; 0x140c1414
	.long	336335916                       ; 0x140c142c
	.long	336337932                       ; 0x140c1c0c
	.long	336337956                       ; 0x140c1c24
	.long	336339988                       ; 0x140c2414
	.long	336342028                       ; 0x140c2c0c
	.long	336856076                       ; 0x1414040c
	.long	336856100                       ; 0x14140424
	.long	336856126                       ; 0x1414043e
	.long	336860172                       ; 0x1414140c
	.long	336860188                       ; 0x1414141c
	.long	336862212                       ; 0x14141c04
	.long	336862270                       ; 0x14141c3e
	.long	336864268                       ; 0x1414240c
	.long	336866332                       ; 0x14142c1c
	.long	336866366                       ; 0x14142c3e
	.long	336870924                       ; 0x14143e0c
	.long	336870948                       ; 0x14143e24
	.long	337380356                       ; 0x141c0404
	.long	337380372                       ; 0x141c0414
	.long	337380396                       ; 0x141c042c
	.long	337382412                       ; 0x141c0c0c
	.long	337384468                       ; 0x141c1414
	.long	337384484                       ; 0x141c1424
	.long	337386508                       ; 0x141c1c0c
	.long	337386524                       ; 0x141c1c1c
	.long	337388564                       ; 0x141c2414
	.long	337390596                       ; 0x141c2c04
	.long	337392692                       ; 0x141c3434
	.long	337904652                       ; 0x1424040c
	.long	337904702                       ; 0x1424043e
	.long	337908740                       ; 0x14241404
	.long	337908764                       ; 0x1424141c
	.long	337910804                       ; 0x14241c14
	.long	337910828                       ; 0x14241c2c
	.long	337912844                       ; 0x1424240c
	.long	337919508                       ; 0x14243e14
	.long	337919532                       ; 0x14243e2c
	.long	338428964                       ; 0x142c0424
	.long	338430988                       ; 0x142c0c0c
	.long	338433044                       ; 0x142c1414
	.long	338435134                       ; 0x142c1c3e
	.long	338437124                       ; 0x142c2404
	.long	338439196                       ; 0x142c2c1c
	.long	338443780                       ; 0x142c3e04
	.long	338953220                       ; 0x14340404
	.long	338953236                       ; 0x14340414
	.long	338953278                       ; 0x1434043e
	.long	338957324                       ; 0x1434140c
	.long	338963500                       ; 0x14342c2c
	.long	338965516                       ; 0x1434340c
	.long	339608620                       ; 0x143e042c
	.long	339610636                       ; 0x143e0c0c
	.long	339612724                       ; 0x143e1434
	.long	339614724                       ; 0x143e1c04
	.long	339616796                       ; 0x143e241c
	.long	339618820                       ; 0x143e2c04
	.long	470025236                       ; 0x1c040414
	.long	470027276                       ; 0x1c040c0c
	.long	470027292                       ; 0x1c040c1c
	.long	470027308                       ; 0x1c040c2c
	.long	470027326                       ; 0x1c040c3e
	.long	470029332                       ; 0x1c041414
	.long	470031372                       ; 0x1c041c0c
	.long	470031388                       ; 0x1c041c1c
	.long	470031404                       ; 0x1c041c2c
	.long	470033428                       ; 0x1c042414
	.long	470033444                       ; 0x1c042424
	.long	470033470                       ; 0x1c04243e
	.long	470035468                       ; 0x1c042c0c
	.long	470037532                       ; 0x1c04341c
	.long	470040076                       ; 0x1c043e0c
	.long	470549516                       ; 0x1c0c040c
	.long	470549532                       ; 0x1c0c041c
	.long	470549548                       ; 0x1c0c042c
	.long	470551588                       ; 0x1c0c0c24
	.long	470553612                       ; 0x1c0c140c
	.long	470553628                       ; 0x1c0c141c
	.long	470557700                       ; 0x1c0c2404
	.long	470561796                       ; 0x1c0c3404
	.long	470564372                       ; 0x1c0c3e14
	.long	470564404                       ; 0x1c0c3e34
	.long	471073796                       ; 0x1c140404
	.long	471075860                       ; 0x1c140c14
	.long	471077892                       ; 0x1c141404
	.long	471079956                       ; 0x1c141c14
	.long	471079972                       ; 0x1c141c24
	.long	471084036                       ; 0x1c142c04
	.long	471598092                       ; 0x1c1c040c
	.long	471600132                       ; 0x1c1c0c04
	.long	471600164                       ; 0x1c1c0c24
	.long	471602188                       ; 0x1c1c140c
	.long	471602204                       ; 0x1c1c141c
	.long	471602238                       ; 0x1c1c143e
	.long	471604228                       ; 0x1c1c1c04
	.long	471606284                       ; 0x1c1c240c
	.long	471606300                       ; 0x1c1c241c
	.long	471606334                       ; 0x1c1c243e
	.long	471608364                       ; 0x1c1c2c2c
	.long	471612956                       ; 0x1c1c3e1c
	.long	472122396                       ; 0x1c24041c
	.long	472124428                       ; 0x1c240c0c
	.long	472124468                       ; 0x1c240c34
	.long	472126484                       ; 0x1c241414
	.long	472128524                       ; 0x1c241c0c
	.long	472132628                       ; 0x1c242c14
	.long	472134660                       ; 0x1c243404
	.long	472134692                       ; 0x1c243424
	.long	472646668                       ; 0x1c2c040c
	.long	472648708                       ; 0x1c2c0c04
	.long	472648724                       ; 0x1c2c0c14
	.long	472650796                       ; 0x1c2c142c
	.long	472652820                       ; 0x1c2c1c14
	.long	472654884                       ; 0x1c2c2424
	.long	472656948                       ; 0x1c2c2c34
	.long	472661532                       ; 0x1c2c3e1c
	.long	473173044                       ; 0x1c340c34
	.long	473179148                       ; 0x1c34240c
	.long	473826316                       ; 0x1c3e040c
	.long	473826332                       ; 0x1c3e041c
	.long	473830404                       ; 0x1c3e1404
	.long	473830420                       ; 0x1c3e1414
	.long	473832492                       ; 0x1c3e1c2c
	.long	604242948                       ; 0x24040404
	.long	604242980                       ; 0x24040424
	.long	604245012                       ; 0x24040c14
	.long	604247044                       ; 0x24041404
	.long	604247076                       ; 0x24041424
	.long	604247102                       ; 0x2404143e
	.long	604249108                       ; 0x24041c14
	.long	604251148                       ; 0x2404240c
	.long	604253188                       ; 0x24042c04
	.long	604257796                       ; 0x24043e04
	.long	604767252                       ; 0x240c0414
	.long	604767294                       ; 0x240c043e
	.long	604769292                       ; 0x240c0c0c
	.long	604769308                       ; 0x240c0c1c
	.long	604771348                       ; 0x240c1414
	.long	604773380                       ; 0x240c1c04
	.long	604773420                       ; 0x240c1c2c
	.long	604775452                       ; 0x240c241c
	.long	604777484                       ; 0x240c2c0c
	.long	604777516                       ; 0x240c2c2c
	.long	605291532                       ; 0x2414040c
	.long	605291548                       ; 0x2414041c
	.long	605293572                       ; 0x24140c04
	.long	605293612                       ; 0x24140c2c
	.long	605295628                       ; 0x2414140c
	.long	605297692                       ; 0x24141c1c
	.long	605299716                       ; 0x24142404
	.long	605301822                       ; 0x24142c3e
	.long	605303828                       ; 0x24143414
	.long	605306372                       ; 0x24143e04
	.long	605815844                       ; 0x241c0424
	.long	605817868                       ; 0x241c0c0c
	.long	605817884                       ; 0x241c0c1c
	.long	605819908                       ; 0x241c1404
	.long	605819924                       ; 0x241c1414
	.long	605821964                       ; 0x241c1c0c
	.long	605821996                       ; 0x241c1c2c
	.long	606340100                       ; 0x24240404
	.long	606340116                       ; 0x24240414
	.long	606344228                       ; 0x24241424
	.long	606346302                       ; 0x24241c3e
	.long	606348292                       ; 0x24242404
	.long	606354956                       ; 0x24243e0c
	.long	606864428                       ; 0x242c042c
	.long	606864446                       ; 0x242c043e
	.long	606868492                       ; 0x242c140c
	.long	606876692                       ; 0x242c3414
	.long	607390748                       ; 0x24340c1c
	.long	607394852                       ; 0x24341c24
	.long	607400964                       ; 0x24343404
	.long	608046084                       ; 0x243e0c04
	.long	608046124                       ; 0x243e0c2c
	.long	608050180                       ; 0x243e1c04
	.long	608052252                       ; 0x243e241c
	.long	608054284                       ; 0x243e2c0c
	.long	738460692                       ; 0x2c040414
	.long	738462724                       ; 0x2c040c04
	.long	738462756                       ; 0x2c040c24
	.long	738464788                       ; 0x2c041414
	.long	738468868                       ; 0x2c042404
	.long	738468900                       ; 0x2c042424
	.long	738468926                       ; 0x2c04243e
	.long	738470932                       ; 0x2c042c14
	.long	738473012                       ; 0x2c043434
	.long	738475556                       ; 0x2c043e24
	.long	738984972                       ; 0x2c0c040c
	.long	738984988                       ; 0x2c0c041c
	.long	738985004                       ; 0x2c0c042c
	.long	738987028                       ; 0x2c0c0c14
	.long	738989068                       ; 0x2c0c140c
	.long	738991124                       ; 0x2c0c1c14
	.long	738999828                       ; 0x2c0c3e14
	.long	739509252                       ; 0x2c140404
	.long	739511308                       ; 0x2c140c0c
	.long	739513372                       ; 0x2c14141c
	.long	739515396                       ; 0x2c141c04
	.long	739515444                       ; 0x2c141c34
	.long	739519516                       ; 0x2c142c1c
	.long	740033556                       ; 0x2c1c0414
	.long	740033598                       ; 0x2c1c043e
	.long	740035588                       ; 0x2c1c0c04
	.long	740037694                       ; 0x2c1c143e
	.long	740041764                       ; 0x2c1c2424
	.long	740043788                       ; 0x2c1c2c0c
	.long	740045868                       ; 0x2c1c342c
	.long	740048412                       ; 0x2c1c3e1c
	.long	740557836                       ; 0x2c24040c
	.long	740557860                       ; 0x2c240424
	.long	740561924                       ; 0x2c241404
	.long	740563988                       ; 0x2c241c14
	.long	740566068                       ; 0x2c242434
	.long	741084180                       ; 0x2c2c0c14
	.long	741086260                       ; 0x2c2c1434
	.long	741092364                       ; 0x2c2c2c0c
	.long	741092380                       ; 0x2c2c2c1c
	.long	741614612                       ; 0x2c342414
	.long	742261780                       ; 0x2c3e0414
	.long	742261796                       ; 0x2c3e0424
	.long	742265876                       ; 0x2c3e1414
	.long	872680460                       ; 0x34040c0c
	.long	872680476                       ; 0x34040c1c
	.long	872680492                       ; 0x34040c2c
	.long	872684556                       ; 0x34041c0c
	.long	872684572                       ; 0x34041c1c
	.long	872690692                       ; 0x34043404
	.long	873202692                       ; 0x340c0404
	.long	873206788                       ; 0x340c1404
	.long	873206846                       ; 0x340c143e
	.long	873215012                       ; 0x340c3424
	.long	873729044                       ; 0x34140c14
	.long	873733156                       ; 0x34141c24
	.long	873735188                       ; 0x34142414
	.long	873737260                       ; 0x34142c2c
	.long	873739284                       ; 0x34143414
	.long	873741828                       ; 0x34143e04
	.long	874251268                       ; 0x341c0404
	.long	874253348                       ; 0x341c0c24
	.long	874255372                       ; 0x341c140c
	.long	874259460                       ; 0x341c2404
	.long	874779692                       ; 0x3424142c
	.long	874783772                       ; 0x3424241c
	.long	874787860                       ; 0x34243414
	.long	875299844                       ; 0x342c0404
	.long	875299868                       ; 0x342c041c
	.long	875306020                       ; 0x342c1c24
	.long	875312132                       ; 0x342c3404
	.long	875824172                       ; 0x3434042c
	.long	875832324                       ; 0x34342404
	.long	876481548                       ; 0x343e0c0c
	.long	876481564                       ; 0x343e0c1c
	.long	1040450564                      ; 0x3e040404
	.long	1040450596                      ; 0x3e040424
	;; [unrolled: 1-line block ×35, first 2 shown]
	.size	_ZL10iq3xs_grid, 2048

	.type	_ZL9iq2s_grid,@object           ; @_ZL9iq2s_grid
	.p2align	4, 0x0
_ZL9iq2s_grid:
	.quad	578721382704613384              ; 0x808080808080808
	.quad	578721382704613419              ; 0x80808080808082b
	;; [unrolled: 1-line block ×471, first 2 shown]
	.quad	1803700481349388313             ; 0x1908080808080819
	.quad	1803700481349392648             ; 0x1908080808081908
	.quad	1803700481349392683             ; 0x190808080808192b
	.quad	1803700481349397273             ; 0x1908080808082b19
	.quad	1803700481350502408             ; 0x1908080808190808
	.quad	1803700481350502443             ; 0x190808080819082b
	.quad	1803700481350506777             ; 0x1908080808191919
	.quad	1803700481350511368             ; 0x1908080808192b08
	.quad	1803700481350511403             ; 0x1908080808192b2b
	.quad	1803700481351682073             ; 0x19080808082b0819
	.quad	1803700481351686408             ; 0x19080808082b1908
	.quad	1803700481351686443             ; 0x19080808082b192b
	.quad	1803700481634600968             ; 0x1908080819080808
	.quad	1803700481634601003             ; 0x190808081908082b
	.quad	1803700481634605337             ; 0x1908080819081919
	.quad	1803700481634609928             ; 0x1908080819082b08
	.quad	1803700481634609963             ; 0x1908080819082b2b
	.quad	1803700481635715097             ; 0x1908080819190819
	.quad	1803700481635719432             ; 0x1908080819191908
	.quad	1803700481635719467             ; 0x190808081919192b
	.quad	1803700481635724057             ; 0x1908080819192b19
	.quad	1803700481636894728             ; 0x19080808192b0808
	.quad	1803700481636894763             ; 0x19080808192b082b
	.quad	1803700481636899097             ; 0x19080808192b1919
	.quad	1803700481936590873             ; 0x190808082b080819
	.quad	1803700481936595208             ; 0x190808082b081908
	.quad	1803700481937704968             ; 0x190808082b190808
	.quad	1803700481937709337             ; 0x190808082b191919
	.quad	1803700481937713928             ; 0x190808082b192b08
	.quad	1803700481938884633             ; 0x190808082b2b0819
	.quad	1803700481938888968             ; 0x190808082b2b1908
	.quad	1803700554363832328             ; 0x1908081908080808
	.quad	1803700554363832363             ; 0x190808190808082b
	.quad	1803700554363836697             ; 0x1908081908081919
	.quad	1803700554363841288             ; 0x1908081908082b08
	.quad	1803700554364946457             ; 0x1908081908190819
	.quad	1803700554364950792             ; 0x1908081908191908
	.quad	1803700554364950827             ; 0x190808190819192b
	.quad	1803700554364955417             ; 0x1908081908192b19
	.quad	1803700554366126088             ; 0x19080819082b0808
	.quad	1803700554366126123             ; 0x19080819082b082b
	.quad	1803700554366130457             ; 0x19080819082b1919
	.quad	1803700554649045017             ; 0x1908081919080819
	.quad	1803700554649049352             ; 0x1908081919081908
	.quad	1803700554649049387             ; 0x190808191908192b
	.quad	1803700554649053977             ; 0x1908081919082b19
	.quad	1803700554650159112             ; 0x1908081919190808
	.quad	1803700554650159147             ; 0x190808191919082b
	.quad	1803700554650163481             ; 0x1908081919191919
	.quad	1803700554650168072             ; 0x1908081919192b08
	.quad	1803700554651338777             ; 0x19080819192b0819
	.quad	1803700554651343112             ; 0x19080819192b1908
	.quad	1803700554951034888             ; 0x190808192b080808
	.quad	1803700554951034923             ; 0x190808192b08082b
	.quad	1803700554951039257             ; 0x190808192b081919
	.quad	1803700554951043848             ; 0x190808192b082b08
	.quad	1803700554952149017             ; 0x190808192b190819
	.quad	1803700554952153352             ; 0x190808192b191908
	.quad	1803700554953328648             ; 0x190808192b2b0808
	.quad	1803700631673243673             ; 0x1908082b08080819
	.quad	1803700631673248008             ; 0x1908082b08081908
	.quad	1803700631674357768             ; 0x1908082b08190808
	.quad	1803700631674357803             ; 0x1908082b0819082b
	.quad	1803700631674362137             ; 0x1908082b08191919
	.quad	1803700631674366728             ; 0x1908082b08192b08
	.quad	1803700631675541768             ; 0x1908082b082b1908
	.quad	1803700631958456328             ; 0x1908082b19080808
	.quad	1803700631958460697             ; 0x1908082b19081919
	.quad	1803700631958465288             ; 0x1908082b19082b08
	.quad	1803700631959570457             ; 0x1908082b19190819
	.quad	1803700631959574792             ; 0x1908082b19191908
	.quad	1803700631960750088             ; 0x1908082b192b0808
	.quad	1803700632260446233             ; 0x1908082b2b080819
	.quad	1803700632260450568             ; 0x1908082b2b081908
	.quad	1803719173047060488             ; 0x1908190808080808
	.quad	1803719173047060523             ; 0x190819080808082b
	.quad	1803719173047064857             ; 0x1908190808081919
	.quad	1803719173047069448             ; 0x1908190808082b08
	.quad	1803719173047069483             ; 0x1908190808082b2b
	.quad	1803719173048174617             ; 0x1908190808190819
	.quad	1803719173048178952             ; 0x1908190808191908
	.quad	1803719173048178987             ; 0x190819080819192b
	.quad	1803719173048183577             ; 0x1908190808192b19
	.quad	1803719173049354248             ; 0x19081908082b0808
	.quad	1803719173049354283             ; 0x19081908082b082b
	.quad	1803719173049358617             ; 0x19081908082b1919
	.quad	1803719173049363208             ; 0x19081908082b2b08
	.quad	1803719173332273177             ; 0x1908190819080819
	.quad	1803719173332277512             ; 0x1908190819081908
	.quad	1803719173332277547             ; 0x190819081908192b
	.quad	1803719173332282137             ; 0x1908190819082b19
	.quad	1803719173333387272             ; 0x1908190819190808
	.quad	1803719173333387307             ; 0x190819081919082b
	.quad	1803719173333391641             ; 0x1908190819191919
	.quad	1803719173333396232             ; 0x1908190819192b08
	.quad	1803719173334566937             ; 0x19081908192b0819
	.quad	1803719173334571272             ; 0x19081908192b1908
	.quad	1803719173634263048             ; 0x190819082b080808
	.quad	1803719173634263083             ; 0x190819082b08082b
	.quad	1803719173634267417             ; 0x190819082b081919
	.quad	1803719173634272008             ; 0x190819082b082b08
	.quad	1803719173635377177             ; 0x190819082b190819
	.quad	1803719173635381512             ; 0x190819082b191908
	.quad	1803719173636556808             ; 0x190819082b2b0808
	.quad	1803719246061504537             ; 0x1908191908080819
	.quad	1803719246061508872             ; 0x1908191908081908
	.quad	1803719246061508907             ; 0x190819190808192b
	.quad	1803719246061513497             ; 0x1908191908082b19
	.quad	1803719246062618632             ; 0x1908191908190808
	.quad	1803719246062618667             ; 0x190819190819082b
	.quad	1803719246062623001             ; 0x1908191908191919
	.quad	1803719246062627592             ; 0x1908191908192b08
	.quad	1803719246063798297             ; 0x19081919082b0819
	.quad	1803719246063802632             ; 0x19081919082b1908
	.quad	1803719246346717192             ; 0x1908191919080808
	.quad	1803719246346717227             ; 0x190819191908082b
	.quad	1803719246346721561             ; 0x1908191919081919
	.quad	1803719246346726152             ; 0x1908191919082b08
	.quad	1803719246347831321             ; 0x1908191919190819
	.quad	1803719246347835656             ; 0x1908191919191908
	.quad	1803719246349010952             ; 0x19081919192b0808
	.quad	1803719246349019947             ; 0x19081919192b2b2b
	.quad	1803719246648707097             ; 0x190819192b080819
	.quad	1803719246648711432             ; 0x190819192b081908
	.quad	1803719246649821192             ; 0x190819192b190808
	.quad	1803719323370915848             ; 0x1908192b08080808
	.quad	1803719323370915883             ; 0x1908192b0808082b
	.quad	1803719323370920217             ; 0x1908192b08081919
	.quad	1803719323370924808             ; 0x1908192b08082b08
	.quad	1803719323372029977             ; 0x1908192b08190819
	.quad	1803719323372034312             ; 0x1908192b08191908
	.quad	1803719323373209608             ; 0x1908192b082b0808
	.quad	1803719323656128537             ; 0x1908192b19080819
	.quad	1803719323656132872             ; 0x1908192b19081908
	.quad	1803719323657242632             ; 0x1908192b19190808
	.quad	1803719323958118408             ; 0x1908192b2b080808
	.quad	1803719323960416537             ; 0x1908192b2b2b1919
	.quad	1803738964256360473             ; 0x19082b0808080819
	.quad	1803738964256364808             ; 0x19082b0808081908
	.quad	1803738964256369433             ; 0x19082b0808082b19
	.quad	1803738964257474568             ; 0x19082b0808190808
	.quad	1803738964257474603             ; 0x19082b080819082b
	.quad	1803738964257478937             ; 0x19082b0808191919
	.quad	1803738964257483528             ; 0x19082b0808192b08
	.quad	1803738964258654233             ; 0x19082b08082b0819
	.quad	1803738964258658568             ; 0x19082b08082b1908
	.quad	1803738964541573128             ; 0x19082b0819080808
	.quad	1803738964541573163             ; 0x19082b081908082b
	.quad	1803738964541577497             ; 0x19082b0819081919
	.quad	1803738964541582088             ; 0x19082b0819082b08
	.quad	1803738964542687257             ; 0x19082b0819190819
	.quad	1803738964542691592             ; 0x19082b0819191908
	.quad	1803738964543866888             ; 0x19082b08192b0808
	.quad	1803738964843567368             ; 0x19082b082b081908
	.quad	1803738964844677128             ; 0x19082b082b190808
	.quad	1803739037270804488             ; 0x19082b1908080808
	.quad	1803739037270804523             ; 0x19082b190808082b
	.quad	1803739037270808857             ; 0x19082b1908081919
	.quad	1803739037270813448             ; 0x19082b1908082b08
	.quad	1803739037271918617             ; 0x19082b1908190819
	.quad	1803739037271922952             ; 0x19082b1908191908
	.quad	1803739037273098248             ; 0x19082b19082b0808
	.quad	1803739037556017177             ; 0x19082b1919080819
	.quad	1803739037556021512             ; 0x19082b1919081908
	.quad	1803739037557131272             ; 0x19082b1919190808
	.quad	1803739037858007048             ; 0x19082b192b080808
	.quad	1803739037859125547             ; 0x19082b192b19192b
	.quad	1803739114580215833             ; 0x19082b2b08080819
	.quad	1803739114580220168             ; 0x19082b2b08081908
	.quad	1803739114581329928             ; 0x19082b2b08190808
	.quad	1803739114865428488             ; 0x19082b2b19080808
	.quad	1808485555953469448             ; 0x1919080808080808
	.quad	1808485555953469483             ; 0x191908080808082b
	.quad	1808485555953473817             ; 0x1919080808081919
	.quad	1808485555953478408             ; 0x1919080808082b08
	.quad	1808485555954583577             ; 0x1919080808190819
	.quad	1808485555954587912             ; 0x1919080808191908
	.quad	1808485555954587947             ; 0x191908080819192b
	.quad	1808485555954592537             ; 0x1919080808192b19
	.quad	1808485555955763208             ; 0x19190808082b0808
	.quad	1808485555955763243             ; 0x19190808082b082b
	.quad	1808485555955767577             ; 0x19190808082b1919
	.quad	1808485555955772168             ; 0x19190808082b2b08
	.quad	1808485556238682137             ; 0x1919080819080819
	.quad	1808485556238686472             ; 0x1919080819081908
	.quad	1808485556238686507             ; 0x191908081908192b
	.quad	1808485556238691097             ; 0x1919080819082b19
	.quad	1808485556239796232             ; 0x1919080819190808
	.quad	1808485556239796267             ; 0x191908081919082b
	.quad	1808485556239800601             ; 0x1919080819191919
	.quad	1808485556239805192             ; 0x1919080819192b08
	.quad	1808485556240975897             ; 0x19190808192b0819
	.quad	1808485556240980232             ; 0x19190808192b1908
	.quad	1808485556540672008             ; 0x191908082b080808
	.quad	1808485556540672043             ; 0x191908082b08082b
	.quad	1808485556540676377             ; 0x191908082b081919
	.quad	1808485556540680968             ; 0x191908082b082b08
	.quad	1808485556541786137             ; 0x191908082b190819
	.quad	1808485556541790472             ; 0x191908082b191908
	.quad	1808485628967913497             ; 0x1919081908080819
	.quad	1808485628967917832             ; 0x1919081908081908
	.quad	1808485628967917867             ; 0x191908190808192b
	.quad	1808485628967922457             ; 0x1919081908082b19
	.quad	1808485628969027592             ; 0x1919081908190808
	.quad	1808485628969027627             ; 0x191908190819082b
	.quad	1808485628969031961             ; 0x1919081908191919
	.quad	1808485628969036552             ; 0x1919081908192b08
	.quad	1808485628970207257             ; 0x19190819082b0819
	.quad	1808485628970211592             ; 0x19190819082b1908
	.quad	1808485629253126152             ; 0x1919081919080808
	.quad	1808485629253126187             ; 0x191908191908082b
	.quad	1808485629253130521             ; 0x1919081919081919
	.quad	1808485629253135112             ; 0x1919081919082b08
	.quad	1808485629254240281             ; 0x1919081919190819
	.quad	1808485629254244616             ; 0x1919081919191908
	.quad	1808485629255419912             ; 0x19190819192b0808
	.quad	1808485629555116057             ; 0x191908192b080819
	.quad	1808485629555120392             ; 0x191908192b081908
	.quad	1808485629556230152             ; 0x191908192b190808
	.quad	1808485706277324808             ; 0x1919082b08080808
	.quad	1808485706277329177             ; 0x1919082b08081919
	.quad	1808485706277333768             ; 0x1919082b08082b08
	.quad	1808485706278438937             ; 0x1919082b08190819
	.quad	1808485706278443272             ; 0x1919082b08191908
	.quad	1808485706279618568             ; 0x1919082b082b0808
	.quad	1808485706562537497             ; 0x1919082b19080819
	.quad	1808485706562541832             ; 0x1919082b19081908
	.quad	1808485706563651592             ; 0x1919082b19190808
	.quad	1808485706564840217             ; 0x1919082b192b2b19
	.quad	1808485706864527368             ; 0x1919082b2b080808
	.quad	1808504247651141657             ; 0x1919190808080819
	.quad	1808504247651145992             ; 0x1919190808081908
	.quad	1808504247651146027             ; 0x191919080808192b
	.quad	1808504247651150617             ; 0x1919190808082b19
	.quad	1808504247652255752             ; 0x1919190808190808
	.quad	1808504247652255787             ; 0x191919080819082b
	.quad	1808504247652260121             ; 0x1919190808191919
	.quad	1808504247652264712             ; 0x1919190808192b08
	.quad	1808504247653435417             ; 0x19191908082b0819
	.quad	1808504247653439752             ; 0x19191908082b1908
	.quad	1808504247936354312             ; 0x1919190819080808
	.quad	1808504247936354347             ; 0x191919081908082b
	.quad	1808504247936358681             ; 0x1919190819081919
	.quad	1808504247936363272             ; 0x1919190819082b08
	.quad	1808504247937468441             ; 0x1919190819190819
	.quad	1808504247937472776             ; 0x1919190819191908
	.quad	1808504247938648072             ; 0x19191908192b0808
	.quad	1808504248238344217             ; 0x191919082b080819
	.quad	1808504248238348552             ; 0x191919082b081908
	.quad	1808504248239458312             ; 0x191919082b190808
	.quad	1808504320665585672             ; 0x1919191908080808
	.quad	1808504320665585707             ; 0x191919190808082b
	.quad	1808504320665590041             ; 0x1919191908081919
	.quad	1808504320665594632             ; 0x1919191908082b08
	.quad	1808504320666699801             ; 0x1919191908190819
	.quad	1808504320666704136             ; 0x1919191908191908
	.quad	1808504320667879432             ; 0x19191919082b0808
	.quad	1808504320950798361             ; 0x1919191919080819
	.quad	1808504320950802696             ; 0x1919191919081908
	.quad	1808504320951912456             ; 0x1919191919190808
	.quad	1808504321252788232             ; 0x191919192b080808
	.quad	1808504397974997017             ; 0x1919192b08080819
	.quad	1808504397975001352             ; 0x1919192b08081908
	.quad	1808504397976111112             ; 0x1919192b08190808
	.quad	1808504397977295147             ; 0x1919192b082b192b
	.quad	1808504398260209672             ; 0x1919192b19080808
	.quad	1808524038860441608             ; 0x19192b0808080808
	.quad	1808524038860441643             ; 0x19192b080808082b
	.quad	1808524038860445977             ; 0x19192b0808081919
	.quad	1808524038860450568             ; 0x19192b0808082b08
	.quad	1808524038861555737             ; 0x19192b0808190819
	.quad	1808524038861560072             ; 0x19192b0808191908
	.quad	1808524038862735368             ; 0x19192b08082b0808
	.quad	1808524039145654297             ; 0x19192b0819080819
	.quad	1808524039145658632             ; 0x19192b0819081908
	.quad	1808524039146768392             ; 0x19192b0819190808
	.quad	1808524039146777387             ; 0x19192b0819192b2b
	.quad	1808524039447644168             ; 0x19192b082b080808
	.quad	1808524111874885657             ; 0x19192b1908080819
	.quad	1808524111874889992             ; 0x19192b1908081908
	.quad	1808524111875999752             ; 0x19192b1908190808
	.quad	1808524112160098312             ; 0x19192b1919080808
	.quad	1808524189184296968             ; 0x19192b2b08080808
	.quad	1808524189185420057             ; 0x19192b2b08192b19
	.quad	1808524189771503897             ; 0x19192b2b2b081919
	.quad	1808524189773802248             ; 0x19192b2b2b2b2b08
	.quad	1813552105534261273             ; 0x192b080808080819
	.quad	1813552105534265608             ; 0x192b080808081908
	.quad	1813552105534265643             ; 0x192b08080808192b
	.quad	1813552105535375368             ; 0x192b080808190808
	.quad	1813552105535375403             ; 0x192b08080819082b
	.quad	1813552105535379737             ; 0x192b080808191919
	.quad	1813552105535384328             ; 0x192b080808192b08
	.quad	1813552105536555033             ; 0x192b0808082b0819
	.quad	1813552105536559368             ; 0x192b0808082b1908
	.quad	1813552105819473928             ; 0x192b080819080808
	.quad	1813552105819478297             ; 0x192b080819081919
	.quad	1813552105819482888             ; 0x192b080819082b08
	.quad	1813552105820588057             ; 0x192b080819190819
	.quad	1813552105820592392             ; 0x192b080819191908
	.quad	1813552105821767688             ; 0x192b0808192b0808
	.quad	1813552106121468168             ; 0x192b08082b081908
	.quad	1813552106122577928             ; 0x192b08082b190808
	.quad	1813552178548705288             ; 0x192b081908080808
	.quad	1813552178548705323             ; 0x192b08190808082b
	.quad	1813552178548709657             ; 0x192b081908081919
	.quad	1813552178548714248             ; 0x192b081908082b08
	.quad	1813552178549819417             ; 0x192b081908190819
	.quad	1813552178549823752             ; 0x192b081908191908
	.quad	1813552178550999048             ; 0x192b0819082b0808
	.quad	1813552178833917977             ; 0x192b081919080819
	.quad	1813552178833922312             ; 0x192b081919081908
	.quad	1813552178835032072             ; 0x192b081919190808
	.quad	1813552179135907848             ; 0x192b08192b080808
	.quad	1813552179137030937             ; 0x192b08192b192b19
	.quad	1813552255858120968             ; 0x192b082b08081908
	.quad	1813552255859230728             ; 0x192b082b08190808
	.quad	1813552256143329288             ; 0x192b082b19080808
	.quad	1813552256144447787             ; 0x192b082b1919192b
	.quad	1813552256447612953             ; 0x192b082b2b2b0819
	.quad	1813570797231933448             ; 0x192b190808080808
	.quad	1813570797231937817             ; 0x192b190808081919
	.quad	1813570797231942408             ; 0x192b190808082b08
	.quad	1813570797233047577             ; 0x192b190808190819
	.quad	1813570797233051912             ; 0x192b190808191908
	.quad	1813570797234227208             ; 0x192b1908082b0808
	.quad	1813570797517146137             ; 0x192b190819080819
	.quad	1813570797517150472             ; 0x192b190819081908
	.quad	1813570797518260232             ; 0x192b190819190808
	.quad	1813570797819136008             ; 0x192b19082b080808
	.quad	1813570870246377497             ; 0x192b191908080819
	.quad	1813570870246381832             ; 0x192b191908081908
	.quad	1813570870247491592             ; 0x192b191908190808
	.quad	1813570870531590152             ; 0x192b191919080808
	.quad	1813570870531599147             ; 0x192b191919082b2b
	.quad	1813570870533892872             ; 0x192b1919192b2b08
	.quad	1813570870834694187             ; 0x192b19192b19082b
	.quad	1813570947555788808             ; 0x192b192b08080808
	.quad	1813570948144109832             ; 0x192b192b2b191908
	.quad	1813590588441233433             ; 0x192b2b0808080819
	.quad	1813590588441237768             ; 0x192b2b0808081908
	.quad	1813590588442347528             ; 0x192b2b0808190808
	.quad	1813590588728744217             ; 0x192b2b08192b1919
	.quad	1813590589029559048             ; 0x192b2b082b192b08
	.quad	1813590661455677448             ; 0x192b2b1908080808
	.quad	1813590661457980203             ; 0x192b2b19082b2b2b
	.quad	1813590739050301483             ; 0x192b2b2b1908082b
	.quad	1813590739354585113             ; 0x192b2b2b2b2b0819
	.quad	3100737174032091144             ; 0x2b08080808080808
	.quad	3100737174032091179             ; 0x2b0808080808082b
	.quad	3100737174032095513             ; 0x2b08080808081919
	.quad	3100737174032100104             ; 0x2b08080808082b08
	.quad	3100737174033205273             ; 0x2b08080808190819
	.quad	3100737174033209608             ; 0x2b08080808191908
	.quad	3100737174033214233             ; 0x2b08080808192b19
	.quad	3100737174034384904             ; 0x2b080808082b0808
	.quad	3100737174034389273             ; 0x2b080808082b1919
	.quad	3100737174317303833             ; 0x2b08080819080819
	.quad	3100737174317308168             ; 0x2b08080819081908
	.quad	3100737174318417928             ; 0x2b08080819190808
	.quad	3100737174318417963             ; 0x2b0808081919082b
	.quad	3100737174318422297             ; 0x2b08080819191919
	.quad	3100737174318426888             ; 0x2b08080819192b08
	.quad	3100737174319597593             ; 0x2b080808192b0819
	.quad	3100737174619293704             ; 0x2b0808082b080808
	.quad	3100737174619298073             ; 0x2b0808082b081919
	.quad	3100737174620407833             ; 0x2b0808082b190819
	.quad	3100737174620412168             ; 0x2b0808082b191908
	.quad	3100737247046535193             ; 0x2b08081908080819
	.quad	3100737247046539528             ; 0x2b08081908081908
	.quad	3100737247046544153             ; 0x2b08081908082b19
	.quad	3100737247047649288             ; 0x2b08081908190808
	.quad	3100737247047649323             ; 0x2b0808190819082b
	.quad	3100737247047653657             ; 0x2b08081908191919
	.quad	3100737247047658248             ; 0x2b08081908192b08
	.quad	3100737247048828953             ; 0x2b080819082b0819
	.quad	3100737247048833288             ; 0x2b080819082b1908
	.quad	3100737247331747848             ; 0x2b08081919080808
	.quad	3100737247331747883             ; 0x2b0808191908082b
	.quad	3100737247331752217             ; 0x2b08081919081919
	.quad	3100737247331756808             ; 0x2b08081919082b08
	.quad	3100737247332861977             ; 0x2b08081919190819
	.quad	3100737247332866312             ; 0x2b08081919191908
	.quad	3100737247633737753             ; 0x2b0808192b080819
	.quad	3100737247633742088             ; 0x2b0808192b081908
	.quad	3100737247634851848             ; 0x2b0808192b190808
	.quad	3100737247636040473             ; 0x2b0808192b2b2b19
	.quad	3100737324355946504             ; 0x2b08082b08080808
	.quad	3100737324355950873             ; 0x2b08082b08081919
	.quad	3100737324355955499             ; 0x2b08082b08082b2b
	.quad	3100737324357060633             ; 0x2b08082b08190819
	.quad	3100737324357064968             ; 0x2b08082b08191908
	.quad	3100737324641159193             ; 0x2b08082b19080819
	.quad	3100737324641163528             ; 0x2b08082b19081908
	.quad	3100737324642273288             ; 0x2b08082b19190808
	.quad	3100755865729763353             ; 0x2b08190808080819
	.quad	3100755865729767688             ; 0x2b08190808081908
	.quad	3100755865729767723             ; 0x2b0819080808192b
	.quad	3100755865729772313             ; 0x2b08190808082b19
	.quad	3100755865730877448             ; 0x2b08190808190808
	.quad	3100755865730877483             ; 0x2b0819080819082b
	.quad	3100755865730881817             ; 0x2b08190808191919
	.quad	3100755865730886408             ; 0x2b08190808192b08
	.quad	3100755865732057113             ; 0x2b081908082b0819
	.quad	3100755866014976008             ; 0x2b08190819080808
	.quad	3100755866014976043             ; 0x2b0819081908082b
	.quad	3100755866014980377             ; 0x2b08190819081919
	.quad	3100755866014984968             ; 0x2b08190819082b08
	.quad	3100755866016090137             ; 0x2b08190819190819
	.quad	3100755866016094472             ; 0x2b08190819191908
	.quad	3100755866017269768             ; 0x2b081908192b0808
	.quad	3100755866316965913             ; 0x2b0819082b080819
	.quad	3100755866316970248             ; 0x2b0819082b081908
	.quad	3100755866318080008             ; 0x2b0819082b190808
	.quad	3100755938744207368             ; 0x2b08191908080808
	.quad	3100755938744207403             ; 0x2b0819190808082b
	.quad	3100755938744211737             ; 0x2b08191908081919
	.quad	3100755938744216328             ; 0x2b08191908082b08
	.quad	3100755938745321497             ; 0x2b08191908190819
	.quad	3100755938745325832             ; 0x2b08191908191908
	.quad	3100755938746501128             ; 0x2b081919082b0808
	.quad	3100755939029420057             ; 0x2b08191919080819
	.quad	3100755939029424392             ; 0x2b08191919081908
	.quad	3100755939030534152             ; 0x2b08191919190808
	.quad	3100755939331409928             ; 0x2b0819192b080808
	.quad	3100755939331418923             ; 0x2b0819192b082b2b
	.quad	3100756016053618713             ; 0x2b08192b08080819
	.quad	3100756016053623048             ; 0x2b08192b08081908
	.quad	3100756016054732808             ; 0x2b08192b08190808
	.quad	3100756016055921433             ; 0x2b08192b082b2b19
	.quad	3100756016338831368             ; 0x2b08192b19080808
	.quad	3100775656939063304             ; 0x2b082b0808080808
	.quad	3100775656939067673             ; 0x2b082b0808081919
	.quad	3100775656940177433             ; 0x2b082b0808190819
	.quad	3100775656940181768             ; 0x2b082b0808191908
	.quad	3100775657224275993             ; 0x2b082b0819080819
	.quad	3100775657224280328             ; 0x2b082b0819081908
	.quad	3100775657225390088             ; 0x2b082b0819190808
	.quad	3100775657528559659             ; 0x2b082b082b2b082b
	.quad	3100775729953507353             ; 0x2b082b1908080819
	.quad	3100775729953511688             ; 0x2b082b1908081908
	.quad	3100775730238720008             ; 0x2b082b1919080808
	.quad	3100775730241018137             ; 0x2b082b19192b1919
	.quad	3100775807265212459             ; 0x2b082b2b082b082b
	.quad	3100775807549254408             ; 0x2b082b2b19192b08
	.quad	3100775807549254443             ; 0x2b082b2b19192b2b
	.quad	3100775807850121259             ; 0x2b082b2b2b08082b
	.quad	3100775807852415019             ; 0x2b082b2b2b2b082b
	.quad	3105522248636172313             ; 0x2b19080808080819
	.quad	3105522248636176648             ; 0x2b19080808081908
	.quad	3105522248636181273             ; 0x2b19080808082b19
	.quad	3105522248637286408             ; 0x2b19080808190808
	.quad	3105522248637286443             ; 0x2b1908080819082b
	.quad	3105522248637290777             ; 0x2b19080808191919
	.quad	3105522248637295368             ; 0x2b19080808192b08
	.quad	3105522248638470408             ; 0x2b190808082b1908
	.quad	3105522248921384968             ; 0x2b19080819080808
	.quad	3105522248921385003             ; 0x2b1908081908082b
	.quad	3105522248921389337             ; 0x2b19080819081919
	.quad	3105522248921393928             ; 0x2b19080819082b08
	.quad	3105522248922499097             ; 0x2b19080819190819
	.quad	3105522248922503432             ; 0x2b19080819191908
	.quad	3105522248923678728             ; 0x2b190808192b0808
	.quad	3105522249223374873             ; 0x2b1908082b080819
	.quad	3105522249223379208             ; 0x2b1908082b081908
	.quad	3105522249224488968             ; 0x2b1908082b190808
	.quad	3105522321650616328             ; 0x2b19081908080808
	.quad	3105522321650620697             ; 0x2b19081908081919
	.quad	3105522321651730457             ; 0x2b19081908190819
	.quad	3105522321651734792             ; 0x2b19081908191908
	.quad	3105522321935829017             ; 0x2b19081919080819
	.quad	3105522321935833352             ; 0x2b19081919081908
	.quad	3105522321936943112             ; 0x2b19081919190808
	.quad	3105522321936952107             ; 0x2b19081919192b2b
	.quad	3105522398960027673             ; 0x2b19082b08080819
	.quad	3105522398960032008             ; 0x2b19082b08081908
	.quad	3105522398961141768             ; 0x2b19082b08190808
	.quad	3105522399245240328             ; 0x2b19082b19080808
	.quad	3105522399549528363             ; 0x2b19082b2b2b192b
	.quad	3105540940333844488             ; 0x2b19190808080808
	.quad	3105540940333844523             ; 0x2b1919080808082b
	.quad	3105540940333848857             ; 0x2b19190808081919
	.quad	3105540940333853448             ; 0x2b19190808082b08
	.quad	3105540940334958617             ; 0x2b19190808190819
	.quad	3105540940334962952             ; 0x2b19190808191908
	.quad	3105540940336138248             ; 0x2b191908082b0808
	.quad	3105540940619057177             ; 0x2b19190819080819
	.quad	3105540940619061512             ; 0x2b19190819081908
	.quad	3105540940620171272             ; 0x2b19190819190808
	.quad	3105540940921047048             ; 0x2b1919082b080808
	.quad	3105540940922165547             ; 0x2b1919082b19192b
	.quad	3105541013348288537             ; 0x2b19191908080819
	.quad	3105541013348292872             ; 0x2b19191908081908
	.quad	3105541013349402632             ; 0x2b19191908190808
	.quad	3105541013633501192             ; 0x2b19191919080808
	.quad	3105541013936614152             ; 0x2b1919192b192b08
	.quad	3105541013937784857             ; 0x2b1919192b2b0819
	.quad	3105541090657699848             ; 0x2b19192b08080808
	.quad	3105541090942916907             ; 0x2b19192b1908192b
	.quad	3105541090945210632             ; 0x2b19192b192b1908
	.quad	3105560731543144473             ; 0x2b192b0808080819
	.quad	3105560731543148808             ; 0x2b192b0808081908
	.quad	3105560731544258568             ; 0x2b192b0808190808
	.quad	3105560731545442603             ; 0x2b192b08082b192b
	.quad	3105560731828357128             ; 0x2b192b0819080808
	.quad	3105560732132649753             ; 0x2b192b082b2b2b19
	.quad	3105560804557588488             ; 0x2b192b1908080808
	.quad	3105560804842810137             ; 0x2b192b1919082b19
	.quad	3105560804843915307             ; 0x2b192b191919082b
	.quad	3105560882455316488             ; 0x2b192b2b2b190808
	.quad	3110588798216964104             ; 0x2b2b080808080808
	.quad	3110588798216968473             ; 0x2b2b080808081919
	.quad	3110588798216973099             ; 0x2b2b080808082b2b
	.quad	3110588798218082568             ; 0x2b2b080808191908
	.quad	3110588798219257899             ; 0x2b2b0808082b082b
	.quad	3110588798219266859             ; 0x2b2b0808082b2b2b
	.quad	3110588798502176793             ; 0x2b2b080819080819
	.quad	3110588798502181128             ; 0x2b2b080819081908
	.quad	3110588798503290888             ; 0x2b2b080819190808
	.quad	3110588798806460459             ; 0x2b2b08082b2b082b
	.quad	3110588798806469419             ; 0x2b2b08082b2b2b2b
	.quad	3110588871516620808             ; 0x2b2b081919080808
	.quad	3110588871518918937             ; 0x2b2b0819192b1919
	.quad	3110588948540819499             ; 0x2b2b082b0808082b
	.quad	3110588948540828459             ; 0x2b2b082b08082b2b
	.quad	3110588948543113259             ; 0x2b2b082b082b082b
	.quad	3110588948543122184             ; 0x2b2b082b082b2b08
	.quad	3110588948543122219             ; 0x2b2b082b082b2b2b
	.quad	3110588949128022059             ; 0x2b2b082b2b08082b
	.quad	3110588949128030984             ; 0x2b2b082b2b082b08
	.quad	3110588949128031019             ; 0x2b2b082b2b082b2b
	.quad	3110588949130324744             ; 0x2b2b082b2b2b2b08
	.quad	3110607489914636313             ; 0x2b2b190808080819
	.quad	3110607489914640648             ; 0x2b2b190808081908
	.quad	3110607489915750408             ; 0x2b2b190808190808
	.quad	3110607490199848968             ; 0x2b2b190819080808
	.quad	3110607490501847833             ; 0x2b2b19082b082b19
	.quad	3110607490504136968             ; 0x2b2b19082b2b1908
	.quad	3110607562929080328             ; 0x2b2b191908080808
	.quad	3110607562930203417             ; 0x2b2b191908192b19
	.quad	3110607640524818457             ; 0x2b2b192b19190819
	.quad	3110627281123945259             ; 0x2b2b2b0808082b2b
	.quad	3110627281126238984             ; 0x2b2b2b08082b2b08
	.quad	3110627281713432619             ; 0x2b2b2b082b2b082b
	.quad	3110627354424711432             ; 0x2b2b2b1919191908
	.quad	3110627354725587243             ; 0x2b2b2b192b08192b
	.quad	3110627431447800584             ; 0x2b2b2b2b08082b08
	.quad	3110627431447800619             ; 0x2b2b2b2b08082b2b
	.quad	3110627431450085384             ; 0x2b2b2b2b082b0808
	.quad	3110627431450085419             ; 0x2b2b2b2b082b082b
	.quad	3110627431450094344             ; 0x2b2b2b2b082b2b08
	.quad	3110627432035003144             ; 0x2b2b2b2b2b082b08
	.quad	3110627432037296939             ; 0x2b2b2b2b2b2b2b2b
	.size	_ZL9iq2s_grid, 8192

	.type	_ZL8ksigns64,@object            ; @_ZL8ksigns64
	.p2align	4, 0x0
_ZL8ksigns64:
	.quad	0                               ; 0x0
	.quad	-72057594037927681              ; 0xff000000000000ff
	.quad	-72057594037862656              ; 0xff0000000000ff00
	.quad	65535                           ; 0xffff
	.quad	-72057594021216256              ; 0xff00000000ff0000
	.quad	16711935                        ; 0xff00ff
	.quad	16776960                        ; 0xffff00
	.quad	-72057594021150721              ; 0xff00000000ffffff
	.quad	-72057589759737856              ; 0xff000000ff000000
	.quad	4278190335                      ; 0xff0000ff
	.quad	4278255360                      ; 0xff00ff00
	.quad	-72057589759672321              ; 0xff000000ff00ffff
	.quad	4294901760                      ; 0xffff0000
	.quad	-72057589743025921              ; 0xff000000ffff00ff
	.quad	-72057589742960896              ; 0xff000000ffffff00
	.quad	4294967295                      ; 0xffffffff
	.quad	-72056498821267456              ; 0xff0000ff00000000
	.quad	1095216660735                   ; 0xff000000ff
	.quad	1095216725760                   ; 0xff0000ff00
	.quad	-72056498821201921              ; 0xff0000ff0000ffff
	.quad	1095233372160                   ; 0xff00ff0000
	.quad	-72056498804555521              ; 0xff0000ff00ff00ff
	.quad	-72056498804490496              ; 0xff0000ff00ffff00
	.quad	1095233437695                   ; 0xff00ffffff
	.quad	1099494850560                   ; 0xffff000000
	.quad	-72056494543077121              ; 0xff0000ffff0000ff
	.quad	-72056494543012096              ; 0xff0000ffff00ff00
	.quad	1099494916095                   ; 0xffff00ffff
	.quad	-72056494526365696              ; 0xff0000ffffff0000
	.quad	1099511562495                   ; 0xffffff00ff
	.quad	1099511627520                   ; 0xffffffff00
	.quad	-72056494526300161              ; 0xff0000ffffffffff
	.quad	-71777218572845056              ; 0xff00ff0000000000
	.quad	280375465083135                 ; 0xff00000000ff
	.quad	280375465148160                 ; 0xff000000ff00
	.quad	-71777218572779521              ; 0xff00ff000000ffff
	.quad	280375481794560                 ; 0xff0000ff0000
	.quad	-71777218556133121              ; 0xff00ff0000ff00ff
	.quad	-71777218556068096              ; 0xff00ff0000ffff00
	.quad	280375481860095                 ; 0xff0000ffffff
	.quad	280379743272960                 ; 0xff00ff000000
	.quad	-71777214294654721              ; 0xff00ff00ff0000ff
	.quad	-71777214294589696              ; 0xff00ff00ff00ff00
	.quad	280379743338495                 ; 0xff00ff00ffff
	.quad	-71777214277943296              ; 0xff00ff00ffff0000
	.quad	280379759984895                 ; 0xff00ffff00ff
	.quad	280379760049920                 ; 0xff00ffffff00
	.quad	-71777214277877761              ; 0xff00ff00ffffffff
	.quad	281470681743360                 ; 0xffff00000000
	.quad	-71776123356184321              ; 0xff00ffff000000ff
	.quad	-71776123356119296              ; 0xff00ffff0000ff00
	.quad	281470681808895                 ; 0xffff0000ffff
	.quad	-71776123339472896              ; 0xff00ffff00ff0000
	.quad	281470698455295                 ; 0xffff00ff00ff
	.quad	281470698520320                 ; 0xffff00ffff00
	.quad	-71776123339407361              ; 0xff00ffff00ffffff
	.quad	-71776119077994496              ; 0xff00ffffff000000
	.quad	281474959933695                 ; 0xffffff0000ff
	.quad	281474959998720                 ; 0xffffff00ff00
	.quad	-71776119077928961              ; 0xff00ffffff00ffff
	.quad	281474976645120                 ; 0xffffffff0000
	.quad	-71776119061282561              ; 0xff00ffffffff00ff
	.quad	-71776119061217536              ; 0xff00ffffffffff00
	.quad	281474976710655                 ; 0xffffffffffff
	.quad	-281474976710656                ; 0xffff000000000000
	.quad	71776119061217535               ; 0xff0000000000ff
	.quad	71776119061282560               ; 0xff00000000ff00
	.quad	-281474976645121                ; 0xffff00000000ffff
	.quad	71776119077928960               ; 0xff000000ff0000
	.quad	-281474959998721                ; 0xffff000000ff00ff
	.quad	-281474959933696                ; 0xffff000000ffff00
	.quad	71776119077994495               ; 0xff000000ffffff
	.quad	71776123339407360               ; 0xff0000ff000000
	.quad	-281470698520321                ; 0xffff0000ff0000ff
	.quad	-281470698455296                ; 0xffff0000ff00ff00
	.quad	71776123339472895               ; 0xff0000ff00ffff
	.quad	-281470681808896                ; 0xffff0000ffff0000
	.quad	71776123356119295               ; 0xff0000ffff00ff
	.quad	71776123356184320               ; 0xff0000ffffff00
	.quad	-281470681743361                ; 0xffff0000ffffffff
	.quad	71777214277877760               ; 0xff00ff00000000
	.quad	-280379760049921                ; 0xffff00ff000000ff
	.quad	-280379759984896                ; 0xffff00ff0000ff00
	.quad	71777214277943295               ; 0xff00ff0000ffff
	.quad	-280379743338496                ; 0xffff00ff00ff0000
	.quad	71777214294589695               ; 0xff00ff00ff00ff
	.quad	71777214294654720               ; 0xff00ff00ffff00
	.quad	-280379743272961                ; 0xffff00ff00ffffff
	.quad	-280375481860096                ; 0xffff00ffff000000
	.quad	71777218556068095               ; 0xff00ffff0000ff
	.quad	71777218556133120               ; 0xff00ffff00ff00
	.quad	-280375481794561                ; 0xffff00ffff00ffff
	.quad	71777218572779520               ; 0xff00ffffff0000
	.quad	-280375465148161                ; 0xffff00ffffff00ff
	.quad	-280375465083136                ; 0xffff00ffffffff00
	.quad	71777218572845055               ; 0xff00ffffffffff
	.quad	72056494526300160               ; 0xffff0000000000
	.quad	-1099511627521                  ; 0xffffff00000000ff
	.quad	-1099511562496                  ; 0xffffff000000ff00
	.quad	72056494526365695               ; 0xffff000000ffff
	.quad	-1099494916096                  ; 0xffffff0000ff0000
	.quad	72056494543012095               ; 0xffff0000ff00ff
	.quad	72056494543077120               ; 0xffff0000ffff00
	.quad	-1099494850561                  ; 0xffffff0000ffffff
	.quad	-1095233437696                  ; 0xffffff00ff000000
	.quad	72056498804490495               ; 0xffff00ff0000ff
	.quad	72056498804555520               ; 0xffff00ff00ff00
	.quad	-1095233372161                  ; 0xffffff00ff00ffff
	.quad	72056498821201920               ; 0xffff00ffff0000
	.quad	-1095216725761                  ; 0xffffff00ffff00ff
	.quad	-1095216660736                  ; 0xffffff00ffffff00
	.quad	72056498821267455               ; 0xffff00ffffffff
	.quad	-4294967296                     ; 0xffffffff00000000
	.quad	72057589742960895               ; 0xffffff000000ff
	.quad	72057589743025920               ; 0xffffff0000ff00
	.quad	-4294901761                     ; 0xffffffff0000ffff
	.quad	72057589759672320               ; 0xffffff00ff0000
	.quad	-4278255361                     ; 0xffffffff00ff00ff
	.quad	-4278190336                     ; 0xffffffff00ffff00
	.quad	72057589759737855               ; 0xffffff00ffffff
	.quad	72057594021150720               ; 0xffffffff000000
	.quad	-16776961                       ; 0xffffffffff0000ff
	.quad	-16711936                       ; 0xffffffffff00ff00
	.quad	72057594021216255               ; 0xffffffff00ffff
	.quad	-65536                          ; 0xffffffffffff0000
	.quad	72057594037862655               ; 0xffffffffff00ff
	.quad	72057594037927680               ; 0xffffffffffff00
	.quad	-1                              ; 0xffffffffffffffff
	.size	_ZL8ksigns64, 1024

	.type	__hip_cuid_f8cb66c69467ee73,@object ; @__hip_cuid_f8cb66c69467ee73
	.section	.bss,"aw",@nobits
	.globl	__hip_cuid_f8cb66c69467ee73
__hip_cuid_f8cb66c69467ee73:
	.byte	0                               ; 0x0
	.size	__hip_cuid_f8cb66c69467ee73, 1

	.ident	"AMD clang version 22.0.0git (https://github.com/RadeonOpenCompute/llvm-project roc-7.2.4 26084 f58b06dce1f9c15707c5f808fd002e18c2accf7e)"
	.section	".note.GNU-stack","",@progbits
	.addrsig
	.addrsig_sym __hip_cuid_f8cb66c69467ee73
	.amdgpu_metadata
---
amdhsa.kernels:
  - .agpr_count:     0
    .args:
      - .actual_access:  read_only
        .address_space:  global
        .offset:         0
        .size:           8
        .value_kind:     global_buffer
      - .actual_access:  write_only
        .address_space:  global
        .offset:         8
        .size:           8
        .value_kind:     global_buffer
      - .offset:         16
        .size:           4
        .value_kind:     by_value
      - .offset:         24
        .size:           4
        .value_kind:     hidden_block_count_x
      - .offset:         28
        .size:           4
        .value_kind:     hidden_block_count_y
      - .offset:         32
        .size:           4
        .value_kind:     hidden_block_count_z
      - .offset:         36
        .size:           2
        .value_kind:     hidden_group_size_x
      - .offset:         38
        .size:           2
        .value_kind:     hidden_group_size_y
      - .offset:         40
        .size:           2
        .value_kind:     hidden_group_size_z
      - .offset:         42
        .size:           2
        .value_kind:     hidden_remainder_x
      - .offset:         44
        .size:           2
        .value_kind:     hidden_remainder_y
      - .offset:         46
        .size:           2
        .value_kind:     hidden_remainder_z
      - .offset:         64
        .size:           8
        .value_kind:     hidden_global_offset_x
      - .offset:         72
        .size:           8
        .value_kind:     hidden_global_offset_y
      - .offset:         80
        .size:           8
        .value_kind:     hidden_global_offset_z
      - .offset:         88
        .size:           2
        .value_kind:     hidden_grid_dims
    .group_segment_fixed_size: 0
    .kernarg_segment_align: 8
    .kernarg_segment_size: 280
    .language:       OpenCL C
    .language_version:
      - 2
      - 0
    .max_flat_workgroup_size: 1024
    .name:           _ZL16dequantize_blockILi32ELi2EXadL_ZL15dequantize_q4_0PKviiR7__half2EEfEvS1_PT2_i
    .private_segment_fixed_size: 0
    .sgpr_count:     11
    .sgpr_spill_count: 0
    .symbol:         _ZL16dequantize_blockILi32ELi2EXadL_ZL15dequantize_q4_0PKviiR7__half2EEfEvS1_PT2_i.kd
    .uniform_work_group_size: 1
    .uses_dynamic_stack: false
    .vgpr_count:     8
    .vgpr_spill_count: 0
    .wavefront_size: 64
  - .agpr_count:     0
    .args:
      - .actual_access:  read_only
        .address_space:  global
        .offset:         0
        .size:           8
        .value_kind:     global_buffer
      - .actual_access:  write_only
        .address_space:  global
        .offset:         8
        .size:           8
        .value_kind:     global_buffer
      - .offset:         16
        .size:           4
        .value_kind:     by_value
      - .offset:         24
        .size:           4
        .value_kind:     hidden_block_count_x
      - .offset:         28
        .size:           4
        .value_kind:     hidden_block_count_y
      - .offset:         32
        .size:           4
        .value_kind:     hidden_block_count_z
      - .offset:         36
        .size:           2
        .value_kind:     hidden_group_size_x
      - .offset:         38
        .size:           2
        .value_kind:     hidden_group_size_y
      - .offset:         40
        .size:           2
        .value_kind:     hidden_group_size_z
      - .offset:         42
        .size:           2
        .value_kind:     hidden_remainder_x
      - .offset:         44
        .size:           2
        .value_kind:     hidden_remainder_y
      - .offset:         46
        .size:           2
        .value_kind:     hidden_remainder_z
      - .offset:         64
        .size:           8
        .value_kind:     hidden_global_offset_x
      - .offset:         72
        .size:           8
        .value_kind:     hidden_global_offset_y
      - .offset:         80
        .size:           8
        .value_kind:     hidden_global_offset_z
      - .offset:         88
        .size:           2
        .value_kind:     hidden_grid_dims
    .group_segment_fixed_size: 0
    .kernarg_segment_align: 8
    .kernarg_segment_size: 280
    .language:       OpenCL C
    .language_version:
      - 2
      - 0
    .max_flat_workgroup_size: 1024
    .name:           _ZL16dequantize_blockILi32ELi2EXadL_ZL15dequantize_q4_1PKviiR7__half2EEfEvS1_PT2_i
    .private_segment_fixed_size: 0
    .sgpr_count:     11
    .sgpr_spill_count: 0
    .symbol:         _ZL16dequantize_blockILi32ELi2EXadL_ZL15dequantize_q4_1PKviiR7__half2EEfEvS1_PT2_i.kd
    .uniform_work_group_size: 1
    .uses_dynamic_stack: false
    .vgpr_count:     6
    .vgpr_spill_count: 0
    .wavefront_size: 64
  - .agpr_count:     0
    .args:
      - .actual_access:  read_only
        .address_space:  global
        .offset:         0
        .size:           8
        .value_kind:     global_buffer
      - .actual_access:  write_only
        .address_space:  global
        .offset:         8
        .size:           8
        .value_kind:     global_buffer
      - .offset:         16
        .size:           4
        .value_kind:     by_value
      - .offset:         24
        .size:           4
        .value_kind:     hidden_block_count_x
      - .offset:         28
        .size:           4
        .value_kind:     hidden_block_count_y
      - .offset:         32
        .size:           4
        .value_kind:     hidden_block_count_z
      - .offset:         36
        .size:           2
        .value_kind:     hidden_group_size_x
      - .offset:         38
        .size:           2
        .value_kind:     hidden_group_size_y
      - .offset:         40
        .size:           2
        .value_kind:     hidden_group_size_z
      - .offset:         42
        .size:           2
        .value_kind:     hidden_remainder_x
      - .offset:         44
        .size:           2
        .value_kind:     hidden_remainder_y
      - .offset:         46
        .size:           2
        .value_kind:     hidden_remainder_z
      - .offset:         64
        .size:           8
        .value_kind:     hidden_global_offset_x
      - .offset:         72
        .size:           8
        .value_kind:     hidden_global_offset_y
      - .offset:         80
        .size:           8
        .value_kind:     hidden_global_offset_z
      - .offset:         88
        .size:           2
        .value_kind:     hidden_grid_dims
    .group_segment_fixed_size: 0
    .kernarg_segment_align: 8
    .kernarg_segment_size: 280
    .language:       OpenCL C
    .language_version:
      - 2
      - 0
    .max_flat_workgroup_size: 1024
    .name:           _ZL16dequantize_blockILi32ELi2EXadL_ZL15dequantize_q5_0PKviiR7__half2EEfEvS1_PT2_i
    .private_segment_fixed_size: 0
    .sgpr_count:     11
    .sgpr_spill_count: 0
    .symbol:         _ZL16dequantize_blockILi32ELi2EXadL_ZL15dequantize_q5_0PKviiR7__half2EEfEvS1_PT2_i.kd
    .uniform_work_group_size: 1
    .uses_dynamic_stack: false
    .vgpr_count:     7
    .vgpr_spill_count: 0
    .wavefront_size: 64
  - .agpr_count:     0
    .args:
      - .actual_access:  read_only
        .address_space:  global
        .offset:         0
        .size:           8
        .value_kind:     global_buffer
      - .actual_access:  write_only
        .address_space:  global
        .offset:         8
        .size:           8
        .value_kind:     global_buffer
      - .offset:         16
        .size:           4
        .value_kind:     by_value
      - .offset:         24
        .size:           4
        .value_kind:     hidden_block_count_x
      - .offset:         28
        .size:           4
        .value_kind:     hidden_block_count_y
      - .offset:         32
        .size:           4
        .value_kind:     hidden_block_count_z
      - .offset:         36
        .size:           2
        .value_kind:     hidden_group_size_x
      - .offset:         38
        .size:           2
        .value_kind:     hidden_group_size_y
      - .offset:         40
        .size:           2
        .value_kind:     hidden_group_size_z
      - .offset:         42
        .size:           2
        .value_kind:     hidden_remainder_x
      - .offset:         44
        .size:           2
        .value_kind:     hidden_remainder_y
      - .offset:         46
        .size:           2
        .value_kind:     hidden_remainder_z
      - .offset:         64
        .size:           8
        .value_kind:     hidden_global_offset_x
      - .offset:         72
        .size:           8
        .value_kind:     hidden_global_offset_y
      - .offset:         80
        .size:           8
        .value_kind:     hidden_global_offset_z
      - .offset:         88
        .size:           2
        .value_kind:     hidden_grid_dims
    .group_segment_fixed_size: 0
    .kernarg_segment_align: 8
    .kernarg_segment_size: 280
    .language:       OpenCL C
    .language_version:
      - 2
      - 0
    .max_flat_workgroup_size: 1024
    .name:           _ZL16dequantize_blockILi32ELi2EXadL_ZL15dequantize_q5_1PKviiR7__half2EEfEvS1_PT2_i
    .private_segment_fixed_size: 0
    .sgpr_count:     11
    .sgpr_spill_count: 0
    .symbol:         _ZL16dequantize_blockILi32ELi2EXadL_ZL15dequantize_q5_1PKviiR7__half2EEfEvS1_PT2_i.kd
    .uniform_work_group_size: 1
    .uses_dynamic_stack: false
    .vgpr_count:     7
    .vgpr_spill_count: 0
    .wavefront_size: 64
  - .agpr_count:     0
    .args:
      - .actual_access:  read_only
        .address_space:  global
        .offset:         0
        .size:           8
        .value_kind:     global_buffer
      - .actual_access:  write_only
        .address_space:  global
        .offset:         8
        .size:           8
        .value_kind:     global_buffer
      - .offset:         16
        .size:           4
        .value_kind:     by_value
      - .offset:         24
        .size:           4
        .value_kind:     hidden_block_count_x
      - .offset:         28
        .size:           4
        .value_kind:     hidden_block_count_y
      - .offset:         32
        .size:           4
        .value_kind:     hidden_block_count_z
      - .offset:         36
        .size:           2
        .value_kind:     hidden_group_size_x
      - .offset:         38
        .size:           2
        .value_kind:     hidden_group_size_y
      - .offset:         40
        .size:           2
        .value_kind:     hidden_group_size_z
      - .offset:         42
        .size:           2
        .value_kind:     hidden_remainder_x
      - .offset:         44
        .size:           2
        .value_kind:     hidden_remainder_y
      - .offset:         46
        .size:           2
        .value_kind:     hidden_remainder_z
      - .offset:         64
        .size:           8
        .value_kind:     hidden_global_offset_x
      - .offset:         72
        .size:           8
        .value_kind:     hidden_global_offset_y
      - .offset:         80
        .size:           8
        .value_kind:     hidden_global_offset_z
      - .offset:         88
        .size:           2
        .value_kind:     hidden_grid_dims
    .group_segment_fixed_size: 0
    .kernarg_segment_align: 8
    .kernarg_segment_size: 280
    .language:       OpenCL C
    .language_version:
      - 2
      - 0
    .max_flat_workgroup_size: 1024
    .name:           _ZL16dequantize_blockILi32ELi1EXadL_ZL15dequantize_q8_0PKviiR7__half2EEfEvS1_PT2_i
    .private_segment_fixed_size: 0
    .sgpr_count:     11
    .sgpr_spill_count: 0
    .symbol:         _ZL16dequantize_blockILi32ELi1EXadL_ZL15dequantize_q8_0PKviiR7__half2EEfEvS1_PT2_i.kd
    .uniform_work_group_size: 1
    .uses_dynamic_stack: false
    .vgpr_count:     8
    .vgpr_spill_count: 0
    .wavefront_size: 64
  - .agpr_count:     0
    .args:
      - .actual_access:  read_only
        .address_space:  global
        .offset:         0
        .size:           8
        .value_kind:     global_buffer
      - .actual_access:  write_only
        .address_space:  global
        .offset:         8
        .size:           8
        .value_kind:     global_buffer
    .group_segment_fixed_size: 0
    .kernarg_segment_align: 8
    .kernarg_segment_size: 16
    .language:       OpenCL C
    .language_version:
      - 2
      - 0
    .max_flat_workgroup_size: 1024
    .name:           _ZL21dequantize_block_q2_KIfEvPKvPT_
    .private_segment_fixed_size: 0
    .sgpr_count:     14
    .sgpr_spill_count: 0
    .symbol:         _ZL21dequantize_block_q2_KIfEvPKvPT_.kd
    .uniform_work_group_size: 1
    .uses_dynamic_stack: false
    .vgpr_count:     14
    .vgpr_spill_count: 0
    .wavefront_size: 64
  - .agpr_count:     0
    .args:
      - .actual_access:  read_only
        .address_space:  global
        .offset:         0
        .size:           8
        .value_kind:     global_buffer
      - .actual_access:  write_only
        .address_space:  global
        .offset:         8
        .size:           8
        .value_kind:     global_buffer
    .group_segment_fixed_size: 0
    .kernarg_segment_align: 8
    .kernarg_segment_size: 16
    .language:       OpenCL C
    .language_version:
      - 2
      - 0
    .max_flat_workgroup_size: 1024
    .name:           _ZL21dequantize_block_q3_KIfEvPKvPT_
    .private_segment_fixed_size: 0
    .sgpr_count:     18
    .sgpr_spill_count: 0
    .symbol:         _ZL21dequantize_block_q3_KIfEvPKvPT_.kd
    .uniform_work_group_size: 1
    .uses_dynamic_stack: false
    .vgpr_count:     18
    .vgpr_spill_count: 0
    .wavefront_size: 64
  - .agpr_count:     0
    .args:
      - .actual_access:  read_only
        .address_space:  global
        .offset:         0
        .size:           8
        .value_kind:     global_buffer
      - .actual_access:  write_only
        .address_space:  global
        .offset:         8
        .size:           8
        .value_kind:     global_buffer
    .group_segment_fixed_size: 0
    .kernarg_segment_align: 8
    .kernarg_segment_size: 16
    .language:       OpenCL C
    .language_version:
      - 2
      - 0
    .max_flat_workgroup_size: 1024
    .name:           _ZL21dequantize_block_q4_KIfEvPKvPT_
    .private_segment_fixed_size: 0
    .sgpr_count:     14
    .sgpr_spill_count: 0
    .symbol:         _ZL21dequantize_block_q4_KIfEvPKvPT_.kd
    .uniform_work_group_size: 1
    .uses_dynamic_stack: false
    .vgpr_count:     16
    .vgpr_spill_count: 0
    .wavefront_size: 64
  - .agpr_count:     0
    .args:
      - .actual_access:  read_only
        .address_space:  global
        .offset:         0
        .size:           8
        .value_kind:     global_buffer
      - .actual_access:  write_only
        .address_space:  global
        .offset:         8
        .size:           8
        .value_kind:     global_buffer
    .group_segment_fixed_size: 0
    .kernarg_segment_align: 8
    .kernarg_segment_size: 16
    .language:       OpenCL C
    .language_version:
      - 2
      - 0
    .max_flat_workgroup_size: 1024
    .name:           _ZL21dequantize_block_q5_KIfEvPKvPT_
    .private_segment_fixed_size: 0
    .sgpr_count:     14
    .sgpr_spill_count: 0
    .symbol:         _ZL21dequantize_block_q5_KIfEvPKvPT_.kd
    .uniform_work_group_size: 1
    .uses_dynamic_stack: false
    .vgpr_count:     17
    .vgpr_spill_count: 0
    .wavefront_size: 64
  - .agpr_count:     0
    .args:
      - .actual_access:  read_only
        .address_space:  global
        .offset:         0
        .size:           8
        .value_kind:     global_buffer
      - .actual_access:  write_only
        .address_space:  global
        .offset:         8
        .size:           8
        .value_kind:     global_buffer
    .group_segment_fixed_size: 0
    .kernarg_segment_align: 8
    .kernarg_segment_size: 16
    .language:       OpenCL C
    .language_version:
      - 2
      - 0
    .max_flat_workgroup_size: 1024
    .name:           _ZL21dequantize_block_q6_KIfEvPKvPT_
    .private_segment_fixed_size: 0
    .sgpr_count:     14
    .sgpr_spill_count: 0
    .symbol:         _ZL21dequantize_block_q6_KIfEvPKvPT_.kd
    .uniform_work_group_size: 1
    .uses_dynamic_stack: false
    .vgpr_count:     14
    .vgpr_spill_count: 0
    .wavefront_size: 64
  - .agpr_count:     0
    .args:
      - .actual_access:  read_only
        .address_space:  global
        .offset:         0
        .size:           8
        .value_kind:     global_buffer
      - .actual_access:  write_only
        .address_space:  global
        .offset:         8
        .size:           8
        .value_kind:     global_buffer
    .group_segment_fixed_size: 0
    .kernarg_segment_align: 8
    .kernarg_segment_size: 16
    .language:       OpenCL C
    .language_version:
      - 2
      - 0
    .max_flat_workgroup_size: 1024
    .name:           _ZL24dequantize_block_iq2_xxsIfEvPKvPT_
    .private_segment_fixed_size: 0
    .sgpr_count:     14
    .sgpr_spill_count: 0
    .symbol:         _ZL24dequantize_block_iq2_xxsIfEvPKvPT_.kd
    .uniform_work_group_size: 1
    .uses_dynamic_stack: false
    .vgpr_count:     22
    .vgpr_spill_count: 0
    .wavefront_size: 64
  - .agpr_count:     0
    .args:
      - .actual_access:  read_only
        .address_space:  global
        .offset:         0
        .size:           8
        .value_kind:     global_buffer
      - .actual_access:  write_only
        .address_space:  global
        .offset:         8
        .size:           8
        .value_kind:     global_buffer
    .group_segment_fixed_size: 0
    .kernarg_segment_align: 8
    .kernarg_segment_size: 16
    .language:       OpenCL C
    .language_version:
      - 2
      - 0
    .max_flat_workgroup_size: 1024
    .name:           _ZL23dequantize_block_iq2_xsIfEvPKvPT_
    .private_segment_fixed_size: 0
    .sgpr_count:     14
    .sgpr_spill_count: 0
    .symbol:         _ZL23dequantize_block_iq2_xsIfEvPKvPT_.kd
    .uniform_work_group_size: 1
    .uses_dynamic_stack: false
    .vgpr_count:     22
    .vgpr_spill_count: 0
    .wavefront_size: 64
  - .agpr_count:     0
    .args:
      - .actual_access:  read_only
        .address_space:  global
        .offset:         0
        .size:           8
        .value_kind:     global_buffer
      - .actual_access:  write_only
        .address_space:  global
        .offset:         8
        .size:           8
        .value_kind:     global_buffer
    .group_segment_fixed_size: 0
    .kernarg_segment_align: 8
    .kernarg_segment_size: 16
    .language:       OpenCL C
    .language_version:
      - 2
      - 0
    .max_flat_workgroup_size: 1024
    .name:           _ZL24dequantize_block_iq3_xxsIfEvPKvPT_
    .private_segment_fixed_size: 0
    .sgpr_count:     14
    .sgpr_spill_count: 0
    .symbol:         _ZL24dequantize_block_iq3_xxsIfEvPKvPT_.kd
    .uniform_work_group_size: 1
    .uses_dynamic_stack: false
    .vgpr_count:     23
    .vgpr_spill_count: 0
    .wavefront_size: 64
  - .agpr_count:     0
    .args:
      - .actual_access:  read_only
        .address_space:  global
        .offset:         0
        .size:           8
        .value_kind:     global_buffer
      - .actual_access:  write_only
        .address_space:  global
        .offset:         8
        .size:           8
        .value_kind:     global_buffer
    .group_segment_fixed_size: 0
    .kernarg_segment_align: 8
    .kernarg_segment_size: 16
    .language:       OpenCL C
    .language_version:
      - 2
      - 0
    .max_flat_workgroup_size: 1024
    .name:           _ZL22dequantize_block_iq1_sIfEvPKvPT_
    .private_segment_fixed_size: 0
    .sgpr_count:     14
    .sgpr_spill_count: 0
    .symbol:         _ZL22dequantize_block_iq1_sIfEvPKvPT_.kd
    .uniform_work_group_size: 1
    .uses_dynamic_stack: false
    .vgpr_count:     15
    .vgpr_spill_count: 0
    .wavefront_size: 64
  - .agpr_count:     0
    .args:
      - .actual_access:  read_only
        .address_space:  global
        .offset:         0
        .size:           8
        .value_kind:     global_buffer
      - .actual_access:  write_only
        .address_space:  global
        .offset:         8
        .size:           8
        .value_kind:     global_buffer
    .group_segment_fixed_size: 0
    .kernarg_segment_align: 8
    .kernarg_segment_size: 16
    .language:       OpenCL C
    .language_version:
      - 2
      - 0
    .max_flat_workgroup_size: 1024
    .name:           _ZL23dequantize_block_iq4_nlIfEvPKvPT_
    .private_segment_fixed_size: 0
    .sgpr_count:     14
    .sgpr_spill_count: 0
    .symbol:         _ZL23dequantize_block_iq4_nlIfEvPKvPT_.kd
    .uniform_work_group_size: 1
    .uses_dynamic_stack: false
    .vgpr_count:     25
    .vgpr_spill_count: 0
    .wavefront_size: 64
  - .agpr_count:     0
    .args:
      - .actual_access:  read_only
        .address_space:  global
        .offset:         0
        .size:           8
        .value_kind:     global_buffer
      - .actual_access:  write_only
        .address_space:  global
        .offset:         8
        .size:           8
        .value_kind:     global_buffer
    .group_segment_fixed_size: 0
    .kernarg_segment_align: 8
    .kernarg_segment_size: 16
    .language:       OpenCL C
    .language_version:
      - 2
      - 0
    .max_flat_workgroup_size: 1024
    .name:           _ZL22dequantize_block_iq3_sIfEvPKvPT_
    .private_segment_fixed_size: 0
    .sgpr_count:     14
    .sgpr_spill_count: 0
    .symbol:         _ZL22dequantize_block_iq3_sIfEvPKvPT_.kd
    .uniform_work_group_size: 1
    .uses_dynamic_stack: false
    .vgpr_count:     21
    .vgpr_spill_count: 0
    .wavefront_size: 64
  - .agpr_count:     0
    .args:
      - .actual_access:  read_only
        .address_space:  global
        .offset:         0
        .size:           8
        .value_kind:     global_buffer
      - .actual_access:  write_only
        .address_space:  global
        .offset:         8
        .size:           8
        .value_kind:     global_buffer
    .group_segment_fixed_size: 0
    .kernarg_segment_align: 8
    .kernarg_segment_size: 16
    .language:       OpenCL C
    .language_version:
      - 2
      - 0
    .max_flat_workgroup_size: 1024
    .name:           _ZL22dequantize_block_iq2_sIfEvPKvPT_
    .private_segment_fixed_size: 0
    .sgpr_count:     14
    .sgpr_spill_count: 0
    .symbol:         _ZL22dequantize_block_iq2_sIfEvPKvPT_.kd
    .uniform_work_group_size: 1
    .uses_dynamic_stack: false
    .vgpr_count:     22
    .vgpr_spill_count: 0
    .wavefront_size: 64
  - .agpr_count:     0
    .args:
      - .actual_access:  read_only
        .address_space:  global
        .offset:         0
        .size:           8
        .value_kind:     global_buffer
      - .actual_access:  write_only
        .address_space:  global
        .offset:         8
        .size:           8
        .value_kind:     global_buffer
    .group_segment_fixed_size: 0
    .kernarg_segment_align: 8
    .kernarg_segment_size: 16
    .language:       OpenCL C
    .language_version:
      - 2
      - 0
    .max_flat_workgroup_size: 1024
    .name:           _ZL23dequantize_block_iq4_xsIfEvPKvPT_
    .private_segment_fixed_size: 0
    .sgpr_count:     16
    .sgpr_spill_count: 0
    .symbol:         _ZL23dequantize_block_iq4_xsIfEvPKvPT_.kd
    .uniform_work_group_size: 1
    .uses_dynamic_stack: false
    .vgpr_count:     27
    .vgpr_spill_count: 0
    .wavefront_size: 64
  - .agpr_count:     0
    .args:
      - .actual_access:  read_only
        .address_space:  global
        .offset:         0
        .size:           8
        .value_kind:     global_buffer
      - .actual_access:  write_only
        .address_space:  global
        .offset:         8
        .size:           8
        .value_kind:     global_buffer
    .group_segment_fixed_size: 0
    .kernarg_segment_align: 8
    .kernarg_segment_size: 16
    .language:       OpenCL C
    .language_version:
      - 2
      - 0
    .max_flat_workgroup_size: 1024
    .name:           _ZL22dequantize_block_iq1_mIfEvPKvPT_
    .private_segment_fixed_size: 0
    .sgpr_count:     14
    .sgpr_spill_count: 0
    .symbol:         _ZL22dequantize_block_iq1_mIfEvPKvPT_.kd
    .uniform_work_group_size: 1
    .uses_dynamic_stack: false
    .vgpr_count:     15
    .vgpr_spill_count: 0
    .wavefront_size: 64
  - .agpr_count:     0
    .args:
      - .actual_access:  read_only
        .address_space:  global
        .offset:         0
        .size:           8
        .value_kind:     global_buffer
      - .actual_access:  write_only
        .address_space:  global
        .offset:         8
        .size:           8
        .value_kind:     global_buffer
      - .offset:         16
        .size:           4
        .value_kind:     by_value
      - .offset:         24
        .size:           4
        .value_kind:     hidden_block_count_x
      - .offset:         28
        .size:           4
        .value_kind:     hidden_block_count_y
      - .offset:         32
        .size:           4
        .value_kind:     hidden_block_count_z
      - .offset:         36
        .size:           2
        .value_kind:     hidden_group_size_x
      - .offset:         38
        .size:           2
        .value_kind:     hidden_group_size_y
      - .offset:         40
        .size:           2
        .value_kind:     hidden_group_size_z
      - .offset:         42
        .size:           2
        .value_kind:     hidden_remainder_x
      - .offset:         44
        .size:           2
        .value_kind:     hidden_remainder_y
      - .offset:         46
        .size:           2
        .value_kind:     hidden_remainder_z
      - .offset:         64
        .size:           8
        .value_kind:     hidden_global_offset_x
      - .offset:         72
        .size:           8
        .value_kind:     hidden_global_offset_y
      - .offset:         80
        .size:           8
        .value_kind:     hidden_global_offset_z
      - .offset:         88
        .size:           2
        .value_kind:     hidden_grid_dims
    .group_segment_fixed_size: 0
    .kernarg_segment_align: 8
    .kernarg_segment_size: 280
    .language:       OpenCL C
    .language_version:
      - 2
      - 0
    .max_flat_workgroup_size: 1024
    .name:           _ZL16dequantize_blockILi32ELi2EXadL_ZL15dequantize_q4_0PKviiR7__half2EEN3c104HalfEEvS1_PT2_i
    .private_segment_fixed_size: 0
    .sgpr_count:     11
    .sgpr_spill_count: 0
    .symbol:         _ZL16dequantize_blockILi32ELi2EXadL_ZL15dequantize_q4_0PKviiR7__half2EEN3c104HalfEEvS1_PT2_i.kd
    .uniform_work_group_size: 1
    .uses_dynamic_stack: false
    .vgpr_count:     9
    .vgpr_spill_count: 0
    .wavefront_size: 64
  - .agpr_count:     0
    .args:
      - .actual_access:  read_only
        .address_space:  global
        .offset:         0
        .size:           8
        .value_kind:     global_buffer
      - .actual_access:  write_only
        .address_space:  global
        .offset:         8
        .size:           8
        .value_kind:     global_buffer
      - .offset:         16
        .size:           4
        .value_kind:     by_value
      - .offset:         24
        .size:           4
        .value_kind:     hidden_block_count_x
      - .offset:         28
        .size:           4
        .value_kind:     hidden_block_count_y
      - .offset:         32
        .size:           4
        .value_kind:     hidden_block_count_z
      - .offset:         36
        .size:           2
        .value_kind:     hidden_group_size_x
      - .offset:         38
        .size:           2
        .value_kind:     hidden_group_size_y
      - .offset:         40
        .size:           2
        .value_kind:     hidden_group_size_z
      - .offset:         42
        .size:           2
        .value_kind:     hidden_remainder_x
      - .offset:         44
        .size:           2
        .value_kind:     hidden_remainder_y
      - .offset:         46
        .size:           2
        .value_kind:     hidden_remainder_z
      - .offset:         64
        .size:           8
        .value_kind:     hidden_global_offset_x
      - .offset:         72
        .size:           8
        .value_kind:     hidden_global_offset_y
      - .offset:         80
        .size:           8
        .value_kind:     hidden_global_offset_z
      - .offset:         88
        .size:           2
        .value_kind:     hidden_grid_dims
    .group_segment_fixed_size: 0
    .kernarg_segment_align: 8
    .kernarg_segment_size: 280
    .language:       OpenCL C
    .language_version:
      - 2
      - 0
    .max_flat_workgroup_size: 1024
    .name:           _ZL16dequantize_blockILi32ELi2EXadL_ZL15dequantize_q4_1PKviiR7__half2EEN3c104HalfEEvS1_PT2_i
    .private_segment_fixed_size: 0
    .sgpr_count:     11
    .sgpr_spill_count: 0
    .symbol:         _ZL16dequantize_blockILi32ELi2EXadL_ZL15dequantize_q4_1PKviiR7__half2EEN3c104HalfEEvS1_PT2_i.kd
    .uniform_work_group_size: 1
    .uses_dynamic_stack: false
    .vgpr_count:     6
    .vgpr_spill_count: 0
    .wavefront_size: 64
  - .agpr_count:     0
    .args:
      - .actual_access:  read_only
        .address_space:  global
        .offset:         0
        .size:           8
        .value_kind:     global_buffer
      - .actual_access:  write_only
        .address_space:  global
        .offset:         8
        .size:           8
        .value_kind:     global_buffer
      - .offset:         16
        .size:           4
        .value_kind:     by_value
      - .offset:         24
        .size:           4
        .value_kind:     hidden_block_count_x
      - .offset:         28
        .size:           4
        .value_kind:     hidden_block_count_y
      - .offset:         32
        .size:           4
        .value_kind:     hidden_block_count_z
      - .offset:         36
        .size:           2
        .value_kind:     hidden_group_size_x
      - .offset:         38
        .size:           2
        .value_kind:     hidden_group_size_y
      - .offset:         40
        .size:           2
        .value_kind:     hidden_group_size_z
      - .offset:         42
        .size:           2
        .value_kind:     hidden_remainder_x
      - .offset:         44
        .size:           2
        .value_kind:     hidden_remainder_y
      - .offset:         46
        .size:           2
        .value_kind:     hidden_remainder_z
      - .offset:         64
        .size:           8
        .value_kind:     hidden_global_offset_x
      - .offset:         72
        .size:           8
        .value_kind:     hidden_global_offset_y
      - .offset:         80
        .size:           8
        .value_kind:     hidden_global_offset_z
      - .offset:         88
        .size:           2
        .value_kind:     hidden_grid_dims
    .group_segment_fixed_size: 0
    .kernarg_segment_align: 8
    .kernarg_segment_size: 280
    .language:       OpenCL C
    .language_version:
      - 2
      - 0
    .max_flat_workgroup_size: 1024
    .name:           _ZL16dequantize_blockILi32ELi2EXadL_ZL15dequantize_q5_0PKviiR7__half2EEN3c104HalfEEvS1_PT2_i
    .private_segment_fixed_size: 0
    .sgpr_count:     11
    .sgpr_spill_count: 0
    .symbol:         _ZL16dequantize_blockILi32ELi2EXadL_ZL15dequantize_q5_0PKviiR7__half2EEN3c104HalfEEvS1_PT2_i.kd
    .uniform_work_group_size: 1
    .uses_dynamic_stack: false
    .vgpr_count:     8
    .vgpr_spill_count: 0
    .wavefront_size: 64
  - .agpr_count:     0
    .args:
      - .actual_access:  read_only
        .address_space:  global
        .offset:         0
        .size:           8
        .value_kind:     global_buffer
      - .actual_access:  write_only
        .address_space:  global
        .offset:         8
        .size:           8
        .value_kind:     global_buffer
      - .offset:         16
        .size:           4
        .value_kind:     by_value
      - .offset:         24
        .size:           4
        .value_kind:     hidden_block_count_x
      - .offset:         28
        .size:           4
        .value_kind:     hidden_block_count_y
      - .offset:         32
        .size:           4
        .value_kind:     hidden_block_count_z
      - .offset:         36
        .size:           2
        .value_kind:     hidden_group_size_x
      - .offset:         38
        .size:           2
        .value_kind:     hidden_group_size_y
      - .offset:         40
        .size:           2
        .value_kind:     hidden_group_size_z
      - .offset:         42
        .size:           2
        .value_kind:     hidden_remainder_x
      - .offset:         44
        .size:           2
        .value_kind:     hidden_remainder_y
      - .offset:         46
        .size:           2
        .value_kind:     hidden_remainder_z
      - .offset:         64
        .size:           8
        .value_kind:     hidden_global_offset_x
      - .offset:         72
        .size:           8
        .value_kind:     hidden_global_offset_y
      - .offset:         80
        .size:           8
        .value_kind:     hidden_global_offset_z
      - .offset:         88
        .size:           2
        .value_kind:     hidden_grid_dims
    .group_segment_fixed_size: 0
    .kernarg_segment_align: 8
    .kernarg_segment_size: 280
    .language:       OpenCL C
    .language_version:
      - 2
      - 0
    .max_flat_workgroup_size: 1024
    .name:           _ZL16dequantize_blockILi32ELi2EXadL_ZL15dequantize_q5_1PKviiR7__half2EEN3c104HalfEEvS1_PT2_i
    .private_segment_fixed_size: 0
    .sgpr_count:     11
    .sgpr_spill_count: 0
    .symbol:         _ZL16dequantize_blockILi32ELi2EXadL_ZL15dequantize_q5_1PKviiR7__half2EEN3c104HalfEEvS1_PT2_i.kd
    .uniform_work_group_size: 1
    .uses_dynamic_stack: false
    .vgpr_count:     8
    .vgpr_spill_count: 0
    .wavefront_size: 64
  - .agpr_count:     0
    .args:
      - .actual_access:  read_only
        .address_space:  global
        .offset:         0
        .size:           8
        .value_kind:     global_buffer
      - .actual_access:  write_only
        .address_space:  global
        .offset:         8
        .size:           8
        .value_kind:     global_buffer
      - .offset:         16
        .size:           4
        .value_kind:     by_value
      - .offset:         24
        .size:           4
        .value_kind:     hidden_block_count_x
      - .offset:         28
        .size:           4
        .value_kind:     hidden_block_count_y
      - .offset:         32
        .size:           4
        .value_kind:     hidden_block_count_z
      - .offset:         36
        .size:           2
        .value_kind:     hidden_group_size_x
      - .offset:         38
        .size:           2
        .value_kind:     hidden_group_size_y
      - .offset:         40
        .size:           2
        .value_kind:     hidden_group_size_z
      - .offset:         42
        .size:           2
        .value_kind:     hidden_remainder_x
      - .offset:         44
        .size:           2
        .value_kind:     hidden_remainder_y
      - .offset:         46
        .size:           2
        .value_kind:     hidden_remainder_z
      - .offset:         64
        .size:           8
        .value_kind:     hidden_global_offset_x
      - .offset:         72
        .size:           8
        .value_kind:     hidden_global_offset_y
      - .offset:         80
        .size:           8
        .value_kind:     hidden_global_offset_z
      - .offset:         88
        .size:           2
        .value_kind:     hidden_grid_dims
    .group_segment_fixed_size: 0
    .kernarg_segment_align: 8
    .kernarg_segment_size: 280
    .language:       OpenCL C
    .language_version:
      - 2
      - 0
    .max_flat_workgroup_size: 1024
    .name:           _ZL16dequantize_blockILi32ELi1EXadL_ZL15dequantize_q8_0PKviiR7__half2EEN3c104HalfEEvS1_PT2_i
    .private_segment_fixed_size: 0
    .sgpr_count:     11
    .sgpr_spill_count: 0
    .symbol:         _ZL16dequantize_blockILi32ELi1EXadL_ZL15dequantize_q8_0PKviiR7__half2EEN3c104HalfEEvS1_PT2_i.kd
    .uniform_work_group_size: 1
    .uses_dynamic_stack: false
    .vgpr_count:     8
    .vgpr_spill_count: 0
    .wavefront_size: 64
  - .agpr_count:     0
    .args:
      - .actual_access:  read_only
        .address_space:  global
        .offset:         0
        .size:           8
        .value_kind:     global_buffer
      - .actual_access:  write_only
        .address_space:  global
        .offset:         8
        .size:           8
        .value_kind:     global_buffer
    .group_segment_fixed_size: 0
    .kernarg_segment_align: 8
    .kernarg_segment_size: 16
    .language:       OpenCL C
    .language_version:
      - 2
      - 0
    .max_flat_workgroup_size: 1024
    .name:           _ZL21dequantize_block_q2_KIN3c104HalfEEvPKvPT_
    .private_segment_fixed_size: 0
    .sgpr_count:     14
    .sgpr_spill_count: 0
    .symbol:         _ZL21dequantize_block_q2_KIN3c104HalfEEvPKvPT_.kd
    .uniform_work_group_size: 1
    .uses_dynamic_stack: false
    .vgpr_count:     14
    .vgpr_spill_count: 0
    .wavefront_size: 64
  - .agpr_count:     0
    .args:
      - .actual_access:  read_only
        .address_space:  global
        .offset:         0
        .size:           8
        .value_kind:     global_buffer
      - .actual_access:  write_only
        .address_space:  global
        .offset:         8
        .size:           8
        .value_kind:     global_buffer
    .group_segment_fixed_size: 0
    .kernarg_segment_align: 8
    .kernarg_segment_size: 16
    .language:       OpenCL C
    .language_version:
      - 2
      - 0
    .max_flat_workgroup_size: 1024
    .name:           _ZL21dequantize_block_q3_KIN3c104HalfEEvPKvPT_
    .private_segment_fixed_size: 0
    .sgpr_count:     18
    .sgpr_spill_count: 0
    .symbol:         _ZL21dequantize_block_q3_KIN3c104HalfEEvPKvPT_.kd
    .uniform_work_group_size: 1
    .uses_dynamic_stack: false
    .vgpr_count:     18
    .vgpr_spill_count: 0
    .wavefront_size: 64
  - .agpr_count:     0
    .args:
      - .actual_access:  read_only
        .address_space:  global
        .offset:         0
        .size:           8
        .value_kind:     global_buffer
      - .actual_access:  write_only
        .address_space:  global
        .offset:         8
        .size:           8
        .value_kind:     global_buffer
    .group_segment_fixed_size: 0
    .kernarg_segment_align: 8
    .kernarg_segment_size: 16
    .language:       OpenCL C
    .language_version:
      - 2
      - 0
    .max_flat_workgroup_size: 1024
    .name:           _ZL21dequantize_block_q4_KIN3c104HalfEEvPKvPT_
    .private_segment_fixed_size: 0
    .sgpr_count:     14
    .sgpr_spill_count: 0
    .symbol:         _ZL21dequantize_block_q4_KIN3c104HalfEEvPKvPT_.kd
    .uniform_work_group_size: 1
    .uses_dynamic_stack: false
    .vgpr_count:     14
    .vgpr_spill_count: 0
    .wavefront_size: 64
  - .agpr_count:     0
    .args:
      - .actual_access:  read_only
        .address_space:  global
        .offset:         0
        .size:           8
        .value_kind:     global_buffer
      - .actual_access:  write_only
        .address_space:  global
        .offset:         8
        .size:           8
        .value_kind:     global_buffer
    .group_segment_fixed_size: 0
    .kernarg_segment_align: 8
    .kernarg_segment_size: 16
    .language:       OpenCL C
    .language_version:
      - 2
      - 0
    .max_flat_workgroup_size: 1024
    .name:           _ZL21dequantize_block_q5_KIN3c104HalfEEvPKvPT_
    .private_segment_fixed_size: 0
    .sgpr_count:     14
    .sgpr_spill_count: 0
    .symbol:         _ZL21dequantize_block_q5_KIN3c104HalfEEvPKvPT_.kd
    .uniform_work_group_size: 1
    .uses_dynamic_stack: false
    .vgpr_count:     15
    .vgpr_spill_count: 0
    .wavefront_size: 64
  - .agpr_count:     0
    .args:
      - .actual_access:  read_only
        .address_space:  global
        .offset:         0
        .size:           8
        .value_kind:     global_buffer
      - .actual_access:  write_only
        .address_space:  global
        .offset:         8
        .size:           8
        .value_kind:     global_buffer
    .group_segment_fixed_size: 0
    .kernarg_segment_align: 8
    .kernarg_segment_size: 16
    .language:       OpenCL C
    .language_version:
      - 2
      - 0
    .max_flat_workgroup_size: 1024
    .name:           _ZL21dequantize_block_q6_KIN3c104HalfEEvPKvPT_
    .private_segment_fixed_size: 0
    .sgpr_count:     14
    .sgpr_spill_count: 0
    .symbol:         _ZL21dequantize_block_q6_KIN3c104HalfEEvPKvPT_.kd
    .uniform_work_group_size: 1
    .uses_dynamic_stack: false
    .vgpr_count:     14
    .vgpr_spill_count: 0
    .wavefront_size: 64
  - .agpr_count:     0
    .args:
      - .actual_access:  read_only
        .address_space:  global
        .offset:         0
        .size:           8
        .value_kind:     global_buffer
      - .actual_access:  write_only
        .address_space:  global
        .offset:         8
        .size:           8
        .value_kind:     global_buffer
    .group_segment_fixed_size: 0
    .kernarg_segment_align: 8
    .kernarg_segment_size: 16
    .language:       OpenCL C
    .language_version:
      - 2
      - 0
    .max_flat_workgroup_size: 1024
    .name:           _ZL24dequantize_block_iq2_xxsIN3c104HalfEEvPKvPT_
    .private_segment_fixed_size: 0
    .sgpr_count:     14
    .sgpr_spill_count: 0
    .symbol:         _ZL24dequantize_block_iq2_xxsIN3c104HalfEEvPKvPT_.kd
    .uniform_work_group_size: 1
    .uses_dynamic_stack: false
    .vgpr_count:     19
    .vgpr_spill_count: 0
    .wavefront_size: 64
  - .agpr_count:     0
    .args:
      - .actual_access:  read_only
        .address_space:  global
        .offset:         0
        .size:           8
        .value_kind:     global_buffer
      - .actual_access:  write_only
        .address_space:  global
        .offset:         8
        .size:           8
        .value_kind:     global_buffer
    .group_segment_fixed_size: 0
    .kernarg_segment_align: 8
    .kernarg_segment_size: 16
    .language:       OpenCL C
    .language_version:
      - 2
      - 0
    .max_flat_workgroup_size: 1024
    .name:           _ZL23dequantize_block_iq2_xsIN3c104HalfEEvPKvPT_
    .private_segment_fixed_size: 0
    .sgpr_count:     14
    .sgpr_spill_count: 0
    .symbol:         _ZL23dequantize_block_iq2_xsIN3c104HalfEEvPKvPT_.kd
    .uniform_work_group_size: 1
    .uses_dynamic_stack: false
    .vgpr_count:     19
    .vgpr_spill_count: 0
    .wavefront_size: 64
  - .agpr_count:     0
    .args:
      - .actual_access:  read_only
        .address_space:  global
        .offset:         0
        .size:           8
        .value_kind:     global_buffer
      - .actual_access:  write_only
        .address_space:  global
        .offset:         8
        .size:           8
        .value_kind:     global_buffer
    .group_segment_fixed_size: 0
    .kernarg_segment_align: 8
    .kernarg_segment_size: 16
    .language:       OpenCL C
    .language_version:
      - 2
      - 0
    .max_flat_workgroup_size: 1024
    .name:           _ZL24dequantize_block_iq3_xxsIN3c104HalfEEvPKvPT_
    .private_segment_fixed_size: 0
    .sgpr_count:     14
    .sgpr_spill_count: 0
    .symbol:         _ZL24dequantize_block_iq3_xxsIN3c104HalfEEvPKvPT_.kd
    .uniform_work_group_size: 1
    .uses_dynamic_stack: false
    .vgpr_count:     19
    .vgpr_spill_count: 0
    .wavefront_size: 64
  - .agpr_count:     0
    .args:
      - .actual_access:  read_only
        .address_space:  global
        .offset:         0
        .size:           8
        .value_kind:     global_buffer
      - .actual_access:  write_only
        .address_space:  global
        .offset:         8
        .size:           8
        .value_kind:     global_buffer
    .group_segment_fixed_size: 0
    .kernarg_segment_align: 8
    .kernarg_segment_size: 16
    .language:       OpenCL C
    .language_version:
      - 2
      - 0
    .max_flat_workgroup_size: 1024
    .name:           _ZL22dequantize_block_iq1_sIN3c104HalfEEvPKvPT_
    .private_segment_fixed_size: 0
    .sgpr_count:     14
    .sgpr_spill_count: 0
    .symbol:         _ZL22dequantize_block_iq1_sIN3c104HalfEEvPKvPT_.kd
    .uniform_work_group_size: 1
    .uses_dynamic_stack: false
    .vgpr_count:     15
    .vgpr_spill_count: 0
    .wavefront_size: 64
  - .agpr_count:     0
    .args:
      - .actual_access:  read_only
        .address_space:  global
        .offset:         0
        .size:           8
        .value_kind:     global_buffer
      - .actual_access:  write_only
        .address_space:  global
        .offset:         8
        .size:           8
        .value_kind:     global_buffer
    .group_segment_fixed_size: 0
    .kernarg_segment_align: 8
    .kernarg_segment_size: 16
    .language:       OpenCL C
    .language_version:
      - 2
      - 0
    .max_flat_workgroup_size: 1024
    .name:           _ZL23dequantize_block_iq4_nlIN3c104HalfEEvPKvPT_
    .private_segment_fixed_size: 0
    .sgpr_count:     14
    .sgpr_spill_count: 0
    .symbol:         _ZL23dequantize_block_iq4_nlIN3c104HalfEEvPKvPT_.kd
    .uniform_work_group_size: 1
    .uses_dynamic_stack: false
    .vgpr_count:     21
    .vgpr_spill_count: 0
    .wavefront_size: 64
  - .agpr_count:     0
    .args:
      - .actual_access:  read_only
        .address_space:  global
        .offset:         0
        .size:           8
        .value_kind:     global_buffer
      - .actual_access:  write_only
        .address_space:  global
        .offset:         8
        .size:           8
        .value_kind:     global_buffer
    .group_segment_fixed_size: 0
    .kernarg_segment_align: 8
    .kernarg_segment_size: 16
    .language:       OpenCL C
    .language_version:
      - 2
      - 0
    .max_flat_workgroup_size: 1024
    .name:           _ZL22dequantize_block_iq3_sIN3c104HalfEEvPKvPT_
    .private_segment_fixed_size: 0
    .sgpr_count:     14
    .sgpr_spill_count: 0
    .symbol:         _ZL22dequantize_block_iq3_sIN3c104HalfEEvPKvPT_.kd
    .uniform_work_group_size: 1
    .uses_dynamic_stack: false
    .vgpr_count:     19
    .vgpr_spill_count: 0
    .wavefront_size: 64
  - .agpr_count:     0
    .args:
      - .actual_access:  read_only
        .address_space:  global
        .offset:         0
        .size:           8
        .value_kind:     global_buffer
      - .actual_access:  write_only
        .address_space:  global
        .offset:         8
        .size:           8
        .value_kind:     global_buffer
    .group_segment_fixed_size: 0
    .kernarg_segment_align: 8
    .kernarg_segment_size: 16
    .language:       OpenCL C
    .language_version:
      - 2
      - 0
    .max_flat_workgroup_size: 1024
    .name:           _ZL22dequantize_block_iq2_sIN3c104HalfEEvPKvPT_
    .private_segment_fixed_size: 0
    .sgpr_count:     14
    .sgpr_spill_count: 0
    .symbol:         _ZL22dequantize_block_iq2_sIN3c104HalfEEvPKvPT_.kd
    .uniform_work_group_size: 1
    .uses_dynamic_stack: false
    .vgpr_count:     19
    .vgpr_spill_count: 0
    .wavefront_size: 64
  - .agpr_count:     0
    .args:
      - .actual_access:  read_only
        .address_space:  global
        .offset:         0
        .size:           8
        .value_kind:     global_buffer
      - .actual_access:  write_only
        .address_space:  global
        .offset:         8
        .size:           8
        .value_kind:     global_buffer
    .group_segment_fixed_size: 0
    .kernarg_segment_align: 8
    .kernarg_segment_size: 16
    .language:       OpenCL C
    .language_version:
      - 2
      - 0
    .max_flat_workgroup_size: 1024
    .name:           _ZL23dequantize_block_iq4_xsIN3c104HalfEEvPKvPT_
    .private_segment_fixed_size: 0
    .sgpr_count:     16
    .sgpr_spill_count: 0
    .symbol:         _ZL23dequantize_block_iq4_xsIN3c104HalfEEvPKvPT_.kd
    .uniform_work_group_size: 1
    .uses_dynamic_stack: false
    .vgpr_count:     23
    .vgpr_spill_count: 0
    .wavefront_size: 64
  - .agpr_count:     0
    .args:
      - .actual_access:  read_only
        .address_space:  global
        .offset:         0
        .size:           8
        .value_kind:     global_buffer
      - .actual_access:  write_only
        .address_space:  global
        .offset:         8
        .size:           8
        .value_kind:     global_buffer
    .group_segment_fixed_size: 0
    .kernarg_segment_align: 8
    .kernarg_segment_size: 16
    .language:       OpenCL C
    .language_version:
      - 2
      - 0
    .max_flat_workgroup_size: 1024
    .name:           _ZL22dequantize_block_iq1_mIN3c104HalfEEvPKvPT_
    .private_segment_fixed_size: 0
    .sgpr_count:     14
    .sgpr_spill_count: 0
    .symbol:         _ZL22dequantize_block_iq1_mIN3c104HalfEEvPKvPT_.kd
    .uniform_work_group_size: 1
    .uses_dynamic_stack: false
    .vgpr_count:     15
    .vgpr_spill_count: 0
    .wavefront_size: 64
  - .agpr_count:     0
    .args:
      - .actual_access:  read_only
        .address_space:  global
        .offset:         0
        .size:           8
        .value_kind:     global_buffer
      - .actual_access:  write_only
        .address_space:  global
        .offset:         8
        .size:           8
        .value_kind:     global_buffer
      - .offset:         16
        .size:           4
        .value_kind:     by_value
      - .offset:         24
        .size:           4
        .value_kind:     hidden_block_count_x
      - .offset:         28
        .size:           4
        .value_kind:     hidden_block_count_y
      - .offset:         32
        .size:           4
        .value_kind:     hidden_block_count_z
      - .offset:         36
        .size:           2
        .value_kind:     hidden_group_size_x
      - .offset:         38
        .size:           2
        .value_kind:     hidden_group_size_y
      - .offset:         40
        .size:           2
        .value_kind:     hidden_group_size_z
      - .offset:         42
        .size:           2
        .value_kind:     hidden_remainder_x
      - .offset:         44
        .size:           2
        .value_kind:     hidden_remainder_y
      - .offset:         46
        .size:           2
        .value_kind:     hidden_remainder_z
      - .offset:         64
        .size:           8
        .value_kind:     hidden_global_offset_x
      - .offset:         72
        .size:           8
        .value_kind:     hidden_global_offset_y
      - .offset:         80
        .size:           8
        .value_kind:     hidden_global_offset_z
      - .offset:         88
        .size:           2
        .value_kind:     hidden_grid_dims
    .group_segment_fixed_size: 0
    .kernarg_segment_align: 8
    .kernarg_segment_size: 280
    .language:       OpenCL C
    .language_version:
      - 2
      - 0
    .max_flat_workgroup_size: 1024
    .name:           _ZL16dequantize_blockILi32ELi2EXadL_ZL15dequantize_q4_0PKviiR7__half2EEN3c108BFloat16EEvS1_PT2_i
    .private_segment_fixed_size: 0
    .sgpr_count:     11
    .sgpr_spill_count: 0
    .symbol:         _ZL16dequantize_blockILi32ELi2EXadL_ZL15dequantize_q4_0PKviiR7__half2EEN3c108BFloat16EEvS1_PT2_i.kd
    .uniform_work_group_size: 1
    .uses_dynamic_stack: false
    .vgpr_count:     9
    .vgpr_spill_count: 0
    .wavefront_size: 64
  - .agpr_count:     0
    .args:
      - .actual_access:  read_only
        .address_space:  global
        .offset:         0
        .size:           8
        .value_kind:     global_buffer
      - .actual_access:  write_only
        .address_space:  global
        .offset:         8
        .size:           8
        .value_kind:     global_buffer
      - .offset:         16
        .size:           4
        .value_kind:     by_value
      - .offset:         24
        .size:           4
        .value_kind:     hidden_block_count_x
      - .offset:         28
        .size:           4
        .value_kind:     hidden_block_count_y
      - .offset:         32
        .size:           4
        .value_kind:     hidden_block_count_z
      - .offset:         36
        .size:           2
        .value_kind:     hidden_group_size_x
      - .offset:         38
        .size:           2
        .value_kind:     hidden_group_size_y
      - .offset:         40
        .size:           2
        .value_kind:     hidden_group_size_z
      - .offset:         42
        .size:           2
        .value_kind:     hidden_remainder_x
      - .offset:         44
        .size:           2
        .value_kind:     hidden_remainder_y
      - .offset:         46
        .size:           2
        .value_kind:     hidden_remainder_z
      - .offset:         64
        .size:           8
        .value_kind:     hidden_global_offset_x
      - .offset:         72
        .size:           8
        .value_kind:     hidden_global_offset_y
      - .offset:         80
        .size:           8
        .value_kind:     hidden_global_offset_z
      - .offset:         88
        .size:           2
        .value_kind:     hidden_grid_dims
    .group_segment_fixed_size: 0
    .kernarg_segment_align: 8
    .kernarg_segment_size: 280
    .language:       OpenCL C
    .language_version:
      - 2
      - 0
    .max_flat_workgroup_size: 1024
    .name:           _ZL16dequantize_blockILi32ELi2EXadL_ZL15dequantize_q4_1PKviiR7__half2EEN3c108BFloat16EEvS1_PT2_i
    .private_segment_fixed_size: 0
    .sgpr_count:     11
    .sgpr_spill_count: 0
    .symbol:         _ZL16dequantize_blockILi32ELi2EXadL_ZL15dequantize_q4_1PKviiR7__half2EEN3c108BFloat16EEvS1_PT2_i.kd
    .uniform_work_group_size: 1
    .uses_dynamic_stack: false
    .vgpr_count:     8
    .vgpr_spill_count: 0
    .wavefront_size: 64
  - .agpr_count:     0
    .args:
      - .actual_access:  read_only
        .address_space:  global
        .offset:         0
        .size:           8
        .value_kind:     global_buffer
      - .actual_access:  write_only
        .address_space:  global
        .offset:         8
        .size:           8
        .value_kind:     global_buffer
      - .offset:         16
        .size:           4
        .value_kind:     by_value
      - .offset:         24
        .size:           4
        .value_kind:     hidden_block_count_x
      - .offset:         28
        .size:           4
        .value_kind:     hidden_block_count_y
      - .offset:         32
        .size:           4
        .value_kind:     hidden_block_count_z
      - .offset:         36
        .size:           2
        .value_kind:     hidden_group_size_x
      - .offset:         38
        .size:           2
        .value_kind:     hidden_group_size_y
      - .offset:         40
        .size:           2
        .value_kind:     hidden_group_size_z
      - .offset:         42
        .size:           2
        .value_kind:     hidden_remainder_x
      - .offset:         44
        .size:           2
        .value_kind:     hidden_remainder_y
      - .offset:         46
        .size:           2
        .value_kind:     hidden_remainder_z
      - .offset:         64
        .size:           8
        .value_kind:     hidden_global_offset_x
      - .offset:         72
        .size:           8
        .value_kind:     hidden_global_offset_y
      - .offset:         80
        .size:           8
        .value_kind:     hidden_global_offset_z
      - .offset:         88
        .size:           2
        .value_kind:     hidden_grid_dims
    .group_segment_fixed_size: 0
    .kernarg_segment_align: 8
    .kernarg_segment_size: 280
    .language:       OpenCL C
    .language_version:
      - 2
      - 0
    .max_flat_workgroup_size: 1024
    .name:           _ZL16dequantize_blockILi32ELi2EXadL_ZL15dequantize_q5_0PKviiR7__half2EEN3c108BFloat16EEvS1_PT2_i
    .private_segment_fixed_size: 0
    .sgpr_count:     11
    .sgpr_spill_count: 0
    .symbol:         _ZL16dequantize_blockILi32ELi2EXadL_ZL15dequantize_q5_0PKviiR7__half2EEN3c108BFloat16EEvS1_PT2_i.kd
    .uniform_work_group_size: 1
    .uses_dynamic_stack: false
    .vgpr_count:     9
    .vgpr_spill_count: 0
    .wavefront_size: 64
  - .agpr_count:     0
    .args:
      - .actual_access:  read_only
        .address_space:  global
        .offset:         0
        .size:           8
        .value_kind:     global_buffer
      - .actual_access:  write_only
        .address_space:  global
        .offset:         8
        .size:           8
        .value_kind:     global_buffer
      - .offset:         16
        .size:           4
        .value_kind:     by_value
      - .offset:         24
        .size:           4
        .value_kind:     hidden_block_count_x
      - .offset:         28
        .size:           4
        .value_kind:     hidden_block_count_y
      - .offset:         32
        .size:           4
        .value_kind:     hidden_block_count_z
      - .offset:         36
        .size:           2
        .value_kind:     hidden_group_size_x
      - .offset:         38
        .size:           2
        .value_kind:     hidden_group_size_y
      - .offset:         40
        .size:           2
        .value_kind:     hidden_group_size_z
      - .offset:         42
        .size:           2
        .value_kind:     hidden_remainder_x
      - .offset:         44
        .size:           2
        .value_kind:     hidden_remainder_y
      - .offset:         46
        .size:           2
        .value_kind:     hidden_remainder_z
      - .offset:         64
        .size:           8
        .value_kind:     hidden_global_offset_x
      - .offset:         72
        .size:           8
        .value_kind:     hidden_global_offset_y
      - .offset:         80
        .size:           8
        .value_kind:     hidden_global_offset_z
      - .offset:         88
        .size:           2
        .value_kind:     hidden_grid_dims
    .group_segment_fixed_size: 0
    .kernarg_segment_align: 8
    .kernarg_segment_size: 280
    .language:       OpenCL C
    .language_version:
      - 2
      - 0
    .max_flat_workgroup_size: 1024
    .name:           _ZL16dequantize_blockILi32ELi2EXadL_ZL15dequantize_q5_1PKviiR7__half2EEN3c108BFloat16EEvS1_PT2_i
    .private_segment_fixed_size: 0
    .sgpr_count:     11
    .sgpr_spill_count: 0
    .symbol:         _ZL16dequantize_blockILi32ELi2EXadL_ZL15dequantize_q5_1PKviiR7__half2EEN3c108BFloat16EEvS1_PT2_i.kd
    .uniform_work_group_size: 1
    .uses_dynamic_stack: false
    .vgpr_count:     9
    .vgpr_spill_count: 0
    .wavefront_size: 64
  - .agpr_count:     0
    .args:
      - .actual_access:  read_only
        .address_space:  global
        .offset:         0
        .size:           8
        .value_kind:     global_buffer
      - .actual_access:  write_only
        .address_space:  global
        .offset:         8
        .size:           8
        .value_kind:     global_buffer
      - .offset:         16
        .size:           4
        .value_kind:     by_value
      - .offset:         24
        .size:           4
        .value_kind:     hidden_block_count_x
      - .offset:         28
        .size:           4
        .value_kind:     hidden_block_count_y
      - .offset:         32
        .size:           4
        .value_kind:     hidden_block_count_z
      - .offset:         36
        .size:           2
        .value_kind:     hidden_group_size_x
      - .offset:         38
        .size:           2
        .value_kind:     hidden_group_size_y
      - .offset:         40
        .size:           2
        .value_kind:     hidden_group_size_z
      - .offset:         42
        .size:           2
        .value_kind:     hidden_remainder_x
      - .offset:         44
        .size:           2
        .value_kind:     hidden_remainder_y
      - .offset:         46
        .size:           2
        .value_kind:     hidden_remainder_z
      - .offset:         64
        .size:           8
        .value_kind:     hidden_global_offset_x
      - .offset:         72
        .size:           8
        .value_kind:     hidden_global_offset_y
      - .offset:         80
        .size:           8
        .value_kind:     hidden_global_offset_z
      - .offset:         88
        .size:           2
        .value_kind:     hidden_grid_dims
    .group_segment_fixed_size: 0
    .kernarg_segment_align: 8
    .kernarg_segment_size: 280
    .language:       OpenCL C
    .language_version:
      - 2
      - 0
    .max_flat_workgroup_size: 1024
    .name:           _ZL16dequantize_blockILi32ELi1EXadL_ZL15dequantize_q8_0PKviiR7__half2EEN3c108BFloat16EEvS1_PT2_i
    .private_segment_fixed_size: 0
    .sgpr_count:     11
    .sgpr_spill_count: 0
    .symbol:         _ZL16dequantize_blockILi32ELi1EXadL_ZL15dequantize_q8_0PKviiR7__half2EEN3c108BFloat16EEvS1_PT2_i.kd
    .uniform_work_group_size: 1
    .uses_dynamic_stack: false
    .vgpr_count:     8
    .vgpr_spill_count: 0
    .wavefront_size: 64
  - .agpr_count:     0
    .args:
      - .actual_access:  read_only
        .address_space:  global
        .offset:         0
        .size:           8
        .value_kind:     global_buffer
      - .actual_access:  write_only
        .address_space:  global
        .offset:         8
        .size:           8
        .value_kind:     global_buffer
    .group_segment_fixed_size: 0
    .kernarg_segment_align: 8
    .kernarg_segment_size: 16
    .language:       OpenCL C
    .language_version:
      - 2
      - 0
    .max_flat_workgroup_size: 1024
    .name:           _ZL21dequantize_block_q2_KIN3c108BFloat16EEvPKvPT_
    .private_segment_fixed_size: 0
    .sgpr_count:     14
    .sgpr_spill_count: 0
    .symbol:         _ZL21dequantize_block_q2_KIN3c108BFloat16EEvPKvPT_.kd
    .uniform_work_group_size: 1
    .uses_dynamic_stack: false
    .vgpr_count:     15
    .vgpr_spill_count: 0
    .wavefront_size: 64
  - .agpr_count:     0
    .args:
      - .actual_access:  read_only
        .address_space:  global
        .offset:         0
        .size:           8
        .value_kind:     global_buffer
      - .actual_access:  write_only
        .address_space:  global
        .offset:         8
        .size:           8
        .value_kind:     global_buffer
    .group_segment_fixed_size: 0
    .kernarg_segment_align: 8
    .kernarg_segment_size: 16
    .language:       OpenCL C
    .language_version:
      - 2
      - 0
    .max_flat_workgroup_size: 1024
    .name:           _ZL21dequantize_block_q3_KIN3c108BFloat16EEvPKvPT_
    .private_segment_fixed_size: 0
    .sgpr_count:     18
    .sgpr_spill_count: 0
    .symbol:         _ZL21dequantize_block_q3_KIN3c108BFloat16EEvPKvPT_.kd
    .uniform_work_group_size: 1
    .uses_dynamic_stack: false
    .vgpr_count:     18
    .vgpr_spill_count: 0
    .wavefront_size: 64
  - .agpr_count:     0
    .args:
      - .actual_access:  read_only
        .address_space:  global
        .offset:         0
        .size:           8
        .value_kind:     global_buffer
      - .actual_access:  write_only
        .address_space:  global
        .offset:         8
        .size:           8
        .value_kind:     global_buffer
    .group_segment_fixed_size: 0
    .kernarg_segment_align: 8
    .kernarg_segment_size: 16
    .language:       OpenCL C
    .language_version:
      - 2
      - 0
    .max_flat_workgroup_size: 1024
    .name:           _ZL21dequantize_block_q4_KIN3c108BFloat16EEvPKvPT_
    .private_segment_fixed_size: 0
    .sgpr_count:     14
    .sgpr_spill_count: 0
    .symbol:         _ZL21dequantize_block_q4_KIN3c108BFloat16EEvPKvPT_.kd
    .uniform_work_group_size: 1
    .uses_dynamic_stack: false
    .vgpr_count:     19
    .vgpr_spill_count: 0
    .wavefront_size: 64
  - .agpr_count:     0
    .args:
      - .actual_access:  read_only
        .address_space:  global
        .offset:         0
        .size:           8
        .value_kind:     global_buffer
      - .actual_access:  write_only
        .address_space:  global
        .offset:         8
        .size:           8
        .value_kind:     global_buffer
    .group_segment_fixed_size: 0
    .kernarg_segment_align: 8
    .kernarg_segment_size: 16
    .language:       OpenCL C
    .language_version:
      - 2
      - 0
    .max_flat_workgroup_size: 1024
    .name:           _ZL21dequantize_block_q5_KIN3c108BFloat16EEvPKvPT_
    .private_segment_fixed_size: 0
    .sgpr_count:     14
    .sgpr_spill_count: 0
    .symbol:         _ZL21dequantize_block_q5_KIN3c108BFloat16EEvPKvPT_.kd
    .uniform_work_group_size: 1
    .uses_dynamic_stack: false
    .vgpr_count:     17
    .vgpr_spill_count: 0
    .wavefront_size: 64
  - .agpr_count:     0
    .args:
      - .actual_access:  read_only
        .address_space:  global
        .offset:         0
        .size:           8
        .value_kind:     global_buffer
      - .actual_access:  write_only
        .address_space:  global
        .offset:         8
        .size:           8
        .value_kind:     global_buffer
    .group_segment_fixed_size: 0
    .kernarg_segment_align: 8
    .kernarg_segment_size: 16
    .language:       OpenCL C
    .language_version:
      - 2
      - 0
    .max_flat_workgroup_size: 1024
    .name:           _ZL21dequantize_block_q6_KIN3c108BFloat16EEvPKvPT_
    .private_segment_fixed_size: 0
    .sgpr_count:     14
    .sgpr_spill_count: 0
    .symbol:         _ZL21dequantize_block_q6_KIN3c108BFloat16EEvPKvPT_.kd
    .uniform_work_group_size: 1
    .uses_dynamic_stack: false
    .vgpr_count:     15
    .vgpr_spill_count: 0
    .wavefront_size: 64
  - .agpr_count:     0
    .args:
      - .actual_access:  read_only
        .address_space:  global
        .offset:         0
        .size:           8
        .value_kind:     global_buffer
      - .actual_access:  write_only
        .address_space:  global
        .offset:         8
        .size:           8
        .value_kind:     global_buffer
    .group_segment_fixed_size: 0
    .kernarg_segment_align: 8
    .kernarg_segment_size: 16
    .language:       OpenCL C
    .language_version:
      - 2
      - 0
    .max_flat_workgroup_size: 1024
    .name:           _ZL24dequantize_block_iq2_xxsIN3c108BFloat16EEvPKvPT_
    .private_segment_fixed_size: 0
    .sgpr_count:     14
    .sgpr_spill_count: 0
    .symbol:         _ZL24dequantize_block_iq2_xxsIN3c108BFloat16EEvPKvPT_.kd
    .uniform_work_group_size: 1
    .uses_dynamic_stack: false
    .vgpr_count:     24
    .vgpr_spill_count: 0
    .wavefront_size: 64
  - .agpr_count:     0
    .args:
      - .actual_access:  read_only
        .address_space:  global
        .offset:         0
        .size:           8
        .value_kind:     global_buffer
      - .actual_access:  write_only
        .address_space:  global
        .offset:         8
        .size:           8
        .value_kind:     global_buffer
    .group_segment_fixed_size: 0
    .kernarg_segment_align: 8
    .kernarg_segment_size: 16
    .language:       OpenCL C
    .language_version:
      - 2
      - 0
    .max_flat_workgroup_size: 1024
    .name:           _ZL23dequantize_block_iq2_xsIN3c108BFloat16EEvPKvPT_
    .private_segment_fixed_size: 0
    .sgpr_count:     14
    .sgpr_spill_count: 0
    .symbol:         _ZL23dequantize_block_iq2_xsIN3c108BFloat16EEvPKvPT_.kd
    .uniform_work_group_size: 1
    .uses_dynamic_stack: false
    .vgpr_count:     23
    .vgpr_spill_count: 0
    .wavefront_size: 64
  - .agpr_count:     0
    .args:
      - .actual_access:  read_only
        .address_space:  global
        .offset:         0
        .size:           8
        .value_kind:     global_buffer
      - .actual_access:  write_only
        .address_space:  global
        .offset:         8
        .size:           8
        .value_kind:     global_buffer
    .group_segment_fixed_size: 0
    .kernarg_segment_align: 8
    .kernarg_segment_size: 16
    .language:       OpenCL C
    .language_version:
      - 2
      - 0
    .max_flat_workgroup_size: 1024
    .name:           _ZL24dequantize_block_iq3_xxsIN3c108BFloat16EEvPKvPT_
    .private_segment_fixed_size: 0
    .sgpr_count:     14
    .sgpr_spill_count: 0
    .symbol:         _ZL24dequantize_block_iq3_xxsIN3c108BFloat16EEvPKvPT_.kd
    .uniform_work_group_size: 1
    .uses_dynamic_stack: false
    .vgpr_count:     22
    .vgpr_spill_count: 0
    .wavefront_size: 64
  - .agpr_count:     0
    .args:
      - .actual_access:  read_only
        .address_space:  global
        .offset:         0
        .size:           8
        .value_kind:     global_buffer
      - .actual_access:  write_only
        .address_space:  global
        .offset:         8
        .size:           8
        .value_kind:     global_buffer
    .group_segment_fixed_size: 0
    .kernarg_segment_align: 8
    .kernarg_segment_size: 16
    .language:       OpenCL C
    .language_version:
      - 2
      - 0
    .max_flat_workgroup_size: 1024
    .name:           _ZL22dequantize_block_iq1_sIN3c108BFloat16EEvPKvPT_
    .private_segment_fixed_size: 0
    .sgpr_count:     14
    .sgpr_spill_count: 0
    .symbol:         _ZL22dequantize_block_iq1_sIN3c108BFloat16EEvPKvPT_.kd
    .uniform_work_group_size: 1
    .uses_dynamic_stack: false
    .vgpr_count:     19
    .vgpr_spill_count: 0
    .wavefront_size: 64
  - .agpr_count:     0
    .args:
      - .actual_access:  read_only
        .address_space:  global
        .offset:         0
        .size:           8
        .value_kind:     global_buffer
      - .actual_access:  write_only
        .address_space:  global
        .offset:         8
        .size:           8
        .value_kind:     global_buffer
    .group_segment_fixed_size: 0
    .kernarg_segment_align: 8
    .kernarg_segment_size: 16
    .language:       OpenCL C
    .language_version:
      - 2
      - 0
    .max_flat_workgroup_size: 1024
    .name:           _ZL23dequantize_block_iq4_nlIN3c108BFloat16EEvPKvPT_
    .private_segment_fixed_size: 0
    .sgpr_count:     15
    .sgpr_spill_count: 0
    .symbol:         _ZL23dequantize_block_iq4_nlIN3c108BFloat16EEvPKvPT_.kd
    .uniform_work_group_size: 1
    .uses_dynamic_stack: false
    .vgpr_count:     26
    .vgpr_spill_count: 0
    .wavefront_size: 64
  - .agpr_count:     0
    .args:
      - .actual_access:  read_only
        .address_space:  global
        .offset:         0
        .size:           8
        .value_kind:     global_buffer
      - .actual_access:  write_only
        .address_space:  global
        .offset:         8
        .size:           8
        .value_kind:     global_buffer
    .group_segment_fixed_size: 0
    .kernarg_segment_align: 8
    .kernarg_segment_size: 16
    .language:       OpenCL C
    .language_version:
      - 2
      - 0
    .max_flat_workgroup_size: 1024
    .name:           _ZL22dequantize_block_iq3_sIN3c108BFloat16EEvPKvPT_
    .private_segment_fixed_size: 0
    .sgpr_count:     14
    .sgpr_spill_count: 0
    .symbol:         _ZL22dequantize_block_iq3_sIN3c108BFloat16EEvPKvPT_.kd
    .uniform_work_group_size: 1
    .uses_dynamic_stack: false
    .vgpr_count:     23
    .vgpr_spill_count: 0
    .wavefront_size: 64
  - .agpr_count:     0
    .args:
      - .actual_access:  read_only
        .address_space:  global
        .offset:         0
        .size:           8
        .value_kind:     global_buffer
      - .actual_access:  write_only
        .address_space:  global
        .offset:         8
        .size:           8
        .value_kind:     global_buffer
    .group_segment_fixed_size: 0
    .kernarg_segment_align: 8
    .kernarg_segment_size: 16
    .language:       OpenCL C
    .language_version:
      - 2
      - 0
    .max_flat_workgroup_size: 1024
    .name:           _ZL22dequantize_block_iq2_sIN3c108BFloat16EEvPKvPT_
    .private_segment_fixed_size: 0
    .sgpr_count:     14
    .sgpr_spill_count: 0
    .symbol:         _ZL22dequantize_block_iq2_sIN3c108BFloat16EEvPKvPT_.kd
    .uniform_work_group_size: 1
    .uses_dynamic_stack: false
    .vgpr_count:     24
    .vgpr_spill_count: 0
    .wavefront_size: 64
  - .agpr_count:     0
    .args:
      - .actual_access:  read_only
        .address_space:  global
        .offset:         0
        .size:           8
        .value_kind:     global_buffer
      - .actual_access:  write_only
        .address_space:  global
        .offset:         8
        .size:           8
        .value_kind:     global_buffer
    .group_segment_fixed_size: 0
    .kernarg_segment_align: 8
    .kernarg_segment_size: 16
    .language:       OpenCL C
    .language_version:
      - 2
      - 0
    .max_flat_workgroup_size: 1024
    .name:           _ZL23dequantize_block_iq4_xsIN3c108BFloat16EEvPKvPT_
    .private_segment_fixed_size: 0
    .sgpr_count:     16
    .sgpr_spill_count: 0
    .symbol:         _ZL23dequantize_block_iq4_xsIN3c108BFloat16EEvPKvPT_.kd
    .uniform_work_group_size: 1
    .uses_dynamic_stack: false
    .vgpr_count:     28
    .vgpr_spill_count: 0
    .wavefront_size: 64
  - .agpr_count:     0
    .args:
      - .actual_access:  read_only
        .address_space:  global
        .offset:         0
        .size:           8
        .value_kind:     global_buffer
      - .actual_access:  write_only
        .address_space:  global
        .offset:         8
        .size:           8
        .value_kind:     global_buffer
    .group_segment_fixed_size: 0
    .kernarg_segment_align: 8
    .kernarg_segment_size: 16
    .language:       OpenCL C
    .language_version:
      - 2
      - 0
    .max_flat_workgroup_size: 1024
    .name:           _ZL22dequantize_block_iq1_mIN3c108BFloat16EEvPKvPT_
    .private_segment_fixed_size: 0
    .sgpr_count:     14
    .sgpr_spill_count: 0
    .symbol:         _ZL22dequantize_block_iq1_mIN3c108BFloat16EEvPKvPT_.kd
    .uniform_work_group_size: 1
    .uses_dynamic_stack: false
    .vgpr_count:     19
    .vgpr_spill_count: 0
    .wavefront_size: 64
  - .agpr_count:     0
    .args:
      - .actual_access:  read_only
        .address_space:  global
        .offset:         0
        .size:           8
        .value_kind:     global_buffer
      - .actual_access:  write_only
        .address_space:  global
        .offset:         8
        .size:           8
        .value_kind:     global_buffer
      - .offset:         16
        .size:           4
        .value_kind:     by_value
      - .offset:         20
        .size:           4
        .value_kind:     by_value
      - .offset:         24
        .size:           4
        .value_kind:     hidden_block_count_x
      - .offset:         28
        .size:           4
        .value_kind:     hidden_block_count_y
      - .offset:         32
        .size:           4
        .value_kind:     hidden_block_count_z
      - .offset:         36
        .size:           2
        .value_kind:     hidden_group_size_x
      - .offset:         38
        .size:           2
        .value_kind:     hidden_group_size_y
      - .offset:         40
        .size:           2
        .value_kind:     hidden_group_size_z
      - .offset:         42
        .size:           2
        .value_kind:     hidden_remainder_x
      - .offset:         44
        .size:           2
        .value_kind:     hidden_remainder_y
      - .offset:         46
        .size:           2
        .value_kind:     hidden_remainder_z
      - .offset:         64
        .size:           8
        .value_kind:     hidden_global_offset_x
      - .offset:         72
        .size:           8
        .value_kind:     hidden_global_offset_y
      - .offset:         80
        .size:           8
        .value_kind:     hidden_global_offset_z
      - .offset:         88
        .size:           2
        .value_kind:     hidden_grid_dims
    .group_segment_fixed_size: 0
    .kernarg_segment_align: 8
    .kernarg_segment_size: 280
    .language:       OpenCL C
    .language_version:
      - 2
      - 0
    .max_flat_workgroup_size: 1024
    .name:           _ZL13quantize_q8_1IfEvPKT_Pvii
    .private_segment_fixed_size: 0
    .sgpr_count:     16
    .sgpr_spill_count: 0
    .symbol:         _ZL13quantize_q8_1IfEvPKT_Pvii.kd
    .uniform_work_group_size: 1
    .uses_dynamic_stack: false
    .vgpr_count:     12
    .vgpr_spill_count: 0
    .wavefront_size: 64
  - .agpr_count:     0
    .args:
      - .actual_access:  read_only
        .address_space:  global
        .offset:         0
        .size:           8
        .value_kind:     global_buffer
      - .actual_access:  read_only
        .address_space:  global
        .offset:         8
        .size:           8
        .value_kind:     global_buffer
      - .actual_access:  write_only
        .address_space:  global
        .offset:         16
        .size:           8
        .value_kind:     global_buffer
      - .offset:         24
        .size:           4
        .value_kind:     by_value
      - .offset:         28
        .size:           4
        .value_kind:     by_value
      - .offset:         32
        .size:           4
        .value_kind:     by_value
      - .offset:         40
        .size:           4
        .value_kind:     hidden_block_count_x
      - .offset:         44
        .size:           4
        .value_kind:     hidden_block_count_y
      - .offset:         48
        .size:           4
        .value_kind:     hidden_block_count_z
      - .offset:         52
        .size:           2
        .value_kind:     hidden_group_size_x
      - .offset:         54
        .size:           2
        .value_kind:     hidden_group_size_y
      - .offset:         56
        .size:           2
        .value_kind:     hidden_group_size_z
      - .offset:         58
        .size:           2
        .value_kind:     hidden_remainder_x
      - .offset:         60
        .size:           2
        .value_kind:     hidden_remainder_y
      - .offset:         62
        .size:           2
        .value_kind:     hidden_remainder_z
      - .offset:         80
        .size:           8
        .value_kind:     hidden_global_offset_x
      - .offset:         88
        .size:           8
        .value_kind:     hidden_global_offset_y
      - .offset:         96
        .size:           8
        .value_kind:     hidden_global_offset_z
      - .offset:         104
        .size:           2
        .value_kind:     hidden_grid_dims
    .group_segment_fixed_size: 0
    .kernarg_segment_align: 8
    .kernarg_segment_size: 296
    .language:       OpenCL C
    .language_version:
      - 2
      - 0
    .max_flat_workgroup_size: 1024
    .name:           _ZL13mul_mat_vec_qIfLi32ELi4E10block_q4_0Li2EXadL_ZL17vec_dot_q4_0_q8_1PKvPK10block_q8_1RKiEEEvS2_S2_PT_iii
    .private_segment_fixed_size: 0
    .sgpr_count:     22
    .sgpr_spill_count: 0
    .symbol:         _ZL13mul_mat_vec_qIfLi32ELi4E10block_q4_0Li2EXadL_ZL17vec_dot_q4_0_q8_1PKvPK10block_q8_1RKiEEEvS2_S2_PT_iii.kd
    .uniform_work_group_size: 1
    .uses_dynamic_stack: false
    .vgpr_count:     24
    .vgpr_spill_count: 0
    .wavefront_size: 64
  - .agpr_count:     0
    .args:
      - .actual_access:  read_only
        .address_space:  global
        .offset:         0
        .size:           8
        .value_kind:     global_buffer
      - .actual_access:  read_only
        .address_space:  global
        .offset:         8
        .size:           8
        .value_kind:     global_buffer
      - .actual_access:  write_only
        .address_space:  global
        .offset:         16
        .size:           8
        .value_kind:     global_buffer
      - .offset:         24
        .size:           4
        .value_kind:     by_value
      - .offset:         28
        .size:           4
        .value_kind:     by_value
      - .offset:         32
        .size:           4
        .value_kind:     by_value
      - .offset:         40
        .size:           4
        .value_kind:     hidden_block_count_x
      - .offset:         44
        .size:           4
        .value_kind:     hidden_block_count_y
      - .offset:         48
        .size:           4
        .value_kind:     hidden_block_count_z
      - .offset:         52
        .size:           2
        .value_kind:     hidden_group_size_x
      - .offset:         54
        .size:           2
        .value_kind:     hidden_group_size_y
      - .offset:         56
        .size:           2
        .value_kind:     hidden_group_size_z
      - .offset:         58
        .size:           2
        .value_kind:     hidden_remainder_x
      - .offset:         60
        .size:           2
        .value_kind:     hidden_remainder_y
      - .offset:         62
        .size:           2
        .value_kind:     hidden_remainder_z
      - .offset:         80
        .size:           8
        .value_kind:     hidden_global_offset_x
      - .offset:         88
        .size:           8
        .value_kind:     hidden_global_offset_y
      - .offset:         96
        .size:           8
        .value_kind:     hidden_global_offset_z
      - .offset:         104
        .size:           2
        .value_kind:     hidden_grid_dims
    .group_segment_fixed_size: 0
    .kernarg_segment_align: 8
    .kernarg_segment_size: 296
    .language:       OpenCL C
    .language_version:
      - 2
      - 0
    .max_flat_workgroup_size: 1024
    .name:           _ZL13mul_mat_vec_qIfLi32ELi4E10block_q4_1Li2EXadL_ZL17vec_dot_q4_1_q8_1PKvPK10block_q8_1RKiEEEvS2_S2_PT_iii
    .private_segment_fixed_size: 0
    .sgpr_count:     22
    .sgpr_spill_count: 0
    .symbol:         _ZL13mul_mat_vec_qIfLi32ELi4E10block_q4_1Li2EXadL_ZL17vec_dot_q4_1_q8_1PKvPK10block_q8_1RKiEEEvS2_S2_PT_iii.kd
    .uniform_work_group_size: 1
    .uses_dynamic_stack: false
    .vgpr_count:     24
    .vgpr_spill_count: 0
    .wavefront_size: 64
  - .agpr_count:     0
    .args:
      - .actual_access:  read_only
        .address_space:  global
        .offset:         0
        .size:           8
        .value_kind:     global_buffer
      - .actual_access:  read_only
        .address_space:  global
        .offset:         8
        .size:           8
        .value_kind:     global_buffer
      - .actual_access:  write_only
        .address_space:  global
        .offset:         16
        .size:           8
        .value_kind:     global_buffer
      - .offset:         24
        .size:           4
        .value_kind:     by_value
      - .offset:         28
        .size:           4
        .value_kind:     by_value
      - .offset:         32
        .size:           4
        .value_kind:     by_value
      - .offset:         40
        .size:           4
        .value_kind:     hidden_block_count_x
      - .offset:         44
        .size:           4
        .value_kind:     hidden_block_count_y
      - .offset:         48
        .size:           4
        .value_kind:     hidden_block_count_z
      - .offset:         52
        .size:           2
        .value_kind:     hidden_group_size_x
      - .offset:         54
        .size:           2
        .value_kind:     hidden_group_size_y
      - .offset:         56
        .size:           2
        .value_kind:     hidden_group_size_z
      - .offset:         58
        .size:           2
        .value_kind:     hidden_remainder_x
      - .offset:         60
        .size:           2
        .value_kind:     hidden_remainder_y
      - .offset:         62
        .size:           2
        .value_kind:     hidden_remainder_z
      - .offset:         80
        .size:           8
        .value_kind:     hidden_global_offset_x
      - .offset:         88
        .size:           8
        .value_kind:     hidden_global_offset_y
      - .offset:         96
        .size:           8
        .value_kind:     hidden_global_offset_z
      - .offset:         104
        .size:           2
        .value_kind:     hidden_grid_dims
    .group_segment_fixed_size: 0
    .kernarg_segment_align: 8
    .kernarg_segment_size: 296
    .language:       OpenCL C
    .language_version:
      - 2
      - 0
    .max_flat_workgroup_size: 1024
    .name:           _ZL13mul_mat_vec_qIfLi32ELi4E10block_q5_0Li2EXadL_ZL17vec_dot_q5_0_q8_1PKvPK10block_q8_1RKiEEEvS2_S2_PT_iii
    .private_segment_fixed_size: 0
    .sgpr_count:     22
    .sgpr_spill_count: 0
    .symbol:         _ZL13mul_mat_vec_qIfLi32ELi4E10block_q5_0Li2EXadL_ZL17vec_dot_q5_0_q8_1PKvPK10block_q8_1RKiEEEvS2_S2_PT_iii.kd
    .uniform_work_group_size: 1
    .uses_dynamic_stack: false
    .vgpr_count:     37
    .vgpr_spill_count: 0
    .wavefront_size: 64
  - .agpr_count:     0
    .args:
      - .actual_access:  read_only
        .address_space:  global
        .offset:         0
        .size:           8
        .value_kind:     global_buffer
      - .actual_access:  read_only
        .address_space:  global
        .offset:         8
        .size:           8
        .value_kind:     global_buffer
      - .actual_access:  write_only
        .address_space:  global
        .offset:         16
        .size:           8
        .value_kind:     global_buffer
      - .offset:         24
        .size:           4
        .value_kind:     by_value
      - .offset:         28
        .size:           4
        .value_kind:     by_value
      - .offset:         32
        .size:           4
        .value_kind:     by_value
      - .offset:         40
        .size:           4
        .value_kind:     hidden_block_count_x
      - .offset:         44
        .size:           4
        .value_kind:     hidden_block_count_y
      - .offset:         48
        .size:           4
        .value_kind:     hidden_block_count_z
      - .offset:         52
        .size:           2
        .value_kind:     hidden_group_size_x
      - .offset:         54
        .size:           2
        .value_kind:     hidden_group_size_y
      - .offset:         56
        .size:           2
        .value_kind:     hidden_group_size_z
      - .offset:         58
        .size:           2
        .value_kind:     hidden_remainder_x
      - .offset:         60
        .size:           2
        .value_kind:     hidden_remainder_y
      - .offset:         62
        .size:           2
        .value_kind:     hidden_remainder_z
      - .offset:         80
        .size:           8
        .value_kind:     hidden_global_offset_x
      - .offset:         88
        .size:           8
        .value_kind:     hidden_global_offset_y
      - .offset:         96
        .size:           8
        .value_kind:     hidden_global_offset_z
      - .offset:         104
        .size:           2
        .value_kind:     hidden_grid_dims
    .group_segment_fixed_size: 0
    .kernarg_segment_align: 8
    .kernarg_segment_size: 296
    .language:       OpenCL C
    .language_version:
      - 2
      - 0
    .max_flat_workgroup_size: 1024
    .name:           _ZL13mul_mat_vec_qIfLi32ELi4E10block_q5_1Li2EXadL_ZL17vec_dot_q5_1_q8_1PKvPK10block_q8_1RKiEEEvS2_S2_PT_iii
    .private_segment_fixed_size: 0
    .sgpr_count:     22
    .sgpr_spill_count: 0
    .symbol:         _ZL13mul_mat_vec_qIfLi32ELi4E10block_q5_1Li2EXadL_ZL17vec_dot_q5_1_q8_1PKvPK10block_q8_1RKiEEEvS2_S2_PT_iii.kd
    .uniform_work_group_size: 1
    .uses_dynamic_stack: false
    .vgpr_count:     37
    .vgpr_spill_count: 0
    .wavefront_size: 64
  - .agpr_count:     0
    .args:
      - .actual_access:  read_only
        .address_space:  global
        .offset:         0
        .size:           8
        .value_kind:     global_buffer
      - .actual_access:  read_only
        .address_space:  global
        .offset:         8
        .size:           8
        .value_kind:     global_buffer
      - .actual_access:  write_only
        .address_space:  global
        .offset:         16
        .size:           8
        .value_kind:     global_buffer
      - .offset:         24
        .size:           4
        .value_kind:     by_value
      - .offset:         28
        .size:           4
        .value_kind:     by_value
      - .offset:         32
        .size:           4
        .value_kind:     by_value
      - .offset:         40
        .size:           4
        .value_kind:     hidden_block_count_x
      - .offset:         44
        .size:           4
        .value_kind:     hidden_block_count_y
      - .offset:         48
        .size:           4
        .value_kind:     hidden_block_count_z
      - .offset:         52
        .size:           2
        .value_kind:     hidden_group_size_x
      - .offset:         54
        .size:           2
        .value_kind:     hidden_group_size_y
      - .offset:         56
        .size:           2
        .value_kind:     hidden_group_size_z
      - .offset:         58
        .size:           2
        .value_kind:     hidden_remainder_x
      - .offset:         60
        .size:           2
        .value_kind:     hidden_remainder_y
      - .offset:         62
        .size:           2
        .value_kind:     hidden_remainder_z
      - .offset:         80
        .size:           8
        .value_kind:     hidden_global_offset_x
      - .offset:         88
        .size:           8
        .value_kind:     hidden_global_offset_y
      - .offset:         96
        .size:           8
        .value_kind:     hidden_global_offset_z
      - .offset:         104
        .size:           2
        .value_kind:     hidden_grid_dims
    .group_segment_fixed_size: 0
    .kernarg_segment_align: 8
    .kernarg_segment_size: 296
    .language:       OpenCL C
    .language_version:
      - 2
      - 0
    .max_flat_workgroup_size: 1024
    .name:           _ZL13mul_mat_vec_qIfLi32ELi8E10block_q8_0Li2EXadL_ZL17vec_dot_q8_0_q8_1PKvPK10block_q8_1RKiEEEvS2_S2_PT_iii
    .private_segment_fixed_size: 0
    .sgpr_count:     22
    .sgpr_spill_count: 0
    .symbol:         _ZL13mul_mat_vec_qIfLi32ELi8E10block_q8_0Li2EXadL_ZL17vec_dot_q8_0_q8_1PKvPK10block_q8_1RKiEEEvS2_S2_PT_iii.kd
    .uniform_work_group_size: 1
    .uses_dynamic_stack: false
    .vgpr_count:     21
    .vgpr_spill_count: 0
    .wavefront_size: 64
  - .agpr_count:     0
    .args:
      - .actual_access:  read_only
        .address_space:  global
        .offset:         0
        .size:           8
        .value_kind:     global_buffer
      - .actual_access:  read_only
        .address_space:  global
        .offset:         8
        .size:           8
        .value_kind:     global_buffer
      - .actual_access:  write_only
        .address_space:  global
        .offset:         16
        .size:           8
        .value_kind:     global_buffer
      - .offset:         24
        .size:           4
        .value_kind:     by_value
      - .offset:         28
        .size:           4
        .value_kind:     by_value
      - .offset:         32
        .size:           4
        .value_kind:     by_value
      - .offset:         40
        .size:           4
        .value_kind:     hidden_block_count_x
      - .offset:         44
        .size:           4
        .value_kind:     hidden_block_count_y
      - .offset:         48
        .size:           4
        .value_kind:     hidden_block_count_z
      - .offset:         52
        .size:           2
        .value_kind:     hidden_group_size_x
      - .offset:         54
        .size:           2
        .value_kind:     hidden_group_size_y
      - .offset:         56
        .size:           2
        .value_kind:     hidden_group_size_z
      - .offset:         58
        .size:           2
        .value_kind:     hidden_remainder_x
      - .offset:         60
        .size:           2
        .value_kind:     hidden_remainder_y
      - .offset:         62
        .size:           2
        .value_kind:     hidden_remainder_z
      - .offset:         80
        .size:           8
        .value_kind:     hidden_global_offset_x
      - .offset:         88
        .size:           8
        .value_kind:     hidden_global_offset_y
      - .offset:         96
        .size:           8
        .value_kind:     hidden_global_offset_z
      - .offset:         104
        .size:           2
        .value_kind:     hidden_grid_dims
    .group_segment_fixed_size: 0
    .kernarg_segment_align: 8
    .kernarg_segment_size: 296
    .language:       OpenCL C
    .language_version:
      - 2
      - 0
    .max_flat_workgroup_size: 1024
    .name:           _ZL13mul_mat_vec_qIfLi256ELi16E10block_q2_KLi1EXadL_ZL17vec_dot_q2_K_q8_1PKvPK10block_q8_1RKiEEEvS2_S2_PT_iii
    .private_segment_fixed_size: 0
    .sgpr_count:     22
    .sgpr_spill_count: 0
    .symbol:         _ZL13mul_mat_vec_qIfLi256ELi16E10block_q2_KLi1EXadL_ZL17vec_dot_q2_K_q8_1PKvPK10block_q8_1RKiEEEvS2_S2_PT_iii.kd
    .uniform_work_group_size: 1
    .uses_dynamic_stack: false
    .vgpr_count:     47
    .vgpr_spill_count: 0
    .wavefront_size: 64
  - .agpr_count:     0
    .args:
      - .actual_access:  read_only
        .address_space:  global
        .offset:         0
        .size:           8
        .value_kind:     global_buffer
      - .actual_access:  read_only
        .address_space:  global
        .offset:         8
        .size:           8
        .value_kind:     global_buffer
      - .actual_access:  write_only
        .address_space:  global
        .offset:         16
        .size:           8
        .value_kind:     global_buffer
      - .offset:         24
        .size:           4
        .value_kind:     by_value
      - .offset:         28
        .size:           4
        .value_kind:     by_value
      - .offset:         32
        .size:           4
        .value_kind:     by_value
      - .offset:         40
        .size:           4
        .value_kind:     hidden_block_count_x
      - .offset:         44
        .size:           4
        .value_kind:     hidden_block_count_y
      - .offset:         48
        .size:           4
        .value_kind:     hidden_block_count_z
      - .offset:         52
        .size:           2
        .value_kind:     hidden_group_size_x
      - .offset:         54
        .size:           2
        .value_kind:     hidden_group_size_y
      - .offset:         56
        .size:           2
        .value_kind:     hidden_group_size_z
      - .offset:         58
        .size:           2
        .value_kind:     hidden_remainder_x
      - .offset:         60
        .size:           2
        .value_kind:     hidden_remainder_y
      - .offset:         62
        .size:           2
        .value_kind:     hidden_remainder_z
      - .offset:         80
        .size:           8
        .value_kind:     hidden_global_offset_x
      - .offset:         88
        .size:           8
        .value_kind:     hidden_global_offset_y
      - .offset:         96
        .size:           8
        .value_kind:     hidden_global_offset_z
      - .offset:         104
        .size:           2
        .value_kind:     hidden_grid_dims
    .group_segment_fixed_size: 0
    .kernarg_segment_align: 8
    .kernarg_segment_size: 296
    .language:       OpenCL C
    .language_version:
      - 2
      - 0
    .max_flat_workgroup_size: 1024
    .name:           _ZL13mul_mat_vec_qIfLi256ELi16E10block_q3_KLi1EXadL_ZL17vec_dot_q3_K_q8_1PKvPK10block_q8_1RKiEEEvS2_S2_PT_iii
    .private_segment_fixed_size: 0
    .sgpr_count:     22
    .sgpr_spill_count: 0
    .symbol:         _ZL13mul_mat_vec_qIfLi256ELi16E10block_q3_KLi1EXadL_ZL17vec_dot_q3_K_q8_1PKvPK10block_q8_1RKiEEEvS2_S2_PT_iii.kd
    .uniform_work_group_size: 1
    .uses_dynamic_stack: false
    .vgpr_count:     57
    .vgpr_spill_count: 0
    .wavefront_size: 64
  - .agpr_count:     0
    .args:
      - .actual_access:  read_only
        .address_space:  global
        .offset:         0
        .size:           8
        .value_kind:     global_buffer
      - .actual_access:  read_only
        .address_space:  global
        .offset:         8
        .size:           8
        .value_kind:     global_buffer
      - .actual_access:  write_only
        .address_space:  global
        .offset:         16
        .size:           8
        .value_kind:     global_buffer
      - .offset:         24
        .size:           4
        .value_kind:     by_value
      - .offset:         28
        .size:           4
        .value_kind:     by_value
      - .offset:         32
        .size:           4
        .value_kind:     by_value
      - .offset:         40
        .size:           4
        .value_kind:     hidden_block_count_x
      - .offset:         44
        .size:           4
        .value_kind:     hidden_block_count_y
      - .offset:         48
        .size:           4
        .value_kind:     hidden_block_count_z
      - .offset:         52
        .size:           2
        .value_kind:     hidden_group_size_x
      - .offset:         54
        .size:           2
        .value_kind:     hidden_group_size_y
      - .offset:         56
        .size:           2
        .value_kind:     hidden_group_size_z
      - .offset:         58
        .size:           2
        .value_kind:     hidden_remainder_x
      - .offset:         60
        .size:           2
        .value_kind:     hidden_remainder_y
      - .offset:         62
        .size:           2
        .value_kind:     hidden_remainder_z
      - .offset:         80
        .size:           8
        .value_kind:     hidden_global_offset_x
      - .offset:         88
        .size:           8
        .value_kind:     hidden_global_offset_y
      - .offset:         96
        .size:           8
        .value_kind:     hidden_global_offset_z
      - .offset:         104
        .size:           2
        .value_kind:     hidden_grid_dims
    .group_segment_fixed_size: 0
    .kernarg_segment_align: 8
    .kernarg_segment_size: 296
    .language:       OpenCL C
    .language_version:
      - 2
      - 0
    .max_flat_workgroup_size: 1024
    .name:           _ZL13mul_mat_vec_qIfLi256ELi32E10block_q4_KLi2EXadL_ZL17vec_dot_q4_K_q8_1PKvPK10block_q8_1RKiEEEvS2_S2_PT_iii
    .private_segment_fixed_size: 0
    .sgpr_count:     22
    .sgpr_spill_count: 0
    .symbol:         _ZL13mul_mat_vec_qIfLi256ELi32E10block_q4_KLi2EXadL_ZL17vec_dot_q4_K_q8_1PKvPK10block_q8_1RKiEEEvS2_S2_PT_iii.kd
    .uniform_work_group_size: 1
    .uses_dynamic_stack: false
    .vgpr_count:     41
    .vgpr_spill_count: 0
    .wavefront_size: 64
  - .agpr_count:     0
    .args:
      - .actual_access:  read_only
        .address_space:  global
        .offset:         0
        .size:           8
        .value_kind:     global_buffer
      - .actual_access:  read_only
        .address_space:  global
        .offset:         8
        .size:           8
        .value_kind:     global_buffer
      - .actual_access:  write_only
        .address_space:  global
        .offset:         16
        .size:           8
        .value_kind:     global_buffer
      - .offset:         24
        .size:           4
        .value_kind:     by_value
      - .offset:         28
        .size:           4
        .value_kind:     by_value
      - .offset:         32
        .size:           4
        .value_kind:     by_value
      - .offset:         40
        .size:           4
        .value_kind:     hidden_block_count_x
      - .offset:         44
        .size:           4
        .value_kind:     hidden_block_count_y
      - .offset:         48
        .size:           4
        .value_kind:     hidden_block_count_z
      - .offset:         52
        .size:           2
        .value_kind:     hidden_group_size_x
      - .offset:         54
        .size:           2
        .value_kind:     hidden_group_size_y
      - .offset:         56
        .size:           2
        .value_kind:     hidden_group_size_z
      - .offset:         58
        .size:           2
        .value_kind:     hidden_remainder_x
      - .offset:         60
        .size:           2
        .value_kind:     hidden_remainder_y
      - .offset:         62
        .size:           2
        .value_kind:     hidden_remainder_z
      - .offset:         80
        .size:           8
        .value_kind:     hidden_global_offset_x
      - .offset:         88
        .size:           8
        .value_kind:     hidden_global_offset_y
      - .offset:         96
        .size:           8
        .value_kind:     hidden_global_offset_z
      - .offset:         104
        .size:           2
        .value_kind:     hidden_grid_dims
    .group_segment_fixed_size: 0
    .kernarg_segment_align: 8
    .kernarg_segment_size: 296
    .language:       OpenCL C
    .language_version:
      - 2
      - 0
    .max_flat_workgroup_size: 1024
    .name:           _ZL13mul_mat_vec_qIfLi256ELi32E10block_q5_KLi2EXadL_ZL17vec_dot_q5_K_q8_1PKvPK10block_q8_1RKiEEEvS2_S2_PT_iii
    .private_segment_fixed_size: 0
    .sgpr_count:     22
    .sgpr_spill_count: 0
    .symbol:         _ZL13mul_mat_vec_qIfLi256ELi32E10block_q5_KLi2EXadL_ZL17vec_dot_q5_K_q8_1PKvPK10block_q8_1RKiEEEvS2_S2_PT_iii.kd
    .uniform_work_group_size: 1
    .uses_dynamic_stack: false
    .vgpr_count:     43
    .vgpr_spill_count: 0
    .wavefront_size: 64
  - .agpr_count:     0
    .args:
      - .actual_access:  read_only
        .address_space:  global
        .offset:         0
        .size:           8
        .value_kind:     global_buffer
      - .actual_access:  read_only
        .address_space:  global
        .offset:         8
        .size:           8
        .value_kind:     global_buffer
      - .actual_access:  write_only
        .address_space:  global
        .offset:         16
        .size:           8
        .value_kind:     global_buffer
      - .offset:         24
        .size:           4
        .value_kind:     by_value
      - .offset:         28
        .size:           4
        .value_kind:     by_value
      - .offset:         32
        .size:           4
        .value_kind:     by_value
      - .offset:         40
        .size:           4
        .value_kind:     hidden_block_count_x
      - .offset:         44
        .size:           4
        .value_kind:     hidden_block_count_y
      - .offset:         48
        .size:           4
        .value_kind:     hidden_block_count_z
      - .offset:         52
        .size:           2
        .value_kind:     hidden_group_size_x
      - .offset:         54
        .size:           2
        .value_kind:     hidden_group_size_y
      - .offset:         56
        .size:           2
        .value_kind:     hidden_group_size_z
      - .offset:         58
        .size:           2
        .value_kind:     hidden_remainder_x
      - .offset:         60
        .size:           2
        .value_kind:     hidden_remainder_y
      - .offset:         62
        .size:           2
        .value_kind:     hidden_remainder_z
      - .offset:         80
        .size:           8
        .value_kind:     hidden_global_offset_x
      - .offset:         88
        .size:           8
        .value_kind:     hidden_global_offset_y
      - .offset:         96
        .size:           8
        .value_kind:     hidden_global_offset_z
      - .offset:         104
        .size:           2
        .value_kind:     hidden_grid_dims
    .group_segment_fixed_size: 0
    .kernarg_segment_align: 8
    .kernarg_segment_size: 296
    .language:       OpenCL C
    .language_version:
      - 2
      - 0
    .max_flat_workgroup_size: 1024
    .name:           _ZL13mul_mat_vec_qIfLi256ELi32E10block_q6_KLi1EXadL_ZL17vec_dot_q6_K_q8_1PKvPK10block_q8_1RKiEEEvS2_S2_PT_iii
    .private_segment_fixed_size: 0
    .sgpr_count:     22
    .sgpr_spill_count: 0
    .symbol:         _ZL13mul_mat_vec_qIfLi256ELi32E10block_q6_KLi1EXadL_ZL17vec_dot_q6_K_q8_1PKvPK10block_q8_1RKiEEEvS2_S2_PT_iii.kd
    .uniform_work_group_size: 1
    .uses_dynamic_stack: false
    .vgpr_count:     36
    .vgpr_spill_count: 0
    .wavefront_size: 64
  - .agpr_count:     0
    .args:
      - .actual_access:  read_only
        .address_space:  global
        .offset:         0
        .size:           8
        .value_kind:     global_buffer
      - .actual_access:  read_only
        .address_space:  global
        .offset:         8
        .size:           8
        .value_kind:     global_buffer
      - .actual_access:  write_only
        .address_space:  global
        .offset:         16
        .size:           8
        .value_kind:     global_buffer
      - .offset:         24
        .size:           4
        .value_kind:     by_value
      - .offset:         28
        .size:           4
        .value_kind:     by_value
      - .offset:         32
        .size:           4
        .value_kind:     by_value
      - .offset:         40
        .size:           4
        .value_kind:     hidden_block_count_x
      - .offset:         44
        .size:           4
        .value_kind:     hidden_block_count_y
      - .offset:         48
        .size:           4
        .value_kind:     hidden_block_count_z
      - .offset:         52
        .size:           2
        .value_kind:     hidden_group_size_x
      - .offset:         54
        .size:           2
        .value_kind:     hidden_group_size_y
      - .offset:         56
        .size:           2
        .value_kind:     hidden_group_size_z
      - .offset:         58
        .size:           2
        .value_kind:     hidden_remainder_x
      - .offset:         60
        .size:           2
        .value_kind:     hidden_remainder_y
      - .offset:         62
        .size:           2
        .value_kind:     hidden_remainder_z
      - .offset:         80
        .size:           8
        .value_kind:     hidden_global_offset_x
      - .offset:         88
        .size:           8
        .value_kind:     hidden_global_offset_y
      - .offset:         96
        .size:           8
        .value_kind:     hidden_global_offset_z
      - .offset:         104
        .size:           2
        .value_kind:     hidden_grid_dims
    .group_segment_fixed_size: 0
    .kernarg_segment_align: 8
    .kernarg_segment_size: 296
    .language:       OpenCL C
    .language_version:
      - 2
      - 0
    .max_flat_workgroup_size: 1024
    .name:           _ZL13mul_mat_vec_qIfLi256ELi8E13block_iq2_xxsLi1EXadL_ZL20vec_dot_iq2_xxs_q8_1PKvPK10block_q8_1RKiEEEvS2_S2_PT_iii
    .private_segment_fixed_size: 0
    .sgpr_count:     22
    .sgpr_spill_count: 0
    .symbol:         _ZL13mul_mat_vec_qIfLi256ELi8E13block_iq2_xxsLi1EXadL_ZL20vec_dot_iq2_xxs_q8_1PKvPK10block_q8_1RKiEEEvS2_S2_PT_iii.kd
    .uniform_work_group_size: 1
    .uses_dynamic_stack: false
    .vgpr_count:     31
    .vgpr_spill_count: 0
    .wavefront_size: 64
  - .agpr_count:     0
    .args:
      - .actual_access:  read_only
        .address_space:  global
        .offset:         0
        .size:           8
        .value_kind:     global_buffer
      - .actual_access:  read_only
        .address_space:  global
        .offset:         8
        .size:           8
        .value_kind:     global_buffer
      - .actual_access:  write_only
        .address_space:  global
        .offset:         16
        .size:           8
        .value_kind:     global_buffer
      - .offset:         24
        .size:           4
        .value_kind:     by_value
      - .offset:         28
        .size:           4
        .value_kind:     by_value
      - .offset:         32
        .size:           4
        .value_kind:     by_value
      - .offset:         40
        .size:           4
        .value_kind:     hidden_block_count_x
      - .offset:         44
        .size:           4
        .value_kind:     hidden_block_count_y
      - .offset:         48
        .size:           4
        .value_kind:     hidden_block_count_z
      - .offset:         52
        .size:           2
        .value_kind:     hidden_group_size_x
      - .offset:         54
        .size:           2
        .value_kind:     hidden_group_size_y
      - .offset:         56
        .size:           2
        .value_kind:     hidden_group_size_z
      - .offset:         58
        .size:           2
        .value_kind:     hidden_remainder_x
      - .offset:         60
        .size:           2
        .value_kind:     hidden_remainder_y
      - .offset:         62
        .size:           2
        .value_kind:     hidden_remainder_z
      - .offset:         80
        .size:           8
        .value_kind:     hidden_global_offset_x
      - .offset:         88
        .size:           8
        .value_kind:     hidden_global_offset_y
      - .offset:         96
        .size:           8
        .value_kind:     hidden_global_offset_z
      - .offset:         104
        .size:           2
        .value_kind:     hidden_grid_dims
    .group_segment_fixed_size: 0
    .kernarg_segment_align: 8
    .kernarg_segment_size: 296
    .language:       OpenCL C
    .language_version:
      - 2
      - 0
    .max_flat_workgroup_size: 1024
    .name:           _ZL13mul_mat_vec_qIfLi256ELi8E12block_iq2_xsLi1EXadL_ZL19vec_dot_iq2_xs_q8_1PKvPK10block_q8_1RKiEEEvS2_S2_PT_iii
    .private_segment_fixed_size: 0
    .sgpr_count:     22
    .sgpr_spill_count: 0
    .symbol:         _ZL13mul_mat_vec_qIfLi256ELi8E12block_iq2_xsLi1EXadL_ZL19vec_dot_iq2_xs_q8_1PKvPK10block_q8_1RKiEEEvS2_S2_PT_iii.kd
    .uniform_work_group_size: 1
    .uses_dynamic_stack: false
    .vgpr_count:     39
    .vgpr_spill_count: 0
    .wavefront_size: 64
  - .agpr_count:     0
    .args:
      - .actual_access:  read_only
        .address_space:  global
        .offset:         0
        .size:           8
        .value_kind:     global_buffer
      - .actual_access:  read_only
        .address_space:  global
        .offset:         8
        .size:           8
        .value_kind:     global_buffer
      - .actual_access:  write_only
        .address_space:  global
        .offset:         16
        .size:           8
        .value_kind:     global_buffer
      - .offset:         24
        .size:           4
        .value_kind:     by_value
      - .offset:         28
        .size:           4
        .value_kind:     by_value
      - .offset:         32
        .size:           4
        .value_kind:     by_value
      - .offset:         40
        .size:           4
        .value_kind:     hidden_block_count_x
      - .offset:         44
        .size:           4
        .value_kind:     hidden_block_count_y
      - .offset:         48
        .size:           4
        .value_kind:     hidden_block_count_z
      - .offset:         52
        .size:           2
        .value_kind:     hidden_group_size_x
      - .offset:         54
        .size:           2
        .value_kind:     hidden_group_size_y
      - .offset:         56
        .size:           2
        .value_kind:     hidden_group_size_z
      - .offset:         58
        .size:           2
        .value_kind:     hidden_remainder_x
      - .offset:         60
        .size:           2
        .value_kind:     hidden_remainder_y
      - .offset:         62
        .size:           2
        .value_kind:     hidden_remainder_z
      - .offset:         80
        .size:           8
        .value_kind:     hidden_global_offset_x
      - .offset:         88
        .size:           8
        .value_kind:     hidden_global_offset_y
      - .offset:         96
        .size:           8
        .value_kind:     hidden_global_offset_z
      - .offset:         104
        .size:           2
        .value_kind:     hidden_grid_dims
    .group_segment_fixed_size: 0
    .kernarg_segment_align: 8
    .kernarg_segment_size: 296
    .language:       OpenCL C
    .language_version:
      - 2
      - 0
    .max_flat_workgroup_size: 1024
    .name:           _ZL13mul_mat_vec_qIfLi256ELi8E13block_iq3_xxsLi1EXadL_ZL20vec_dot_iq3_xxs_q8_1PKvPK10block_q8_1RKiEEEvS2_S2_PT_iii
    .private_segment_fixed_size: 0
    .sgpr_count:     24
    .sgpr_spill_count: 0
    .symbol:         _ZL13mul_mat_vec_qIfLi256ELi8E13block_iq3_xxsLi1EXadL_ZL20vec_dot_iq3_xxs_q8_1PKvPK10block_q8_1RKiEEEvS2_S2_PT_iii.kd
    .uniform_work_group_size: 1
    .uses_dynamic_stack: false
    .vgpr_count:     61
    .vgpr_spill_count: 0
    .wavefront_size: 64
  - .agpr_count:     0
    .args:
      - .actual_access:  read_only
        .address_space:  global
        .offset:         0
        .size:           8
        .value_kind:     global_buffer
      - .actual_access:  read_only
        .address_space:  global
        .offset:         8
        .size:           8
        .value_kind:     global_buffer
      - .actual_access:  write_only
        .address_space:  global
        .offset:         16
        .size:           8
        .value_kind:     global_buffer
      - .offset:         24
        .size:           4
        .value_kind:     by_value
      - .offset:         28
        .size:           4
        .value_kind:     by_value
      - .offset:         32
        .size:           4
        .value_kind:     by_value
      - .offset:         40
        .size:           4
        .value_kind:     hidden_block_count_x
      - .offset:         44
        .size:           4
        .value_kind:     hidden_block_count_y
      - .offset:         48
        .size:           4
        .value_kind:     hidden_block_count_z
      - .offset:         52
        .size:           2
        .value_kind:     hidden_group_size_x
      - .offset:         54
        .size:           2
        .value_kind:     hidden_group_size_y
      - .offset:         56
        .size:           2
        .value_kind:     hidden_group_size_z
      - .offset:         58
        .size:           2
        .value_kind:     hidden_remainder_x
      - .offset:         60
        .size:           2
        .value_kind:     hidden_remainder_y
      - .offset:         62
        .size:           2
        .value_kind:     hidden_remainder_z
      - .offset:         80
        .size:           8
        .value_kind:     hidden_global_offset_x
      - .offset:         88
        .size:           8
        .value_kind:     hidden_global_offset_y
      - .offset:         96
        .size:           8
        .value_kind:     hidden_global_offset_z
      - .offset:         104
        .size:           2
        .value_kind:     hidden_grid_dims
    .group_segment_fixed_size: 0
    .kernarg_segment_align: 8
    .kernarg_segment_size: 296
    .language:       OpenCL C
    .language_version:
      - 2
      - 0
    .max_flat_workgroup_size: 1024
    .name:           _ZL13mul_mat_vec_qIfLi256ELi8E11block_iq1_sLi1EXadL_ZL18vec_dot_iq1_s_q8_1PKvPK10block_q8_1RKiEEEvS2_S2_PT_iii
    .private_segment_fixed_size: 0
    .sgpr_count:     20
    .sgpr_spill_count: 0
    .symbol:         _ZL13mul_mat_vec_qIfLi256ELi8E11block_iq1_sLi1EXadL_ZL18vec_dot_iq1_s_q8_1PKvPK10block_q8_1RKiEEEvS2_S2_PT_iii.kd
    .uniform_work_group_size: 1
    .uses_dynamic_stack: false
    .vgpr_count:     35
    .vgpr_spill_count: 0
    .wavefront_size: 64
  - .agpr_count:     0
    .args:
      - .actual_access:  read_only
        .address_space:  global
        .offset:         0
        .size:           8
        .value_kind:     global_buffer
      - .actual_access:  read_only
        .address_space:  global
        .offset:         8
        .size:           8
        .value_kind:     global_buffer
      - .actual_access:  write_only
        .address_space:  global
        .offset:         16
        .size:           8
        .value_kind:     global_buffer
      - .offset:         24
        .size:           4
        .value_kind:     by_value
      - .offset:         28
        .size:           4
        .value_kind:     by_value
      - .offset:         32
        .size:           4
        .value_kind:     by_value
      - .offset:         40
        .size:           4
        .value_kind:     hidden_block_count_x
      - .offset:         44
        .size:           4
        .value_kind:     hidden_block_count_y
      - .offset:         48
        .size:           4
        .value_kind:     hidden_block_count_z
      - .offset:         52
        .size:           2
        .value_kind:     hidden_group_size_x
      - .offset:         54
        .size:           2
        .value_kind:     hidden_group_size_y
      - .offset:         56
        .size:           2
        .value_kind:     hidden_group_size_z
      - .offset:         58
        .size:           2
        .value_kind:     hidden_remainder_x
      - .offset:         60
        .size:           2
        .value_kind:     hidden_remainder_y
      - .offset:         62
        .size:           2
        .value_kind:     hidden_remainder_z
      - .offset:         80
        .size:           8
        .value_kind:     hidden_global_offset_x
      - .offset:         88
        .size:           8
        .value_kind:     hidden_global_offset_y
      - .offset:         96
        .size:           8
        .value_kind:     hidden_global_offset_z
      - .offset:         104
        .size:           2
        .value_kind:     hidden_grid_dims
    .group_segment_fixed_size: 0
    .kernarg_segment_align: 8
    .kernarg_segment_size: 296
    .language:       OpenCL C
    .language_version:
      - 2
      - 0
    .max_flat_workgroup_size: 1024
    .name:           _ZL13mul_mat_vec_qIfLi32ELi4E12block_iq4_nlLi2EXadL_ZL19vec_dot_iq4_nl_q8_1PKvPK10block_q8_1RKiEEEvS2_S2_PT_iii
    .private_segment_fixed_size: 0
    .sgpr_count:     24
    .sgpr_spill_count: 0
    .symbol:         _ZL13mul_mat_vec_qIfLi32ELi4E12block_iq4_nlLi2EXadL_ZL19vec_dot_iq4_nl_q8_1PKvPK10block_q8_1RKiEEEvS2_S2_PT_iii.kd
    .uniform_work_group_size: 1
    .uses_dynamic_stack: false
    .vgpr_count:     47
    .vgpr_spill_count: 0
    .wavefront_size: 64
  - .agpr_count:     0
    .args:
      - .actual_access:  read_only
        .address_space:  global
        .offset:         0
        .size:           8
        .value_kind:     global_buffer
      - .actual_access:  read_only
        .address_space:  global
        .offset:         8
        .size:           8
        .value_kind:     global_buffer
      - .actual_access:  write_only
        .address_space:  global
        .offset:         16
        .size:           8
        .value_kind:     global_buffer
      - .offset:         24
        .size:           4
        .value_kind:     by_value
      - .offset:         28
        .size:           4
        .value_kind:     by_value
      - .offset:         32
        .size:           4
        .value_kind:     by_value
      - .offset:         40
        .size:           4
        .value_kind:     hidden_block_count_x
      - .offset:         44
        .size:           4
        .value_kind:     hidden_block_count_y
      - .offset:         48
        .size:           4
        .value_kind:     hidden_block_count_z
      - .offset:         52
        .size:           2
        .value_kind:     hidden_group_size_x
      - .offset:         54
        .size:           2
        .value_kind:     hidden_group_size_y
      - .offset:         56
        .size:           2
        .value_kind:     hidden_group_size_z
      - .offset:         58
        .size:           2
        .value_kind:     hidden_remainder_x
      - .offset:         60
        .size:           2
        .value_kind:     hidden_remainder_y
      - .offset:         62
        .size:           2
        .value_kind:     hidden_remainder_z
      - .offset:         80
        .size:           8
        .value_kind:     hidden_global_offset_x
      - .offset:         88
        .size:           8
        .value_kind:     hidden_global_offset_y
      - .offset:         96
        .size:           8
        .value_kind:     hidden_global_offset_z
      - .offset:         104
        .size:           2
        .value_kind:     hidden_grid_dims
    .group_segment_fixed_size: 0
    .kernarg_segment_align: 8
    .kernarg_segment_size: 296
    .language:       OpenCL C
    .language_version:
      - 2
      - 0
    .max_flat_workgroup_size: 1024
    .name:           _ZL13mul_mat_vec_qIfLi256ELi8E11block_iq3_sLi1EXadL_ZL18vec_dot_iq3_s_q8_1PKvPK10block_q8_1RKiEEEvS2_S2_PT_iii
    .private_segment_fixed_size: 0
    .sgpr_count:     28
    .sgpr_spill_count: 0
    .symbol:         _ZL13mul_mat_vec_qIfLi256ELi8E11block_iq3_sLi1EXadL_ZL18vec_dot_iq3_s_q8_1PKvPK10block_q8_1RKiEEEvS2_S2_PT_iii.kd
    .uniform_work_group_size: 1
    .uses_dynamic_stack: false
    .vgpr_count:     48
    .vgpr_spill_count: 0
    .wavefront_size: 64
  - .agpr_count:     0
    .args:
      - .actual_access:  read_only
        .address_space:  global
        .offset:         0
        .size:           8
        .value_kind:     global_buffer
      - .actual_access:  read_only
        .address_space:  global
        .offset:         8
        .size:           8
        .value_kind:     global_buffer
      - .actual_access:  write_only
        .address_space:  global
        .offset:         16
        .size:           8
        .value_kind:     global_buffer
      - .offset:         24
        .size:           4
        .value_kind:     by_value
      - .offset:         28
        .size:           4
        .value_kind:     by_value
      - .offset:         32
        .size:           4
        .value_kind:     by_value
      - .offset:         40
        .size:           4
        .value_kind:     hidden_block_count_x
      - .offset:         44
        .size:           4
        .value_kind:     hidden_block_count_y
      - .offset:         48
        .size:           4
        .value_kind:     hidden_block_count_z
      - .offset:         52
        .size:           2
        .value_kind:     hidden_group_size_x
      - .offset:         54
        .size:           2
        .value_kind:     hidden_group_size_y
      - .offset:         56
        .size:           2
        .value_kind:     hidden_group_size_z
      - .offset:         58
        .size:           2
        .value_kind:     hidden_remainder_x
      - .offset:         60
        .size:           2
        .value_kind:     hidden_remainder_y
      - .offset:         62
        .size:           2
        .value_kind:     hidden_remainder_z
      - .offset:         80
        .size:           8
        .value_kind:     hidden_global_offset_x
      - .offset:         88
        .size:           8
        .value_kind:     hidden_global_offset_y
      - .offset:         96
        .size:           8
        .value_kind:     hidden_global_offset_z
      - .offset:         104
        .size:           2
        .value_kind:     hidden_grid_dims
    .group_segment_fixed_size: 0
    .kernarg_segment_align: 8
    .kernarg_segment_size: 296
    .language:       OpenCL C
    .language_version:
      - 2
      - 0
    .max_flat_workgroup_size: 1024
    .name:           _ZL13mul_mat_vec_qIfLi256ELi8E11block_iq2_sLi1EXadL_ZL18vec_dot_iq2_s_q8_1PKvPK10block_q8_1RKiEEEvS2_S2_PT_iii
    .private_segment_fixed_size: 0
    .sgpr_count:     28
    .sgpr_spill_count: 0
    .symbol:         _ZL13mul_mat_vec_qIfLi256ELi8E11block_iq2_sLi1EXadL_ZL18vec_dot_iq2_s_q8_1PKvPK10block_q8_1RKiEEEvS2_S2_PT_iii.kd
    .uniform_work_group_size: 1
    .uses_dynamic_stack: false
    .vgpr_count:     64
    .vgpr_spill_count: 0
    .wavefront_size: 64
  - .agpr_count:     0
    .args:
      - .actual_access:  read_only
        .address_space:  global
        .offset:         0
        .size:           8
        .value_kind:     global_buffer
      - .actual_access:  read_only
        .address_space:  global
        .offset:         8
        .size:           8
        .value_kind:     global_buffer
      - .actual_access:  write_only
        .address_space:  global
        .offset:         16
        .size:           8
        .value_kind:     global_buffer
      - .offset:         24
        .size:           4
        .value_kind:     by_value
      - .offset:         28
        .size:           4
        .value_kind:     by_value
      - .offset:         32
        .size:           4
        .value_kind:     by_value
      - .offset:         40
        .size:           4
        .value_kind:     hidden_block_count_x
      - .offset:         44
        .size:           4
        .value_kind:     hidden_block_count_y
      - .offset:         48
        .size:           4
        .value_kind:     hidden_block_count_z
      - .offset:         52
        .size:           2
        .value_kind:     hidden_group_size_x
      - .offset:         54
        .size:           2
        .value_kind:     hidden_group_size_y
      - .offset:         56
        .size:           2
        .value_kind:     hidden_group_size_z
      - .offset:         58
        .size:           2
        .value_kind:     hidden_remainder_x
      - .offset:         60
        .size:           2
        .value_kind:     hidden_remainder_y
      - .offset:         62
        .size:           2
        .value_kind:     hidden_remainder_z
      - .offset:         80
        .size:           8
        .value_kind:     hidden_global_offset_x
      - .offset:         88
        .size:           8
        .value_kind:     hidden_global_offset_y
      - .offset:         96
        .size:           8
        .value_kind:     hidden_global_offset_z
      - .offset:         104
        .size:           2
        .value_kind:     hidden_grid_dims
    .group_segment_fixed_size: 0
    .kernarg_segment_align: 8
    .kernarg_segment_size: 296
    .language:       OpenCL C
    .language_version:
      - 2
      - 0
    .max_flat_workgroup_size: 1024
    .name:           _ZL13mul_mat_vec_qIfLi256ELi8E12block_iq4_xsLi1EXadL_ZL19vec_dot_iq4_xs_q8_1PKvPK10block_q8_1RKiEEEvS2_S2_PT_iii
    .private_segment_fixed_size: 0
    .sgpr_count:     22
    .sgpr_spill_count: 0
    .symbol:         _ZL13mul_mat_vec_qIfLi256ELi8E12block_iq4_xsLi1EXadL_ZL19vec_dot_iq4_xs_q8_1PKvPK10block_q8_1RKiEEEvS2_S2_PT_iii.kd
    .uniform_work_group_size: 1
    .uses_dynamic_stack: false
    .vgpr_count:     64
    .vgpr_spill_count: 0
    .wavefront_size: 64
  - .agpr_count:     0
    .args:
      - .actual_access:  read_only
        .address_space:  global
        .offset:         0
        .size:           8
        .value_kind:     global_buffer
      - .actual_access:  read_only
        .address_space:  global
        .offset:         8
        .size:           8
        .value_kind:     global_buffer
      - .actual_access:  write_only
        .address_space:  global
        .offset:         16
        .size:           8
        .value_kind:     global_buffer
      - .offset:         24
        .size:           4
        .value_kind:     by_value
      - .offset:         28
        .size:           4
        .value_kind:     by_value
      - .offset:         32
        .size:           4
        .value_kind:     by_value
      - .offset:         40
        .size:           4
        .value_kind:     hidden_block_count_x
      - .offset:         44
        .size:           4
        .value_kind:     hidden_block_count_y
      - .offset:         48
        .size:           4
        .value_kind:     hidden_block_count_z
      - .offset:         52
        .size:           2
        .value_kind:     hidden_group_size_x
      - .offset:         54
        .size:           2
        .value_kind:     hidden_group_size_y
      - .offset:         56
        .size:           2
        .value_kind:     hidden_group_size_z
      - .offset:         58
        .size:           2
        .value_kind:     hidden_remainder_x
      - .offset:         60
        .size:           2
        .value_kind:     hidden_remainder_y
      - .offset:         62
        .size:           2
        .value_kind:     hidden_remainder_z
      - .offset:         80
        .size:           8
        .value_kind:     hidden_global_offset_x
      - .offset:         88
        .size:           8
        .value_kind:     hidden_global_offset_y
      - .offset:         96
        .size:           8
        .value_kind:     hidden_global_offset_z
      - .offset:         104
        .size:           2
        .value_kind:     hidden_grid_dims
    .group_segment_fixed_size: 0
    .kernarg_segment_align: 8
    .kernarg_segment_size: 296
    .language:       OpenCL C
    .language_version:
      - 2
      - 0
    .max_flat_workgroup_size: 1024
    .name:           _ZL13mul_mat_vec_qIfLi256ELi8E11block_iq1_mLi1EXadL_ZL18vec_dot_iq1_m_q8_1PKvPK10block_q8_1RKiEEEvS2_S2_PT_iii
    .private_segment_fixed_size: 0
    .sgpr_count:     23
    .sgpr_spill_count: 0
    .symbol:         _ZL13mul_mat_vec_qIfLi256ELi8E11block_iq1_mLi1EXadL_ZL18vec_dot_iq1_m_q8_1PKvPK10block_q8_1RKiEEEvS2_S2_PT_iii.kd
    .uniform_work_group_size: 1
    .uses_dynamic_stack: false
    .vgpr_count:     49
    .vgpr_spill_count: 0
    .wavefront_size: 64
  - .agpr_count:     0
    .args:
      - .actual_access:  read_only
        .address_space:  global
        .offset:         0
        .size:           8
        .value_kind:     global_buffer
      - .actual_access:  write_only
        .address_space:  global
        .offset:         8
        .size:           8
        .value_kind:     global_buffer
      - .offset:         16
        .size:           4
        .value_kind:     by_value
      - .offset:         20
        .size:           4
        .value_kind:     by_value
      - .offset:         24
        .size:           4
        .value_kind:     hidden_block_count_x
      - .offset:         28
        .size:           4
        .value_kind:     hidden_block_count_y
      - .offset:         32
        .size:           4
        .value_kind:     hidden_block_count_z
      - .offset:         36
        .size:           2
        .value_kind:     hidden_group_size_x
      - .offset:         38
        .size:           2
        .value_kind:     hidden_group_size_y
      - .offset:         40
        .size:           2
        .value_kind:     hidden_group_size_z
      - .offset:         42
        .size:           2
        .value_kind:     hidden_remainder_x
      - .offset:         44
        .size:           2
        .value_kind:     hidden_remainder_y
      - .offset:         46
        .size:           2
        .value_kind:     hidden_remainder_z
      - .offset:         64
        .size:           8
        .value_kind:     hidden_global_offset_x
      - .offset:         72
        .size:           8
        .value_kind:     hidden_global_offset_y
      - .offset:         80
        .size:           8
        .value_kind:     hidden_global_offset_z
      - .offset:         88
        .size:           2
        .value_kind:     hidden_grid_dims
    .group_segment_fixed_size: 0
    .kernarg_segment_align: 8
    .kernarg_segment_size: 280
    .language:       OpenCL C
    .language_version:
      - 2
      - 0
    .max_flat_workgroup_size: 1024
    .name:           _ZL13quantize_q8_1IN3c104HalfEEvPKT_Pvii
    .private_segment_fixed_size: 0
    .sgpr_count:     16
    .sgpr_spill_count: 0
    .symbol:         _ZL13quantize_q8_1IN3c104HalfEEvPKT_Pvii.kd
    .uniform_work_group_size: 1
    .uses_dynamic_stack: false
    .vgpr_count:     12
    .vgpr_spill_count: 0
    .wavefront_size: 64
  - .agpr_count:     0
    .args:
      - .actual_access:  read_only
        .address_space:  global
        .offset:         0
        .size:           8
        .value_kind:     global_buffer
      - .actual_access:  read_only
        .address_space:  global
        .offset:         8
        .size:           8
        .value_kind:     global_buffer
      - .actual_access:  write_only
        .address_space:  global
        .offset:         16
        .size:           8
        .value_kind:     global_buffer
      - .offset:         24
        .size:           4
        .value_kind:     by_value
      - .offset:         28
        .size:           4
        .value_kind:     by_value
      - .offset:         32
        .size:           4
        .value_kind:     by_value
      - .offset:         40
        .size:           4
        .value_kind:     hidden_block_count_x
      - .offset:         44
        .size:           4
        .value_kind:     hidden_block_count_y
      - .offset:         48
        .size:           4
        .value_kind:     hidden_block_count_z
      - .offset:         52
        .size:           2
        .value_kind:     hidden_group_size_x
      - .offset:         54
        .size:           2
        .value_kind:     hidden_group_size_y
      - .offset:         56
        .size:           2
        .value_kind:     hidden_group_size_z
      - .offset:         58
        .size:           2
        .value_kind:     hidden_remainder_x
      - .offset:         60
        .size:           2
        .value_kind:     hidden_remainder_y
      - .offset:         62
        .size:           2
        .value_kind:     hidden_remainder_z
      - .offset:         80
        .size:           8
        .value_kind:     hidden_global_offset_x
      - .offset:         88
        .size:           8
        .value_kind:     hidden_global_offset_y
      - .offset:         96
        .size:           8
        .value_kind:     hidden_global_offset_z
      - .offset:         104
        .size:           2
        .value_kind:     hidden_grid_dims
    .group_segment_fixed_size: 0
    .kernarg_segment_align: 8
    .kernarg_segment_size: 296
    .language:       OpenCL C
    .language_version:
      - 2
      - 0
    .max_flat_workgroup_size: 1024
    .name:           _ZL13mul_mat_vec_qIN3c104HalfELi32ELi4E10block_q4_0Li2EXadL_ZL17vec_dot_q4_0_q8_1PKvPK10block_q8_1RKiEEEvS4_S4_PT_iii
    .private_segment_fixed_size: 0
    .sgpr_count:     22
    .sgpr_spill_count: 0
    .symbol:         _ZL13mul_mat_vec_qIN3c104HalfELi32ELi4E10block_q4_0Li2EXadL_ZL17vec_dot_q4_0_q8_1PKvPK10block_q8_1RKiEEEvS4_S4_PT_iii.kd
    .uniform_work_group_size: 1
    .uses_dynamic_stack: false
    .vgpr_count:     24
    .vgpr_spill_count: 0
    .wavefront_size: 64
  - .agpr_count:     0
    .args:
      - .actual_access:  read_only
        .address_space:  global
        .offset:         0
        .size:           8
        .value_kind:     global_buffer
      - .actual_access:  read_only
        .address_space:  global
        .offset:         8
        .size:           8
        .value_kind:     global_buffer
      - .actual_access:  write_only
        .address_space:  global
        .offset:         16
        .size:           8
        .value_kind:     global_buffer
      - .offset:         24
        .size:           4
        .value_kind:     by_value
      - .offset:         28
        .size:           4
        .value_kind:     by_value
      - .offset:         32
        .size:           4
        .value_kind:     by_value
      - .offset:         40
        .size:           4
        .value_kind:     hidden_block_count_x
      - .offset:         44
        .size:           4
        .value_kind:     hidden_block_count_y
      - .offset:         48
        .size:           4
        .value_kind:     hidden_block_count_z
      - .offset:         52
        .size:           2
        .value_kind:     hidden_group_size_x
      - .offset:         54
        .size:           2
        .value_kind:     hidden_group_size_y
      - .offset:         56
        .size:           2
        .value_kind:     hidden_group_size_z
      - .offset:         58
        .size:           2
        .value_kind:     hidden_remainder_x
      - .offset:         60
        .size:           2
        .value_kind:     hidden_remainder_y
      - .offset:         62
        .size:           2
        .value_kind:     hidden_remainder_z
      - .offset:         80
        .size:           8
        .value_kind:     hidden_global_offset_x
      - .offset:         88
        .size:           8
        .value_kind:     hidden_global_offset_y
      - .offset:         96
        .size:           8
        .value_kind:     hidden_global_offset_z
      - .offset:         104
        .size:           2
        .value_kind:     hidden_grid_dims
    .group_segment_fixed_size: 0
    .kernarg_segment_align: 8
    .kernarg_segment_size: 296
    .language:       OpenCL C
    .language_version:
      - 2
      - 0
    .max_flat_workgroup_size: 1024
    .name:           _ZL13mul_mat_vec_qIN3c104HalfELi32ELi4E10block_q4_1Li2EXadL_ZL17vec_dot_q4_1_q8_1PKvPK10block_q8_1RKiEEEvS4_S4_PT_iii
    .private_segment_fixed_size: 0
    .sgpr_count:     22
    .sgpr_spill_count: 0
    .symbol:         _ZL13mul_mat_vec_qIN3c104HalfELi32ELi4E10block_q4_1Li2EXadL_ZL17vec_dot_q4_1_q8_1PKvPK10block_q8_1RKiEEEvS4_S4_PT_iii.kd
    .uniform_work_group_size: 1
    .uses_dynamic_stack: false
    .vgpr_count:     24
    .vgpr_spill_count: 0
    .wavefront_size: 64
  - .agpr_count:     0
    .args:
      - .actual_access:  read_only
        .address_space:  global
        .offset:         0
        .size:           8
        .value_kind:     global_buffer
      - .actual_access:  read_only
        .address_space:  global
        .offset:         8
        .size:           8
        .value_kind:     global_buffer
      - .actual_access:  write_only
        .address_space:  global
        .offset:         16
        .size:           8
        .value_kind:     global_buffer
      - .offset:         24
        .size:           4
        .value_kind:     by_value
      - .offset:         28
        .size:           4
        .value_kind:     by_value
      - .offset:         32
        .size:           4
        .value_kind:     by_value
      - .offset:         40
        .size:           4
        .value_kind:     hidden_block_count_x
      - .offset:         44
        .size:           4
        .value_kind:     hidden_block_count_y
      - .offset:         48
        .size:           4
        .value_kind:     hidden_block_count_z
      - .offset:         52
        .size:           2
        .value_kind:     hidden_group_size_x
      - .offset:         54
        .size:           2
        .value_kind:     hidden_group_size_y
      - .offset:         56
        .size:           2
        .value_kind:     hidden_group_size_z
      - .offset:         58
        .size:           2
        .value_kind:     hidden_remainder_x
      - .offset:         60
        .size:           2
        .value_kind:     hidden_remainder_y
      - .offset:         62
        .size:           2
        .value_kind:     hidden_remainder_z
      - .offset:         80
        .size:           8
        .value_kind:     hidden_global_offset_x
      - .offset:         88
        .size:           8
        .value_kind:     hidden_global_offset_y
      - .offset:         96
        .size:           8
        .value_kind:     hidden_global_offset_z
      - .offset:         104
        .size:           2
        .value_kind:     hidden_grid_dims
    .group_segment_fixed_size: 0
    .kernarg_segment_align: 8
    .kernarg_segment_size: 296
    .language:       OpenCL C
    .language_version:
      - 2
      - 0
    .max_flat_workgroup_size: 1024
    .name:           _ZL13mul_mat_vec_qIN3c104HalfELi32ELi4E10block_q5_0Li2EXadL_ZL17vec_dot_q5_0_q8_1PKvPK10block_q8_1RKiEEEvS4_S4_PT_iii
    .private_segment_fixed_size: 0
    .sgpr_count:     22
    .sgpr_spill_count: 0
    .symbol:         _ZL13mul_mat_vec_qIN3c104HalfELi32ELi4E10block_q5_0Li2EXadL_ZL17vec_dot_q5_0_q8_1PKvPK10block_q8_1RKiEEEvS4_S4_PT_iii.kd
    .uniform_work_group_size: 1
    .uses_dynamic_stack: false
    .vgpr_count:     37
    .vgpr_spill_count: 0
    .wavefront_size: 64
  - .agpr_count:     0
    .args:
      - .actual_access:  read_only
        .address_space:  global
        .offset:         0
        .size:           8
        .value_kind:     global_buffer
      - .actual_access:  read_only
        .address_space:  global
        .offset:         8
        .size:           8
        .value_kind:     global_buffer
      - .actual_access:  write_only
        .address_space:  global
        .offset:         16
        .size:           8
        .value_kind:     global_buffer
      - .offset:         24
        .size:           4
        .value_kind:     by_value
      - .offset:         28
        .size:           4
        .value_kind:     by_value
      - .offset:         32
        .size:           4
        .value_kind:     by_value
      - .offset:         40
        .size:           4
        .value_kind:     hidden_block_count_x
      - .offset:         44
        .size:           4
        .value_kind:     hidden_block_count_y
      - .offset:         48
        .size:           4
        .value_kind:     hidden_block_count_z
      - .offset:         52
        .size:           2
        .value_kind:     hidden_group_size_x
      - .offset:         54
        .size:           2
        .value_kind:     hidden_group_size_y
      - .offset:         56
        .size:           2
        .value_kind:     hidden_group_size_z
      - .offset:         58
        .size:           2
        .value_kind:     hidden_remainder_x
      - .offset:         60
        .size:           2
        .value_kind:     hidden_remainder_y
      - .offset:         62
        .size:           2
        .value_kind:     hidden_remainder_z
      - .offset:         80
        .size:           8
        .value_kind:     hidden_global_offset_x
      - .offset:         88
        .size:           8
        .value_kind:     hidden_global_offset_y
      - .offset:         96
        .size:           8
        .value_kind:     hidden_global_offset_z
      - .offset:         104
        .size:           2
        .value_kind:     hidden_grid_dims
    .group_segment_fixed_size: 0
    .kernarg_segment_align: 8
    .kernarg_segment_size: 296
    .language:       OpenCL C
    .language_version:
      - 2
      - 0
    .max_flat_workgroup_size: 1024
    .name:           _ZL13mul_mat_vec_qIN3c104HalfELi32ELi4E10block_q5_1Li2EXadL_ZL17vec_dot_q5_1_q8_1PKvPK10block_q8_1RKiEEEvS4_S4_PT_iii
    .private_segment_fixed_size: 0
    .sgpr_count:     22
    .sgpr_spill_count: 0
    .symbol:         _ZL13mul_mat_vec_qIN3c104HalfELi32ELi4E10block_q5_1Li2EXadL_ZL17vec_dot_q5_1_q8_1PKvPK10block_q8_1RKiEEEvS4_S4_PT_iii.kd
    .uniform_work_group_size: 1
    .uses_dynamic_stack: false
    .vgpr_count:     37
    .vgpr_spill_count: 0
    .wavefront_size: 64
  - .agpr_count:     0
    .args:
      - .actual_access:  read_only
        .address_space:  global
        .offset:         0
        .size:           8
        .value_kind:     global_buffer
      - .actual_access:  read_only
        .address_space:  global
        .offset:         8
        .size:           8
        .value_kind:     global_buffer
      - .actual_access:  write_only
        .address_space:  global
        .offset:         16
        .size:           8
        .value_kind:     global_buffer
      - .offset:         24
        .size:           4
        .value_kind:     by_value
      - .offset:         28
        .size:           4
        .value_kind:     by_value
      - .offset:         32
        .size:           4
        .value_kind:     by_value
      - .offset:         40
        .size:           4
        .value_kind:     hidden_block_count_x
      - .offset:         44
        .size:           4
        .value_kind:     hidden_block_count_y
      - .offset:         48
        .size:           4
        .value_kind:     hidden_block_count_z
      - .offset:         52
        .size:           2
        .value_kind:     hidden_group_size_x
      - .offset:         54
        .size:           2
        .value_kind:     hidden_group_size_y
      - .offset:         56
        .size:           2
        .value_kind:     hidden_group_size_z
      - .offset:         58
        .size:           2
        .value_kind:     hidden_remainder_x
      - .offset:         60
        .size:           2
        .value_kind:     hidden_remainder_y
      - .offset:         62
        .size:           2
        .value_kind:     hidden_remainder_z
      - .offset:         80
        .size:           8
        .value_kind:     hidden_global_offset_x
      - .offset:         88
        .size:           8
        .value_kind:     hidden_global_offset_y
      - .offset:         96
        .size:           8
        .value_kind:     hidden_global_offset_z
      - .offset:         104
        .size:           2
        .value_kind:     hidden_grid_dims
    .group_segment_fixed_size: 0
    .kernarg_segment_align: 8
    .kernarg_segment_size: 296
    .language:       OpenCL C
    .language_version:
      - 2
      - 0
    .max_flat_workgroup_size: 1024
    .name:           _ZL13mul_mat_vec_qIN3c104HalfELi32ELi8E10block_q8_0Li2EXadL_ZL17vec_dot_q8_0_q8_1PKvPK10block_q8_1RKiEEEvS4_S4_PT_iii
    .private_segment_fixed_size: 0
    .sgpr_count:     22
    .sgpr_spill_count: 0
    .symbol:         _ZL13mul_mat_vec_qIN3c104HalfELi32ELi8E10block_q8_0Li2EXadL_ZL17vec_dot_q8_0_q8_1PKvPK10block_q8_1RKiEEEvS4_S4_PT_iii.kd
    .uniform_work_group_size: 1
    .uses_dynamic_stack: false
    .vgpr_count:     21
    .vgpr_spill_count: 0
    .wavefront_size: 64
  - .agpr_count:     0
    .args:
      - .actual_access:  read_only
        .address_space:  global
        .offset:         0
        .size:           8
        .value_kind:     global_buffer
      - .actual_access:  read_only
        .address_space:  global
        .offset:         8
        .size:           8
        .value_kind:     global_buffer
      - .actual_access:  write_only
        .address_space:  global
        .offset:         16
        .size:           8
        .value_kind:     global_buffer
      - .offset:         24
        .size:           4
        .value_kind:     by_value
      - .offset:         28
        .size:           4
        .value_kind:     by_value
      - .offset:         32
        .size:           4
        .value_kind:     by_value
      - .offset:         40
        .size:           4
        .value_kind:     hidden_block_count_x
      - .offset:         44
        .size:           4
        .value_kind:     hidden_block_count_y
      - .offset:         48
        .size:           4
        .value_kind:     hidden_block_count_z
      - .offset:         52
        .size:           2
        .value_kind:     hidden_group_size_x
      - .offset:         54
        .size:           2
        .value_kind:     hidden_group_size_y
      - .offset:         56
        .size:           2
        .value_kind:     hidden_group_size_z
      - .offset:         58
        .size:           2
        .value_kind:     hidden_remainder_x
      - .offset:         60
        .size:           2
        .value_kind:     hidden_remainder_y
      - .offset:         62
        .size:           2
        .value_kind:     hidden_remainder_z
      - .offset:         80
        .size:           8
        .value_kind:     hidden_global_offset_x
      - .offset:         88
        .size:           8
        .value_kind:     hidden_global_offset_y
      - .offset:         96
        .size:           8
        .value_kind:     hidden_global_offset_z
      - .offset:         104
        .size:           2
        .value_kind:     hidden_grid_dims
    .group_segment_fixed_size: 0
    .kernarg_segment_align: 8
    .kernarg_segment_size: 296
    .language:       OpenCL C
    .language_version:
      - 2
      - 0
    .max_flat_workgroup_size: 1024
    .name:           _ZL13mul_mat_vec_qIN3c104HalfELi256ELi16E10block_q2_KLi1EXadL_ZL17vec_dot_q2_K_q8_1PKvPK10block_q8_1RKiEEEvS4_S4_PT_iii
    .private_segment_fixed_size: 0
    .sgpr_count:     22
    .sgpr_spill_count: 0
    .symbol:         _ZL13mul_mat_vec_qIN3c104HalfELi256ELi16E10block_q2_KLi1EXadL_ZL17vec_dot_q2_K_q8_1PKvPK10block_q8_1RKiEEEvS4_S4_PT_iii.kd
    .uniform_work_group_size: 1
    .uses_dynamic_stack: false
    .vgpr_count:     47
    .vgpr_spill_count: 0
    .wavefront_size: 64
  - .agpr_count:     0
    .args:
      - .actual_access:  read_only
        .address_space:  global
        .offset:         0
        .size:           8
        .value_kind:     global_buffer
      - .actual_access:  read_only
        .address_space:  global
        .offset:         8
        .size:           8
        .value_kind:     global_buffer
      - .actual_access:  write_only
        .address_space:  global
        .offset:         16
        .size:           8
        .value_kind:     global_buffer
      - .offset:         24
        .size:           4
        .value_kind:     by_value
      - .offset:         28
        .size:           4
        .value_kind:     by_value
      - .offset:         32
        .size:           4
        .value_kind:     by_value
      - .offset:         40
        .size:           4
        .value_kind:     hidden_block_count_x
      - .offset:         44
        .size:           4
        .value_kind:     hidden_block_count_y
      - .offset:         48
        .size:           4
        .value_kind:     hidden_block_count_z
      - .offset:         52
        .size:           2
        .value_kind:     hidden_group_size_x
      - .offset:         54
        .size:           2
        .value_kind:     hidden_group_size_y
      - .offset:         56
        .size:           2
        .value_kind:     hidden_group_size_z
      - .offset:         58
        .size:           2
        .value_kind:     hidden_remainder_x
      - .offset:         60
        .size:           2
        .value_kind:     hidden_remainder_y
      - .offset:         62
        .size:           2
        .value_kind:     hidden_remainder_z
      - .offset:         80
        .size:           8
        .value_kind:     hidden_global_offset_x
      - .offset:         88
        .size:           8
        .value_kind:     hidden_global_offset_y
      - .offset:         96
        .size:           8
        .value_kind:     hidden_global_offset_z
      - .offset:         104
        .size:           2
        .value_kind:     hidden_grid_dims
    .group_segment_fixed_size: 0
    .kernarg_segment_align: 8
    .kernarg_segment_size: 296
    .language:       OpenCL C
    .language_version:
      - 2
      - 0
    .max_flat_workgroup_size: 1024
    .name:           _ZL13mul_mat_vec_qIN3c104HalfELi256ELi16E10block_q3_KLi1EXadL_ZL17vec_dot_q3_K_q8_1PKvPK10block_q8_1RKiEEEvS4_S4_PT_iii
    .private_segment_fixed_size: 0
    .sgpr_count:     22
    .sgpr_spill_count: 0
    .symbol:         _ZL13mul_mat_vec_qIN3c104HalfELi256ELi16E10block_q3_KLi1EXadL_ZL17vec_dot_q3_K_q8_1PKvPK10block_q8_1RKiEEEvS4_S4_PT_iii.kd
    .uniform_work_group_size: 1
    .uses_dynamic_stack: false
    .vgpr_count:     57
    .vgpr_spill_count: 0
    .wavefront_size: 64
  - .agpr_count:     0
    .args:
      - .actual_access:  read_only
        .address_space:  global
        .offset:         0
        .size:           8
        .value_kind:     global_buffer
      - .actual_access:  read_only
        .address_space:  global
        .offset:         8
        .size:           8
        .value_kind:     global_buffer
      - .actual_access:  write_only
        .address_space:  global
        .offset:         16
        .size:           8
        .value_kind:     global_buffer
      - .offset:         24
        .size:           4
        .value_kind:     by_value
      - .offset:         28
        .size:           4
        .value_kind:     by_value
      - .offset:         32
        .size:           4
        .value_kind:     by_value
      - .offset:         40
        .size:           4
        .value_kind:     hidden_block_count_x
      - .offset:         44
        .size:           4
        .value_kind:     hidden_block_count_y
      - .offset:         48
        .size:           4
        .value_kind:     hidden_block_count_z
      - .offset:         52
        .size:           2
        .value_kind:     hidden_group_size_x
      - .offset:         54
        .size:           2
        .value_kind:     hidden_group_size_y
      - .offset:         56
        .size:           2
        .value_kind:     hidden_group_size_z
      - .offset:         58
        .size:           2
        .value_kind:     hidden_remainder_x
      - .offset:         60
        .size:           2
        .value_kind:     hidden_remainder_y
      - .offset:         62
        .size:           2
        .value_kind:     hidden_remainder_z
      - .offset:         80
        .size:           8
        .value_kind:     hidden_global_offset_x
      - .offset:         88
        .size:           8
        .value_kind:     hidden_global_offset_y
      - .offset:         96
        .size:           8
        .value_kind:     hidden_global_offset_z
      - .offset:         104
        .size:           2
        .value_kind:     hidden_grid_dims
    .group_segment_fixed_size: 0
    .kernarg_segment_align: 8
    .kernarg_segment_size: 296
    .language:       OpenCL C
    .language_version:
      - 2
      - 0
    .max_flat_workgroup_size: 1024
    .name:           _ZL13mul_mat_vec_qIN3c104HalfELi256ELi32E10block_q4_KLi2EXadL_ZL17vec_dot_q4_K_q8_1PKvPK10block_q8_1RKiEEEvS4_S4_PT_iii
    .private_segment_fixed_size: 0
    .sgpr_count:     22
    .sgpr_spill_count: 0
    .symbol:         _ZL13mul_mat_vec_qIN3c104HalfELi256ELi32E10block_q4_KLi2EXadL_ZL17vec_dot_q4_K_q8_1PKvPK10block_q8_1RKiEEEvS4_S4_PT_iii.kd
    .uniform_work_group_size: 1
    .uses_dynamic_stack: false
    .vgpr_count:     41
    .vgpr_spill_count: 0
    .wavefront_size: 64
  - .agpr_count:     0
    .args:
      - .actual_access:  read_only
        .address_space:  global
        .offset:         0
        .size:           8
        .value_kind:     global_buffer
      - .actual_access:  read_only
        .address_space:  global
        .offset:         8
        .size:           8
        .value_kind:     global_buffer
      - .actual_access:  write_only
        .address_space:  global
        .offset:         16
        .size:           8
        .value_kind:     global_buffer
      - .offset:         24
        .size:           4
        .value_kind:     by_value
      - .offset:         28
        .size:           4
        .value_kind:     by_value
      - .offset:         32
        .size:           4
        .value_kind:     by_value
      - .offset:         40
        .size:           4
        .value_kind:     hidden_block_count_x
      - .offset:         44
        .size:           4
        .value_kind:     hidden_block_count_y
      - .offset:         48
        .size:           4
        .value_kind:     hidden_block_count_z
      - .offset:         52
        .size:           2
        .value_kind:     hidden_group_size_x
      - .offset:         54
        .size:           2
        .value_kind:     hidden_group_size_y
      - .offset:         56
        .size:           2
        .value_kind:     hidden_group_size_z
      - .offset:         58
        .size:           2
        .value_kind:     hidden_remainder_x
      - .offset:         60
        .size:           2
        .value_kind:     hidden_remainder_y
      - .offset:         62
        .size:           2
        .value_kind:     hidden_remainder_z
      - .offset:         80
        .size:           8
        .value_kind:     hidden_global_offset_x
      - .offset:         88
        .size:           8
        .value_kind:     hidden_global_offset_y
      - .offset:         96
        .size:           8
        .value_kind:     hidden_global_offset_z
      - .offset:         104
        .size:           2
        .value_kind:     hidden_grid_dims
    .group_segment_fixed_size: 0
    .kernarg_segment_align: 8
    .kernarg_segment_size: 296
    .language:       OpenCL C
    .language_version:
      - 2
      - 0
    .max_flat_workgroup_size: 1024
    .name:           _ZL13mul_mat_vec_qIN3c104HalfELi256ELi32E10block_q5_KLi2EXadL_ZL17vec_dot_q5_K_q8_1PKvPK10block_q8_1RKiEEEvS4_S4_PT_iii
    .private_segment_fixed_size: 0
    .sgpr_count:     22
    .sgpr_spill_count: 0
    .symbol:         _ZL13mul_mat_vec_qIN3c104HalfELi256ELi32E10block_q5_KLi2EXadL_ZL17vec_dot_q5_K_q8_1PKvPK10block_q8_1RKiEEEvS4_S4_PT_iii.kd
    .uniform_work_group_size: 1
    .uses_dynamic_stack: false
    .vgpr_count:     43
    .vgpr_spill_count: 0
    .wavefront_size: 64
  - .agpr_count:     0
    .args:
      - .actual_access:  read_only
        .address_space:  global
        .offset:         0
        .size:           8
        .value_kind:     global_buffer
      - .actual_access:  read_only
        .address_space:  global
        .offset:         8
        .size:           8
        .value_kind:     global_buffer
      - .actual_access:  write_only
        .address_space:  global
        .offset:         16
        .size:           8
        .value_kind:     global_buffer
      - .offset:         24
        .size:           4
        .value_kind:     by_value
      - .offset:         28
        .size:           4
        .value_kind:     by_value
      - .offset:         32
        .size:           4
        .value_kind:     by_value
      - .offset:         40
        .size:           4
        .value_kind:     hidden_block_count_x
      - .offset:         44
        .size:           4
        .value_kind:     hidden_block_count_y
      - .offset:         48
        .size:           4
        .value_kind:     hidden_block_count_z
      - .offset:         52
        .size:           2
        .value_kind:     hidden_group_size_x
      - .offset:         54
        .size:           2
        .value_kind:     hidden_group_size_y
      - .offset:         56
        .size:           2
        .value_kind:     hidden_group_size_z
      - .offset:         58
        .size:           2
        .value_kind:     hidden_remainder_x
      - .offset:         60
        .size:           2
        .value_kind:     hidden_remainder_y
      - .offset:         62
        .size:           2
        .value_kind:     hidden_remainder_z
      - .offset:         80
        .size:           8
        .value_kind:     hidden_global_offset_x
      - .offset:         88
        .size:           8
        .value_kind:     hidden_global_offset_y
      - .offset:         96
        .size:           8
        .value_kind:     hidden_global_offset_z
      - .offset:         104
        .size:           2
        .value_kind:     hidden_grid_dims
    .group_segment_fixed_size: 0
    .kernarg_segment_align: 8
    .kernarg_segment_size: 296
    .language:       OpenCL C
    .language_version:
      - 2
      - 0
    .max_flat_workgroup_size: 1024
    .name:           _ZL13mul_mat_vec_qIN3c104HalfELi256ELi32E10block_q6_KLi1EXadL_ZL17vec_dot_q6_K_q8_1PKvPK10block_q8_1RKiEEEvS4_S4_PT_iii
    .private_segment_fixed_size: 0
    .sgpr_count:     22
    .sgpr_spill_count: 0
    .symbol:         _ZL13mul_mat_vec_qIN3c104HalfELi256ELi32E10block_q6_KLi1EXadL_ZL17vec_dot_q6_K_q8_1PKvPK10block_q8_1RKiEEEvS4_S4_PT_iii.kd
    .uniform_work_group_size: 1
    .uses_dynamic_stack: false
    .vgpr_count:     36
    .vgpr_spill_count: 0
    .wavefront_size: 64
  - .agpr_count:     0
    .args:
      - .actual_access:  read_only
        .address_space:  global
        .offset:         0
        .size:           8
        .value_kind:     global_buffer
      - .actual_access:  read_only
        .address_space:  global
        .offset:         8
        .size:           8
        .value_kind:     global_buffer
      - .actual_access:  write_only
        .address_space:  global
        .offset:         16
        .size:           8
        .value_kind:     global_buffer
      - .offset:         24
        .size:           4
        .value_kind:     by_value
      - .offset:         28
        .size:           4
        .value_kind:     by_value
      - .offset:         32
        .size:           4
        .value_kind:     by_value
      - .offset:         40
        .size:           4
        .value_kind:     hidden_block_count_x
      - .offset:         44
        .size:           4
        .value_kind:     hidden_block_count_y
      - .offset:         48
        .size:           4
        .value_kind:     hidden_block_count_z
      - .offset:         52
        .size:           2
        .value_kind:     hidden_group_size_x
      - .offset:         54
        .size:           2
        .value_kind:     hidden_group_size_y
      - .offset:         56
        .size:           2
        .value_kind:     hidden_group_size_z
      - .offset:         58
        .size:           2
        .value_kind:     hidden_remainder_x
      - .offset:         60
        .size:           2
        .value_kind:     hidden_remainder_y
      - .offset:         62
        .size:           2
        .value_kind:     hidden_remainder_z
      - .offset:         80
        .size:           8
        .value_kind:     hidden_global_offset_x
      - .offset:         88
        .size:           8
        .value_kind:     hidden_global_offset_y
      - .offset:         96
        .size:           8
        .value_kind:     hidden_global_offset_z
      - .offset:         104
        .size:           2
        .value_kind:     hidden_grid_dims
    .group_segment_fixed_size: 0
    .kernarg_segment_align: 8
    .kernarg_segment_size: 296
    .language:       OpenCL C
    .language_version:
      - 2
      - 0
    .max_flat_workgroup_size: 1024
    .name:           _ZL13mul_mat_vec_qIN3c104HalfELi256ELi8E13block_iq2_xxsLi1EXadL_ZL20vec_dot_iq2_xxs_q8_1PKvPK10block_q8_1RKiEEEvS4_S4_PT_iii
    .private_segment_fixed_size: 0
    .sgpr_count:     22
    .sgpr_spill_count: 0
    .symbol:         _ZL13mul_mat_vec_qIN3c104HalfELi256ELi8E13block_iq2_xxsLi1EXadL_ZL20vec_dot_iq2_xxs_q8_1PKvPK10block_q8_1RKiEEEvS4_S4_PT_iii.kd
    .uniform_work_group_size: 1
    .uses_dynamic_stack: false
    .vgpr_count:     31
    .vgpr_spill_count: 0
    .wavefront_size: 64
  - .agpr_count:     0
    .args:
      - .actual_access:  read_only
        .address_space:  global
        .offset:         0
        .size:           8
        .value_kind:     global_buffer
      - .actual_access:  read_only
        .address_space:  global
        .offset:         8
        .size:           8
        .value_kind:     global_buffer
      - .actual_access:  write_only
        .address_space:  global
        .offset:         16
        .size:           8
        .value_kind:     global_buffer
      - .offset:         24
        .size:           4
        .value_kind:     by_value
      - .offset:         28
        .size:           4
        .value_kind:     by_value
      - .offset:         32
        .size:           4
        .value_kind:     by_value
      - .offset:         40
        .size:           4
        .value_kind:     hidden_block_count_x
      - .offset:         44
        .size:           4
        .value_kind:     hidden_block_count_y
      - .offset:         48
        .size:           4
        .value_kind:     hidden_block_count_z
      - .offset:         52
        .size:           2
        .value_kind:     hidden_group_size_x
      - .offset:         54
        .size:           2
        .value_kind:     hidden_group_size_y
      - .offset:         56
        .size:           2
        .value_kind:     hidden_group_size_z
      - .offset:         58
        .size:           2
        .value_kind:     hidden_remainder_x
      - .offset:         60
        .size:           2
        .value_kind:     hidden_remainder_y
      - .offset:         62
        .size:           2
        .value_kind:     hidden_remainder_z
      - .offset:         80
        .size:           8
        .value_kind:     hidden_global_offset_x
      - .offset:         88
        .size:           8
        .value_kind:     hidden_global_offset_y
      - .offset:         96
        .size:           8
        .value_kind:     hidden_global_offset_z
      - .offset:         104
        .size:           2
        .value_kind:     hidden_grid_dims
    .group_segment_fixed_size: 0
    .kernarg_segment_align: 8
    .kernarg_segment_size: 296
    .language:       OpenCL C
    .language_version:
      - 2
      - 0
    .max_flat_workgroup_size: 1024
    .name:           _ZL13mul_mat_vec_qIN3c104HalfELi256ELi8E12block_iq2_xsLi1EXadL_ZL19vec_dot_iq2_xs_q8_1PKvPK10block_q8_1RKiEEEvS4_S4_PT_iii
    .private_segment_fixed_size: 0
    .sgpr_count:     22
    .sgpr_spill_count: 0
    .symbol:         _ZL13mul_mat_vec_qIN3c104HalfELi256ELi8E12block_iq2_xsLi1EXadL_ZL19vec_dot_iq2_xs_q8_1PKvPK10block_q8_1RKiEEEvS4_S4_PT_iii.kd
    .uniform_work_group_size: 1
    .uses_dynamic_stack: false
    .vgpr_count:     39
    .vgpr_spill_count: 0
    .wavefront_size: 64
  - .agpr_count:     0
    .args:
      - .actual_access:  read_only
        .address_space:  global
        .offset:         0
        .size:           8
        .value_kind:     global_buffer
      - .actual_access:  read_only
        .address_space:  global
        .offset:         8
        .size:           8
        .value_kind:     global_buffer
      - .actual_access:  write_only
        .address_space:  global
        .offset:         16
        .size:           8
        .value_kind:     global_buffer
      - .offset:         24
        .size:           4
        .value_kind:     by_value
      - .offset:         28
        .size:           4
        .value_kind:     by_value
      - .offset:         32
        .size:           4
        .value_kind:     by_value
      - .offset:         40
        .size:           4
        .value_kind:     hidden_block_count_x
      - .offset:         44
        .size:           4
        .value_kind:     hidden_block_count_y
      - .offset:         48
        .size:           4
        .value_kind:     hidden_block_count_z
      - .offset:         52
        .size:           2
        .value_kind:     hidden_group_size_x
      - .offset:         54
        .size:           2
        .value_kind:     hidden_group_size_y
      - .offset:         56
        .size:           2
        .value_kind:     hidden_group_size_z
      - .offset:         58
        .size:           2
        .value_kind:     hidden_remainder_x
      - .offset:         60
        .size:           2
        .value_kind:     hidden_remainder_y
      - .offset:         62
        .size:           2
        .value_kind:     hidden_remainder_z
      - .offset:         80
        .size:           8
        .value_kind:     hidden_global_offset_x
      - .offset:         88
        .size:           8
        .value_kind:     hidden_global_offset_y
      - .offset:         96
        .size:           8
        .value_kind:     hidden_global_offset_z
      - .offset:         104
        .size:           2
        .value_kind:     hidden_grid_dims
    .group_segment_fixed_size: 0
    .kernarg_segment_align: 8
    .kernarg_segment_size: 296
    .language:       OpenCL C
    .language_version:
      - 2
      - 0
    .max_flat_workgroup_size: 1024
    .name:           _ZL13mul_mat_vec_qIN3c104HalfELi256ELi8E13block_iq3_xxsLi1EXadL_ZL20vec_dot_iq3_xxs_q8_1PKvPK10block_q8_1RKiEEEvS4_S4_PT_iii
    .private_segment_fixed_size: 0
    .sgpr_count:     24
    .sgpr_spill_count: 0
    .symbol:         _ZL13mul_mat_vec_qIN3c104HalfELi256ELi8E13block_iq3_xxsLi1EXadL_ZL20vec_dot_iq3_xxs_q8_1PKvPK10block_q8_1RKiEEEvS4_S4_PT_iii.kd
    .uniform_work_group_size: 1
    .uses_dynamic_stack: false
    .vgpr_count:     61
    .vgpr_spill_count: 0
    .wavefront_size: 64
  - .agpr_count:     0
    .args:
      - .actual_access:  read_only
        .address_space:  global
        .offset:         0
        .size:           8
        .value_kind:     global_buffer
      - .actual_access:  read_only
        .address_space:  global
        .offset:         8
        .size:           8
        .value_kind:     global_buffer
      - .actual_access:  write_only
        .address_space:  global
        .offset:         16
        .size:           8
        .value_kind:     global_buffer
      - .offset:         24
        .size:           4
        .value_kind:     by_value
      - .offset:         28
        .size:           4
        .value_kind:     by_value
      - .offset:         32
        .size:           4
        .value_kind:     by_value
      - .offset:         40
        .size:           4
        .value_kind:     hidden_block_count_x
      - .offset:         44
        .size:           4
        .value_kind:     hidden_block_count_y
      - .offset:         48
        .size:           4
        .value_kind:     hidden_block_count_z
      - .offset:         52
        .size:           2
        .value_kind:     hidden_group_size_x
      - .offset:         54
        .size:           2
        .value_kind:     hidden_group_size_y
      - .offset:         56
        .size:           2
        .value_kind:     hidden_group_size_z
      - .offset:         58
        .size:           2
        .value_kind:     hidden_remainder_x
      - .offset:         60
        .size:           2
        .value_kind:     hidden_remainder_y
      - .offset:         62
        .size:           2
        .value_kind:     hidden_remainder_z
      - .offset:         80
        .size:           8
        .value_kind:     hidden_global_offset_x
      - .offset:         88
        .size:           8
        .value_kind:     hidden_global_offset_y
      - .offset:         96
        .size:           8
        .value_kind:     hidden_global_offset_z
      - .offset:         104
        .size:           2
        .value_kind:     hidden_grid_dims
    .group_segment_fixed_size: 0
    .kernarg_segment_align: 8
    .kernarg_segment_size: 296
    .language:       OpenCL C
    .language_version:
      - 2
      - 0
    .max_flat_workgroup_size: 1024
    .name:           _ZL13mul_mat_vec_qIN3c104HalfELi256ELi8E11block_iq1_sLi1EXadL_ZL18vec_dot_iq1_s_q8_1PKvPK10block_q8_1RKiEEEvS4_S4_PT_iii
    .private_segment_fixed_size: 0
    .sgpr_count:     20
    .sgpr_spill_count: 0
    .symbol:         _ZL13mul_mat_vec_qIN3c104HalfELi256ELi8E11block_iq1_sLi1EXadL_ZL18vec_dot_iq1_s_q8_1PKvPK10block_q8_1RKiEEEvS4_S4_PT_iii.kd
    .uniform_work_group_size: 1
    .uses_dynamic_stack: false
    .vgpr_count:     35
    .vgpr_spill_count: 0
    .wavefront_size: 64
  - .agpr_count:     0
    .args:
      - .actual_access:  read_only
        .address_space:  global
        .offset:         0
        .size:           8
        .value_kind:     global_buffer
      - .actual_access:  read_only
        .address_space:  global
        .offset:         8
        .size:           8
        .value_kind:     global_buffer
      - .actual_access:  write_only
        .address_space:  global
        .offset:         16
        .size:           8
        .value_kind:     global_buffer
      - .offset:         24
        .size:           4
        .value_kind:     by_value
      - .offset:         28
        .size:           4
        .value_kind:     by_value
      - .offset:         32
        .size:           4
        .value_kind:     by_value
      - .offset:         40
        .size:           4
        .value_kind:     hidden_block_count_x
      - .offset:         44
        .size:           4
        .value_kind:     hidden_block_count_y
      - .offset:         48
        .size:           4
        .value_kind:     hidden_block_count_z
      - .offset:         52
        .size:           2
        .value_kind:     hidden_group_size_x
      - .offset:         54
        .size:           2
        .value_kind:     hidden_group_size_y
      - .offset:         56
        .size:           2
        .value_kind:     hidden_group_size_z
      - .offset:         58
        .size:           2
        .value_kind:     hidden_remainder_x
      - .offset:         60
        .size:           2
        .value_kind:     hidden_remainder_y
      - .offset:         62
        .size:           2
        .value_kind:     hidden_remainder_z
      - .offset:         80
        .size:           8
        .value_kind:     hidden_global_offset_x
      - .offset:         88
        .size:           8
        .value_kind:     hidden_global_offset_y
      - .offset:         96
        .size:           8
        .value_kind:     hidden_global_offset_z
      - .offset:         104
        .size:           2
        .value_kind:     hidden_grid_dims
    .group_segment_fixed_size: 0
    .kernarg_segment_align: 8
    .kernarg_segment_size: 296
    .language:       OpenCL C
    .language_version:
      - 2
      - 0
    .max_flat_workgroup_size: 1024
    .name:           _ZL13mul_mat_vec_qIN3c104HalfELi32ELi4E12block_iq4_nlLi2EXadL_ZL19vec_dot_iq4_nl_q8_1PKvPK10block_q8_1RKiEEEvS4_S4_PT_iii
    .private_segment_fixed_size: 0
    .sgpr_count:     24
    .sgpr_spill_count: 0
    .symbol:         _ZL13mul_mat_vec_qIN3c104HalfELi32ELi4E12block_iq4_nlLi2EXadL_ZL19vec_dot_iq4_nl_q8_1PKvPK10block_q8_1RKiEEEvS4_S4_PT_iii.kd
    .uniform_work_group_size: 1
    .uses_dynamic_stack: false
    .vgpr_count:     47
    .vgpr_spill_count: 0
    .wavefront_size: 64
  - .agpr_count:     0
    .args:
      - .actual_access:  read_only
        .address_space:  global
        .offset:         0
        .size:           8
        .value_kind:     global_buffer
      - .actual_access:  read_only
        .address_space:  global
        .offset:         8
        .size:           8
        .value_kind:     global_buffer
      - .actual_access:  write_only
        .address_space:  global
        .offset:         16
        .size:           8
        .value_kind:     global_buffer
      - .offset:         24
        .size:           4
        .value_kind:     by_value
      - .offset:         28
        .size:           4
        .value_kind:     by_value
      - .offset:         32
        .size:           4
        .value_kind:     by_value
      - .offset:         40
        .size:           4
        .value_kind:     hidden_block_count_x
      - .offset:         44
        .size:           4
        .value_kind:     hidden_block_count_y
      - .offset:         48
        .size:           4
        .value_kind:     hidden_block_count_z
      - .offset:         52
        .size:           2
        .value_kind:     hidden_group_size_x
      - .offset:         54
        .size:           2
        .value_kind:     hidden_group_size_y
      - .offset:         56
        .size:           2
        .value_kind:     hidden_group_size_z
      - .offset:         58
        .size:           2
        .value_kind:     hidden_remainder_x
      - .offset:         60
        .size:           2
        .value_kind:     hidden_remainder_y
      - .offset:         62
        .size:           2
        .value_kind:     hidden_remainder_z
      - .offset:         80
        .size:           8
        .value_kind:     hidden_global_offset_x
      - .offset:         88
        .size:           8
        .value_kind:     hidden_global_offset_y
      - .offset:         96
        .size:           8
        .value_kind:     hidden_global_offset_z
      - .offset:         104
        .size:           2
        .value_kind:     hidden_grid_dims
    .group_segment_fixed_size: 0
    .kernarg_segment_align: 8
    .kernarg_segment_size: 296
    .language:       OpenCL C
    .language_version:
      - 2
      - 0
    .max_flat_workgroup_size: 1024
    .name:           _ZL13mul_mat_vec_qIN3c104HalfELi256ELi8E11block_iq3_sLi1EXadL_ZL18vec_dot_iq3_s_q8_1PKvPK10block_q8_1RKiEEEvS4_S4_PT_iii
    .private_segment_fixed_size: 0
    .sgpr_count:     28
    .sgpr_spill_count: 0
    .symbol:         _ZL13mul_mat_vec_qIN3c104HalfELi256ELi8E11block_iq3_sLi1EXadL_ZL18vec_dot_iq3_s_q8_1PKvPK10block_q8_1RKiEEEvS4_S4_PT_iii.kd
    .uniform_work_group_size: 1
    .uses_dynamic_stack: false
    .vgpr_count:     48
    .vgpr_spill_count: 0
    .wavefront_size: 64
  - .agpr_count:     0
    .args:
      - .actual_access:  read_only
        .address_space:  global
        .offset:         0
        .size:           8
        .value_kind:     global_buffer
      - .actual_access:  read_only
        .address_space:  global
        .offset:         8
        .size:           8
        .value_kind:     global_buffer
      - .actual_access:  write_only
        .address_space:  global
        .offset:         16
        .size:           8
        .value_kind:     global_buffer
      - .offset:         24
        .size:           4
        .value_kind:     by_value
      - .offset:         28
        .size:           4
        .value_kind:     by_value
      - .offset:         32
        .size:           4
        .value_kind:     by_value
      - .offset:         40
        .size:           4
        .value_kind:     hidden_block_count_x
      - .offset:         44
        .size:           4
        .value_kind:     hidden_block_count_y
      - .offset:         48
        .size:           4
        .value_kind:     hidden_block_count_z
      - .offset:         52
        .size:           2
        .value_kind:     hidden_group_size_x
      - .offset:         54
        .size:           2
        .value_kind:     hidden_group_size_y
      - .offset:         56
        .size:           2
        .value_kind:     hidden_group_size_z
      - .offset:         58
        .size:           2
        .value_kind:     hidden_remainder_x
      - .offset:         60
        .size:           2
        .value_kind:     hidden_remainder_y
      - .offset:         62
        .size:           2
        .value_kind:     hidden_remainder_z
      - .offset:         80
        .size:           8
        .value_kind:     hidden_global_offset_x
      - .offset:         88
        .size:           8
        .value_kind:     hidden_global_offset_y
      - .offset:         96
        .size:           8
        .value_kind:     hidden_global_offset_z
      - .offset:         104
        .size:           2
        .value_kind:     hidden_grid_dims
    .group_segment_fixed_size: 0
    .kernarg_segment_align: 8
    .kernarg_segment_size: 296
    .language:       OpenCL C
    .language_version:
      - 2
      - 0
    .max_flat_workgroup_size: 1024
    .name:           _ZL13mul_mat_vec_qIN3c104HalfELi256ELi8E11block_iq2_sLi1EXadL_ZL18vec_dot_iq2_s_q8_1PKvPK10block_q8_1RKiEEEvS4_S4_PT_iii
    .private_segment_fixed_size: 0
    .sgpr_count:     28
    .sgpr_spill_count: 0
    .symbol:         _ZL13mul_mat_vec_qIN3c104HalfELi256ELi8E11block_iq2_sLi1EXadL_ZL18vec_dot_iq2_s_q8_1PKvPK10block_q8_1RKiEEEvS4_S4_PT_iii.kd
    .uniform_work_group_size: 1
    .uses_dynamic_stack: false
    .vgpr_count:     64
    .vgpr_spill_count: 0
    .wavefront_size: 64
  - .agpr_count:     0
    .args:
      - .actual_access:  read_only
        .address_space:  global
        .offset:         0
        .size:           8
        .value_kind:     global_buffer
      - .actual_access:  read_only
        .address_space:  global
        .offset:         8
        .size:           8
        .value_kind:     global_buffer
      - .actual_access:  write_only
        .address_space:  global
        .offset:         16
        .size:           8
        .value_kind:     global_buffer
      - .offset:         24
        .size:           4
        .value_kind:     by_value
      - .offset:         28
        .size:           4
        .value_kind:     by_value
      - .offset:         32
        .size:           4
        .value_kind:     by_value
      - .offset:         40
        .size:           4
        .value_kind:     hidden_block_count_x
      - .offset:         44
        .size:           4
        .value_kind:     hidden_block_count_y
      - .offset:         48
        .size:           4
        .value_kind:     hidden_block_count_z
      - .offset:         52
        .size:           2
        .value_kind:     hidden_group_size_x
      - .offset:         54
        .size:           2
        .value_kind:     hidden_group_size_y
      - .offset:         56
        .size:           2
        .value_kind:     hidden_group_size_z
      - .offset:         58
        .size:           2
        .value_kind:     hidden_remainder_x
      - .offset:         60
        .size:           2
        .value_kind:     hidden_remainder_y
      - .offset:         62
        .size:           2
        .value_kind:     hidden_remainder_z
      - .offset:         80
        .size:           8
        .value_kind:     hidden_global_offset_x
      - .offset:         88
        .size:           8
        .value_kind:     hidden_global_offset_y
      - .offset:         96
        .size:           8
        .value_kind:     hidden_global_offset_z
      - .offset:         104
        .size:           2
        .value_kind:     hidden_grid_dims
    .group_segment_fixed_size: 0
    .kernarg_segment_align: 8
    .kernarg_segment_size: 296
    .language:       OpenCL C
    .language_version:
      - 2
      - 0
    .max_flat_workgroup_size: 1024
    .name:           _ZL13mul_mat_vec_qIN3c104HalfELi256ELi8E12block_iq4_xsLi1EXadL_ZL19vec_dot_iq4_xs_q8_1PKvPK10block_q8_1RKiEEEvS4_S4_PT_iii
    .private_segment_fixed_size: 0
    .sgpr_count:     22
    .sgpr_spill_count: 0
    .symbol:         _ZL13mul_mat_vec_qIN3c104HalfELi256ELi8E12block_iq4_xsLi1EXadL_ZL19vec_dot_iq4_xs_q8_1PKvPK10block_q8_1RKiEEEvS4_S4_PT_iii.kd
    .uniform_work_group_size: 1
    .uses_dynamic_stack: false
    .vgpr_count:     64
    .vgpr_spill_count: 0
    .wavefront_size: 64
  - .agpr_count:     0
    .args:
      - .actual_access:  read_only
        .address_space:  global
        .offset:         0
        .size:           8
        .value_kind:     global_buffer
      - .actual_access:  read_only
        .address_space:  global
        .offset:         8
        .size:           8
        .value_kind:     global_buffer
      - .actual_access:  write_only
        .address_space:  global
        .offset:         16
        .size:           8
        .value_kind:     global_buffer
      - .offset:         24
        .size:           4
        .value_kind:     by_value
      - .offset:         28
        .size:           4
        .value_kind:     by_value
      - .offset:         32
        .size:           4
        .value_kind:     by_value
      - .offset:         40
        .size:           4
        .value_kind:     hidden_block_count_x
      - .offset:         44
        .size:           4
        .value_kind:     hidden_block_count_y
      - .offset:         48
        .size:           4
        .value_kind:     hidden_block_count_z
      - .offset:         52
        .size:           2
        .value_kind:     hidden_group_size_x
      - .offset:         54
        .size:           2
        .value_kind:     hidden_group_size_y
      - .offset:         56
        .size:           2
        .value_kind:     hidden_group_size_z
      - .offset:         58
        .size:           2
        .value_kind:     hidden_remainder_x
      - .offset:         60
        .size:           2
        .value_kind:     hidden_remainder_y
      - .offset:         62
        .size:           2
        .value_kind:     hidden_remainder_z
      - .offset:         80
        .size:           8
        .value_kind:     hidden_global_offset_x
      - .offset:         88
        .size:           8
        .value_kind:     hidden_global_offset_y
      - .offset:         96
        .size:           8
        .value_kind:     hidden_global_offset_z
      - .offset:         104
        .size:           2
        .value_kind:     hidden_grid_dims
    .group_segment_fixed_size: 0
    .kernarg_segment_align: 8
    .kernarg_segment_size: 296
    .language:       OpenCL C
    .language_version:
      - 2
      - 0
    .max_flat_workgroup_size: 1024
    .name:           _ZL13mul_mat_vec_qIN3c104HalfELi256ELi8E11block_iq1_mLi1EXadL_ZL18vec_dot_iq1_m_q8_1PKvPK10block_q8_1RKiEEEvS4_S4_PT_iii
    .private_segment_fixed_size: 0
    .sgpr_count:     23
    .sgpr_spill_count: 0
    .symbol:         _ZL13mul_mat_vec_qIN3c104HalfELi256ELi8E11block_iq1_mLi1EXadL_ZL18vec_dot_iq1_m_q8_1PKvPK10block_q8_1RKiEEEvS4_S4_PT_iii.kd
    .uniform_work_group_size: 1
    .uses_dynamic_stack: false
    .vgpr_count:     49
    .vgpr_spill_count: 0
    .wavefront_size: 64
  - .agpr_count:     0
    .args:
      - .actual_access:  read_only
        .address_space:  global
        .offset:         0
        .size:           8
        .value_kind:     global_buffer
      - .actual_access:  write_only
        .address_space:  global
        .offset:         8
        .size:           8
        .value_kind:     global_buffer
      - .offset:         16
        .size:           4
        .value_kind:     by_value
      - .offset:         20
        .size:           4
        .value_kind:     by_value
      - .offset:         24
        .size:           4
        .value_kind:     hidden_block_count_x
      - .offset:         28
        .size:           4
        .value_kind:     hidden_block_count_y
      - .offset:         32
        .size:           4
        .value_kind:     hidden_block_count_z
      - .offset:         36
        .size:           2
        .value_kind:     hidden_group_size_x
      - .offset:         38
        .size:           2
        .value_kind:     hidden_group_size_y
      - .offset:         40
        .size:           2
        .value_kind:     hidden_group_size_z
      - .offset:         42
        .size:           2
        .value_kind:     hidden_remainder_x
      - .offset:         44
        .size:           2
        .value_kind:     hidden_remainder_y
      - .offset:         46
        .size:           2
        .value_kind:     hidden_remainder_z
      - .offset:         64
        .size:           8
        .value_kind:     hidden_global_offset_x
      - .offset:         72
        .size:           8
        .value_kind:     hidden_global_offset_y
      - .offset:         80
        .size:           8
        .value_kind:     hidden_global_offset_z
      - .offset:         88
        .size:           2
        .value_kind:     hidden_grid_dims
    .group_segment_fixed_size: 0
    .kernarg_segment_align: 8
    .kernarg_segment_size: 280
    .language:       OpenCL C
    .language_version:
      - 2
      - 0
    .max_flat_workgroup_size: 1024
    .name:           _ZL13quantize_q8_1IN3c108BFloat16EEvPKT_Pvii
    .private_segment_fixed_size: 0
    .sgpr_count:     16
    .sgpr_spill_count: 0
    .symbol:         _ZL13quantize_q8_1IN3c108BFloat16EEvPKT_Pvii.kd
    .uniform_work_group_size: 1
    .uses_dynamic_stack: false
    .vgpr_count:     12
    .vgpr_spill_count: 0
    .wavefront_size: 64
  - .agpr_count:     0
    .args:
      - .actual_access:  read_only
        .address_space:  global
        .offset:         0
        .size:           8
        .value_kind:     global_buffer
      - .actual_access:  read_only
        .address_space:  global
        .offset:         8
        .size:           8
        .value_kind:     global_buffer
      - .actual_access:  write_only
        .address_space:  global
        .offset:         16
        .size:           8
        .value_kind:     global_buffer
      - .offset:         24
        .size:           4
        .value_kind:     by_value
      - .offset:         28
        .size:           4
        .value_kind:     by_value
      - .offset:         32
        .size:           4
        .value_kind:     by_value
      - .offset:         40
        .size:           4
        .value_kind:     hidden_block_count_x
      - .offset:         44
        .size:           4
        .value_kind:     hidden_block_count_y
      - .offset:         48
        .size:           4
        .value_kind:     hidden_block_count_z
      - .offset:         52
        .size:           2
        .value_kind:     hidden_group_size_x
      - .offset:         54
        .size:           2
        .value_kind:     hidden_group_size_y
      - .offset:         56
        .size:           2
        .value_kind:     hidden_group_size_z
      - .offset:         58
        .size:           2
        .value_kind:     hidden_remainder_x
      - .offset:         60
        .size:           2
        .value_kind:     hidden_remainder_y
      - .offset:         62
        .size:           2
        .value_kind:     hidden_remainder_z
      - .offset:         80
        .size:           8
        .value_kind:     hidden_global_offset_x
      - .offset:         88
        .size:           8
        .value_kind:     hidden_global_offset_y
      - .offset:         96
        .size:           8
        .value_kind:     hidden_global_offset_z
      - .offset:         104
        .size:           2
        .value_kind:     hidden_grid_dims
    .group_segment_fixed_size: 0
    .kernarg_segment_align: 8
    .kernarg_segment_size: 296
    .language:       OpenCL C
    .language_version:
      - 2
      - 0
    .max_flat_workgroup_size: 1024
    .name:           _ZL13mul_mat_vec_qIN3c108BFloat16ELi32ELi4E10block_q4_0Li2EXadL_ZL17vec_dot_q4_0_q8_1PKvPK10block_q8_1RKiEEEvS4_S4_PT_iii
    .private_segment_fixed_size: 0
    .sgpr_count:     22
    .sgpr_spill_count: 0
    .symbol:         _ZL13mul_mat_vec_qIN3c108BFloat16ELi32ELi4E10block_q4_0Li2EXadL_ZL17vec_dot_q4_0_q8_1PKvPK10block_q8_1RKiEEEvS4_S4_PT_iii.kd
    .uniform_work_group_size: 1
    .uses_dynamic_stack: false
    .vgpr_count:     24
    .vgpr_spill_count: 0
    .wavefront_size: 64
  - .agpr_count:     0
    .args:
      - .actual_access:  read_only
        .address_space:  global
        .offset:         0
        .size:           8
        .value_kind:     global_buffer
      - .actual_access:  read_only
        .address_space:  global
        .offset:         8
        .size:           8
        .value_kind:     global_buffer
      - .actual_access:  write_only
        .address_space:  global
        .offset:         16
        .size:           8
        .value_kind:     global_buffer
      - .offset:         24
        .size:           4
        .value_kind:     by_value
      - .offset:         28
        .size:           4
        .value_kind:     by_value
      - .offset:         32
        .size:           4
        .value_kind:     by_value
      - .offset:         40
        .size:           4
        .value_kind:     hidden_block_count_x
      - .offset:         44
        .size:           4
        .value_kind:     hidden_block_count_y
      - .offset:         48
        .size:           4
        .value_kind:     hidden_block_count_z
      - .offset:         52
        .size:           2
        .value_kind:     hidden_group_size_x
      - .offset:         54
        .size:           2
        .value_kind:     hidden_group_size_y
      - .offset:         56
        .size:           2
        .value_kind:     hidden_group_size_z
      - .offset:         58
        .size:           2
        .value_kind:     hidden_remainder_x
      - .offset:         60
        .size:           2
        .value_kind:     hidden_remainder_y
      - .offset:         62
        .size:           2
        .value_kind:     hidden_remainder_z
      - .offset:         80
        .size:           8
        .value_kind:     hidden_global_offset_x
      - .offset:         88
        .size:           8
        .value_kind:     hidden_global_offset_y
      - .offset:         96
        .size:           8
        .value_kind:     hidden_global_offset_z
      - .offset:         104
        .size:           2
        .value_kind:     hidden_grid_dims
    .group_segment_fixed_size: 0
    .kernarg_segment_align: 8
    .kernarg_segment_size: 296
    .language:       OpenCL C
    .language_version:
      - 2
      - 0
    .max_flat_workgroup_size: 1024
    .name:           _ZL13mul_mat_vec_qIN3c108BFloat16ELi32ELi4E10block_q4_1Li2EXadL_ZL17vec_dot_q4_1_q8_1PKvPK10block_q8_1RKiEEEvS4_S4_PT_iii
    .private_segment_fixed_size: 0
    .sgpr_count:     22
    .sgpr_spill_count: 0
    .symbol:         _ZL13mul_mat_vec_qIN3c108BFloat16ELi32ELi4E10block_q4_1Li2EXadL_ZL17vec_dot_q4_1_q8_1PKvPK10block_q8_1RKiEEEvS4_S4_PT_iii.kd
    .uniform_work_group_size: 1
    .uses_dynamic_stack: false
    .vgpr_count:     24
    .vgpr_spill_count: 0
    .wavefront_size: 64
  - .agpr_count:     0
    .args:
      - .actual_access:  read_only
        .address_space:  global
        .offset:         0
        .size:           8
        .value_kind:     global_buffer
      - .actual_access:  read_only
        .address_space:  global
        .offset:         8
        .size:           8
        .value_kind:     global_buffer
      - .actual_access:  write_only
        .address_space:  global
        .offset:         16
        .size:           8
        .value_kind:     global_buffer
      - .offset:         24
        .size:           4
        .value_kind:     by_value
      - .offset:         28
        .size:           4
        .value_kind:     by_value
      - .offset:         32
        .size:           4
        .value_kind:     by_value
      - .offset:         40
        .size:           4
        .value_kind:     hidden_block_count_x
      - .offset:         44
        .size:           4
        .value_kind:     hidden_block_count_y
      - .offset:         48
        .size:           4
        .value_kind:     hidden_block_count_z
      - .offset:         52
        .size:           2
        .value_kind:     hidden_group_size_x
      - .offset:         54
        .size:           2
        .value_kind:     hidden_group_size_y
      - .offset:         56
        .size:           2
        .value_kind:     hidden_group_size_z
      - .offset:         58
        .size:           2
        .value_kind:     hidden_remainder_x
      - .offset:         60
        .size:           2
        .value_kind:     hidden_remainder_y
      - .offset:         62
        .size:           2
        .value_kind:     hidden_remainder_z
      - .offset:         80
        .size:           8
        .value_kind:     hidden_global_offset_x
      - .offset:         88
        .size:           8
        .value_kind:     hidden_global_offset_y
      - .offset:         96
        .size:           8
        .value_kind:     hidden_global_offset_z
      - .offset:         104
        .size:           2
        .value_kind:     hidden_grid_dims
    .group_segment_fixed_size: 0
    .kernarg_segment_align: 8
    .kernarg_segment_size: 296
    .language:       OpenCL C
    .language_version:
      - 2
      - 0
    .max_flat_workgroup_size: 1024
    .name:           _ZL13mul_mat_vec_qIN3c108BFloat16ELi32ELi4E10block_q5_0Li2EXadL_ZL17vec_dot_q5_0_q8_1PKvPK10block_q8_1RKiEEEvS4_S4_PT_iii
    .private_segment_fixed_size: 0
    .sgpr_count:     22
    .sgpr_spill_count: 0
    .symbol:         _ZL13mul_mat_vec_qIN3c108BFloat16ELi32ELi4E10block_q5_0Li2EXadL_ZL17vec_dot_q5_0_q8_1PKvPK10block_q8_1RKiEEEvS4_S4_PT_iii.kd
    .uniform_work_group_size: 1
    .uses_dynamic_stack: false
    .vgpr_count:     37
    .vgpr_spill_count: 0
    .wavefront_size: 64
  - .agpr_count:     0
    .args:
      - .actual_access:  read_only
        .address_space:  global
        .offset:         0
        .size:           8
        .value_kind:     global_buffer
      - .actual_access:  read_only
        .address_space:  global
        .offset:         8
        .size:           8
        .value_kind:     global_buffer
      - .actual_access:  write_only
        .address_space:  global
        .offset:         16
        .size:           8
        .value_kind:     global_buffer
      - .offset:         24
        .size:           4
        .value_kind:     by_value
      - .offset:         28
        .size:           4
        .value_kind:     by_value
      - .offset:         32
        .size:           4
        .value_kind:     by_value
      - .offset:         40
        .size:           4
        .value_kind:     hidden_block_count_x
      - .offset:         44
        .size:           4
        .value_kind:     hidden_block_count_y
      - .offset:         48
        .size:           4
        .value_kind:     hidden_block_count_z
      - .offset:         52
        .size:           2
        .value_kind:     hidden_group_size_x
      - .offset:         54
        .size:           2
        .value_kind:     hidden_group_size_y
      - .offset:         56
        .size:           2
        .value_kind:     hidden_group_size_z
      - .offset:         58
        .size:           2
        .value_kind:     hidden_remainder_x
      - .offset:         60
        .size:           2
        .value_kind:     hidden_remainder_y
      - .offset:         62
        .size:           2
        .value_kind:     hidden_remainder_z
      - .offset:         80
        .size:           8
        .value_kind:     hidden_global_offset_x
      - .offset:         88
        .size:           8
        .value_kind:     hidden_global_offset_y
      - .offset:         96
        .size:           8
        .value_kind:     hidden_global_offset_z
      - .offset:         104
        .size:           2
        .value_kind:     hidden_grid_dims
    .group_segment_fixed_size: 0
    .kernarg_segment_align: 8
    .kernarg_segment_size: 296
    .language:       OpenCL C
    .language_version:
      - 2
      - 0
    .max_flat_workgroup_size: 1024
    .name:           _ZL13mul_mat_vec_qIN3c108BFloat16ELi32ELi4E10block_q5_1Li2EXadL_ZL17vec_dot_q5_1_q8_1PKvPK10block_q8_1RKiEEEvS4_S4_PT_iii
    .private_segment_fixed_size: 0
    .sgpr_count:     22
    .sgpr_spill_count: 0
    .symbol:         _ZL13mul_mat_vec_qIN3c108BFloat16ELi32ELi4E10block_q5_1Li2EXadL_ZL17vec_dot_q5_1_q8_1PKvPK10block_q8_1RKiEEEvS4_S4_PT_iii.kd
    .uniform_work_group_size: 1
    .uses_dynamic_stack: false
    .vgpr_count:     37
    .vgpr_spill_count: 0
    .wavefront_size: 64
  - .agpr_count:     0
    .args:
      - .actual_access:  read_only
        .address_space:  global
        .offset:         0
        .size:           8
        .value_kind:     global_buffer
      - .actual_access:  read_only
        .address_space:  global
        .offset:         8
        .size:           8
        .value_kind:     global_buffer
      - .actual_access:  write_only
        .address_space:  global
        .offset:         16
        .size:           8
        .value_kind:     global_buffer
      - .offset:         24
        .size:           4
        .value_kind:     by_value
      - .offset:         28
        .size:           4
        .value_kind:     by_value
      - .offset:         32
        .size:           4
        .value_kind:     by_value
      - .offset:         40
        .size:           4
        .value_kind:     hidden_block_count_x
      - .offset:         44
        .size:           4
        .value_kind:     hidden_block_count_y
      - .offset:         48
        .size:           4
        .value_kind:     hidden_block_count_z
      - .offset:         52
        .size:           2
        .value_kind:     hidden_group_size_x
      - .offset:         54
        .size:           2
        .value_kind:     hidden_group_size_y
      - .offset:         56
        .size:           2
        .value_kind:     hidden_group_size_z
      - .offset:         58
        .size:           2
        .value_kind:     hidden_remainder_x
      - .offset:         60
        .size:           2
        .value_kind:     hidden_remainder_y
      - .offset:         62
        .size:           2
        .value_kind:     hidden_remainder_z
      - .offset:         80
        .size:           8
        .value_kind:     hidden_global_offset_x
      - .offset:         88
        .size:           8
        .value_kind:     hidden_global_offset_y
      - .offset:         96
        .size:           8
        .value_kind:     hidden_global_offset_z
      - .offset:         104
        .size:           2
        .value_kind:     hidden_grid_dims
    .group_segment_fixed_size: 0
    .kernarg_segment_align: 8
    .kernarg_segment_size: 296
    .language:       OpenCL C
    .language_version:
      - 2
      - 0
    .max_flat_workgroup_size: 1024
    .name:           _ZL13mul_mat_vec_qIN3c108BFloat16ELi32ELi8E10block_q8_0Li2EXadL_ZL17vec_dot_q8_0_q8_1PKvPK10block_q8_1RKiEEEvS4_S4_PT_iii
    .private_segment_fixed_size: 0
    .sgpr_count:     22
    .sgpr_spill_count: 0
    .symbol:         _ZL13mul_mat_vec_qIN3c108BFloat16ELi32ELi8E10block_q8_0Li2EXadL_ZL17vec_dot_q8_0_q8_1PKvPK10block_q8_1RKiEEEvS4_S4_PT_iii.kd
    .uniform_work_group_size: 1
    .uses_dynamic_stack: false
    .vgpr_count:     21
    .vgpr_spill_count: 0
    .wavefront_size: 64
  - .agpr_count:     0
    .args:
      - .actual_access:  read_only
        .address_space:  global
        .offset:         0
        .size:           8
        .value_kind:     global_buffer
      - .actual_access:  read_only
        .address_space:  global
        .offset:         8
        .size:           8
        .value_kind:     global_buffer
      - .actual_access:  write_only
        .address_space:  global
        .offset:         16
        .size:           8
        .value_kind:     global_buffer
      - .offset:         24
        .size:           4
        .value_kind:     by_value
      - .offset:         28
        .size:           4
        .value_kind:     by_value
      - .offset:         32
        .size:           4
        .value_kind:     by_value
      - .offset:         40
        .size:           4
        .value_kind:     hidden_block_count_x
      - .offset:         44
        .size:           4
        .value_kind:     hidden_block_count_y
      - .offset:         48
        .size:           4
        .value_kind:     hidden_block_count_z
      - .offset:         52
        .size:           2
        .value_kind:     hidden_group_size_x
      - .offset:         54
        .size:           2
        .value_kind:     hidden_group_size_y
      - .offset:         56
        .size:           2
        .value_kind:     hidden_group_size_z
      - .offset:         58
        .size:           2
        .value_kind:     hidden_remainder_x
      - .offset:         60
        .size:           2
        .value_kind:     hidden_remainder_y
      - .offset:         62
        .size:           2
        .value_kind:     hidden_remainder_z
      - .offset:         80
        .size:           8
        .value_kind:     hidden_global_offset_x
      - .offset:         88
        .size:           8
        .value_kind:     hidden_global_offset_y
      - .offset:         96
        .size:           8
        .value_kind:     hidden_global_offset_z
      - .offset:         104
        .size:           2
        .value_kind:     hidden_grid_dims
    .group_segment_fixed_size: 0
    .kernarg_segment_align: 8
    .kernarg_segment_size: 296
    .language:       OpenCL C
    .language_version:
      - 2
      - 0
    .max_flat_workgroup_size: 1024
    .name:           _ZL13mul_mat_vec_qIN3c108BFloat16ELi256ELi16E10block_q2_KLi1EXadL_ZL17vec_dot_q2_K_q8_1PKvPK10block_q8_1RKiEEEvS4_S4_PT_iii
    .private_segment_fixed_size: 0
    .sgpr_count:     22
    .sgpr_spill_count: 0
    .symbol:         _ZL13mul_mat_vec_qIN3c108BFloat16ELi256ELi16E10block_q2_KLi1EXadL_ZL17vec_dot_q2_K_q8_1PKvPK10block_q8_1RKiEEEvS4_S4_PT_iii.kd
    .uniform_work_group_size: 1
    .uses_dynamic_stack: false
    .vgpr_count:     47
    .vgpr_spill_count: 0
    .wavefront_size: 64
  - .agpr_count:     0
    .args:
      - .actual_access:  read_only
        .address_space:  global
        .offset:         0
        .size:           8
        .value_kind:     global_buffer
      - .actual_access:  read_only
        .address_space:  global
        .offset:         8
        .size:           8
        .value_kind:     global_buffer
      - .actual_access:  write_only
        .address_space:  global
        .offset:         16
        .size:           8
        .value_kind:     global_buffer
      - .offset:         24
        .size:           4
        .value_kind:     by_value
      - .offset:         28
        .size:           4
        .value_kind:     by_value
      - .offset:         32
        .size:           4
        .value_kind:     by_value
      - .offset:         40
        .size:           4
        .value_kind:     hidden_block_count_x
      - .offset:         44
        .size:           4
        .value_kind:     hidden_block_count_y
      - .offset:         48
        .size:           4
        .value_kind:     hidden_block_count_z
      - .offset:         52
        .size:           2
        .value_kind:     hidden_group_size_x
      - .offset:         54
        .size:           2
        .value_kind:     hidden_group_size_y
      - .offset:         56
        .size:           2
        .value_kind:     hidden_group_size_z
      - .offset:         58
        .size:           2
        .value_kind:     hidden_remainder_x
      - .offset:         60
        .size:           2
        .value_kind:     hidden_remainder_y
      - .offset:         62
        .size:           2
        .value_kind:     hidden_remainder_z
      - .offset:         80
        .size:           8
        .value_kind:     hidden_global_offset_x
      - .offset:         88
        .size:           8
        .value_kind:     hidden_global_offset_y
      - .offset:         96
        .size:           8
        .value_kind:     hidden_global_offset_z
      - .offset:         104
        .size:           2
        .value_kind:     hidden_grid_dims
    .group_segment_fixed_size: 0
    .kernarg_segment_align: 8
    .kernarg_segment_size: 296
    .language:       OpenCL C
    .language_version:
      - 2
      - 0
    .max_flat_workgroup_size: 1024
    .name:           _ZL13mul_mat_vec_qIN3c108BFloat16ELi256ELi16E10block_q3_KLi1EXadL_ZL17vec_dot_q3_K_q8_1PKvPK10block_q8_1RKiEEEvS4_S4_PT_iii
    .private_segment_fixed_size: 0
    .sgpr_count:     22
    .sgpr_spill_count: 0
    .symbol:         _ZL13mul_mat_vec_qIN3c108BFloat16ELi256ELi16E10block_q3_KLi1EXadL_ZL17vec_dot_q3_K_q8_1PKvPK10block_q8_1RKiEEEvS4_S4_PT_iii.kd
    .uniform_work_group_size: 1
    .uses_dynamic_stack: false
    .vgpr_count:     57
    .vgpr_spill_count: 0
    .wavefront_size: 64
  - .agpr_count:     0
    .args:
      - .actual_access:  read_only
        .address_space:  global
        .offset:         0
        .size:           8
        .value_kind:     global_buffer
      - .actual_access:  read_only
        .address_space:  global
        .offset:         8
        .size:           8
        .value_kind:     global_buffer
      - .actual_access:  write_only
        .address_space:  global
        .offset:         16
        .size:           8
        .value_kind:     global_buffer
      - .offset:         24
        .size:           4
        .value_kind:     by_value
      - .offset:         28
        .size:           4
        .value_kind:     by_value
      - .offset:         32
        .size:           4
        .value_kind:     by_value
      - .offset:         40
        .size:           4
        .value_kind:     hidden_block_count_x
      - .offset:         44
        .size:           4
        .value_kind:     hidden_block_count_y
      - .offset:         48
        .size:           4
        .value_kind:     hidden_block_count_z
      - .offset:         52
        .size:           2
        .value_kind:     hidden_group_size_x
      - .offset:         54
        .size:           2
        .value_kind:     hidden_group_size_y
      - .offset:         56
        .size:           2
        .value_kind:     hidden_group_size_z
      - .offset:         58
        .size:           2
        .value_kind:     hidden_remainder_x
      - .offset:         60
        .size:           2
        .value_kind:     hidden_remainder_y
      - .offset:         62
        .size:           2
        .value_kind:     hidden_remainder_z
      - .offset:         80
        .size:           8
        .value_kind:     hidden_global_offset_x
      - .offset:         88
        .size:           8
        .value_kind:     hidden_global_offset_y
      - .offset:         96
        .size:           8
        .value_kind:     hidden_global_offset_z
      - .offset:         104
        .size:           2
        .value_kind:     hidden_grid_dims
    .group_segment_fixed_size: 0
    .kernarg_segment_align: 8
    .kernarg_segment_size: 296
    .language:       OpenCL C
    .language_version:
      - 2
      - 0
    .max_flat_workgroup_size: 1024
    .name:           _ZL13mul_mat_vec_qIN3c108BFloat16ELi256ELi32E10block_q4_KLi2EXadL_ZL17vec_dot_q4_K_q8_1PKvPK10block_q8_1RKiEEEvS4_S4_PT_iii
    .private_segment_fixed_size: 0
    .sgpr_count:     22
    .sgpr_spill_count: 0
    .symbol:         _ZL13mul_mat_vec_qIN3c108BFloat16ELi256ELi32E10block_q4_KLi2EXadL_ZL17vec_dot_q4_K_q8_1PKvPK10block_q8_1RKiEEEvS4_S4_PT_iii.kd
    .uniform_work_group_size: 1
    .uses_dynamic_stack: false
    .vgpr_count:     41
    .vgpr_spill_count: 0
    .wavefront_size: 64
  - .agpr_count:     0
    .args:
      - .actual_access:  read_only
        .address_space:  global
        .offset:         0
        .size:           8
        .value_kind:     global_buffer
      - .actual_access:  read_only
        .address_space:  global
        .offset:         8
        .size:           8
        .value_kind:     global_buffer
      - .actual_access:  write_only
        .address_space:  global
        .offset:         16
        .size:           8
        .value_kind:     global_buffer
      - .offset:         24
        .size:           4
        .value_kind:     by_value
      - .offset:         28
        .size:           4
        .value_kind:     by_value
      - .offset:         32
        .size:           4
        .value_kind:     by_value
      - .offset:         40
        .size:           4
        .value_kind:     hidden_block_count_x
      - .offset:         44
        .size:           4
        .value_kind:     hidden_block_count_y
      - .offset:         48
        .size:           4
        .value_kind:     hidden_block_count_z
      - .offset:         52
        .size:           2
        .value_kind:     hidden_group_size_x
      - .offset:         54
        .size:           2
        .value_kind:     hidden_group_size_y
      - .offset:         56
        .size:           2
        .value_kind:     hidden_group_size_z
      - .offset:         58
        .size:           2
        .value_kind:     hidden_remainder_x
      - .offset:         60
        .size:           2
        .value_kind:     hidden_remainder_y
      - .offset:         62
        .size:           2
        .value_kind:     hidden_remainder_z
      - .offset:         80
        .size:           8
        .value_kind:     hidden_global_offset_x
      - .offset:         88
        .size:           8
        .value_kind:     hidden_global_offset_y
      - .offset:         96
        .size:           8
        .value_kind:     hidden_global_offset_z
      - .offset:         104
        .size:           2
        .value_kind:     hidden_grid_dims
    .group_segment_fixed_size: 0
    .kernarg_segment_align: 8
    .kernarg_segment_size: 296
    .language:       OpenCL C
    .language_version:
      - 2
      - 0
    .max_flat_workgroup_size: 1024
    .name:           _ZL13mul_mat_vec_qIN3c108BFloat16ELi256ELi32E10block_q5_KLi2EXadL_ZL17vec_dot_q5_K_q8_1PKvPK10block_q8_1RKiEEEvS4_S4_PT_iii
    .private_segment_fixed_size: 0
    .sgpr_count:     22
    .sgpr_spill_count: 0
    .symbol:         _ZL13mul_mat_vec_qIN3c108BFloat16ELi256ELi32E10block_q5_KLi2EXadL_ZL17vec_dot_q5_K_q8_1PKvPK10block_q8_1RKiEEEvS4_S4_PT_iii.kd
    .uniform_work_group_size: 1
    .uses_dynamic_stack: false
    .vgpr_count:     43
    .vgpr_spill_count: 0
    .wavefront_size: 64
  - .agpr_count:     0
    .args:
      - .actual_access:  read_only
        .address_space:  global
        .offset:         0
        .size:           8
        .value_kind:     global_buffer
      - .actual_access:  read_only
        .address_space:  global
        .offset:         8
        .size:           8
        .value_kind:     global_buffer
      - .actual_access:  write_only
        .address_space:  global
        .offset:         16
        .size:           8
        .value_kind:     global_buffer
      - .offset:         24
        .size:           4
        .value_kind:     by_value
      - .offset:         28
        .size:           4
        .value_kind:     by_value
      - .offset:         32
        .size:           4
        .value_kind:     by_value
      - .offset:         40
        .size:           4
        .value_kind:     hidden_block_count_x
      - .offset:         44
        .size:           4
        .value_kind:     hidden_block_count_y
      - .offset:         48
        .size:           4
        .value_kind:     hidden_block_count_z
      - .offset:         52
        .size:           2
        .value_kind:     hidden_group_size_x
      - .offset:         54
        .size:           2
        .value_kind:     hidden_group_size_y
      - .offset:         56
        .size:           2
        .value_kind:     hidden_group_size_z
      - .offset:         58
        .size:           2
        .value_kind:     hidden_remainder_x
      - .offset:         60
        .size:           2
        .value_kind:     hidden_remainder_y
      - .offset:         62
        .size:           2
        .value_kind:     hidden_remainder_z
      - .offset:         80
        .size:           8
        .value_kind:     hidden_global_offset_x
      - .offset:         88
        .size:           8
        .value_kind:     hidden_global_offset_y
      - .offset:         96
        .size:           8
        .value_kind:     hidden_global_offset_z
      - .offset:         104
        .size:           2
        .value_kind:     hidden_grid_dims
    .group_segment_fixed_size: 0
    .kernarg_segment_align: 8
    .kernarg_segment_size: 296
    .language:       OpenCL C
    .language_version:
      - 2
      - 0
    .max_flat_workgroup_size: 1024
    .name:           _ZL13mul_mat_vec_qIN3c108BFloat16ELi256ELi32E10block_q6_KLi1EXadL_ZL17vec_dot_q6_K_q8_1PKvPK10block_q8_1RKiEEEvS4_S4_PT_iii
    .private_segment_fixed_size: 0
    .sgpr_count:     22
    .sgpr_spill_count: 0
    .symbol:         _ZL13mul_mat_vec_qIN3c108BFloat16ELi256ELi32E10block_q6_KLi1EXadL_ZL17vec_dot_q6_K_q8_1PKvPK10block_q8_1RKiEEEvS4_S4_PT_iii.kd
    .uniform_work_group_size: 1
    .uses_dynamic_stack: false
    .vgpr_count:     36
    .vgpr_spill_count: 0
    .wavefront_size: 64
  - .agpr_count:     0
    .args:
      - .actual_access:  read_only
        .address_space:  global
        .offset:         0
        .size:           8
        .value_kind:     global_buffer
      - .actual_access:  read_only
        .address_space:  global
        .offset:         8
        .size:           8
        .value_kind:     global_buffer
      - .actual_access:  write_only
        .address_space:  global
        .offset:         16
        .size:           8
        .value_kind:     global_buffer
      - .offset:         24
        .size:           4
        .value_kind:     by_value
      - .offset:         28
        .size:           4
        .value_kind:     by_value
      - .offset:         32
        .size:           4
        .value_kind:     by_value
      - .offset:         40
        .size:           4
        .value_kind:     hidden_block_count_x
      - .offset:         44
        .size:           4
        .value_kind:     hidden_block_count_y
      - .offset:         48
        .size:           4
        .value_kind:     hidden_block_count_z
      - .offset:         52
        .size:           2
        .value_kind:     hidden_group_size_x
      - .offset:         54
        .size:           2
        .value_kind:     hidden_group_size_y
      - .offset:         56
        .size:           2
        .value_kind:     hidden_group_size_z
      - .offset:         58
        .size:           2
        .value_kind:     hidden_remainder_x
      - .offset:         60
        .size:           2
        .value_kind:     hidden_remainder_y
      - .offset:         62
        .size:           2
        .value_kind:     hidden_remainder_z
      - .offset:         80
        .size:           8
        .value_kind:     hidden_global_offset_x
      - .offset:         88
        .size:           8
        .value_kind:     hidden_global_offset_y
      - .offset:         96
        .size:           8
        .value_kind:     hidden_global_offset_z
      - .offset:         104
        .size:           2
        .value_kind:     hidden_grid_dims
    .group_segment_fixed_size: 0
    .kernarg_segment_align: 8
    .kernarg_segment_size: 296
    .language:       OpenCL C
    .language_version:
      - 2
      - 0
    .max_flat_workgroup_size: 1024
    .name:           _ZL13mul_mat_vec_qIN3c108BFloat16ELi256ELi8E13block_iq2_xxsLi1EXadL_ZL20vec_dot_iq2_xxs_q8_1PKvPK10block_q8_1RKiEEEvS4_S4_PT_iii
    .private_segment_fixed_size: 0
    .sgpr_count:     22
    .sgpr_spill_count: 0
    .symbol:         _ZL13mul_mat_vec_qIN3c108BFloat16ELi256ELi8E13block_iq2_xxsLi1EXadL_ZL20vec_dot_iq2_xxs_q8_1PKvPK10block_q8_1RKiEEEvS4_S4_PT_iii.kd
    .uniform_work_group_size: 1
    .uses_dynamic_stack: false
    .vgpr_count:     31
    .vgpr_spill_count: 0
    .wavefront_size: 64
  - .agpr_count:     0
    .args:
      - .actual_access:  read_only
        .address_space:  global
        .offset:         0
        .size:           8
        .value_kind:     global_buffer
      - .actual_access:  read_only
        .address_space:  global
        .offset:         8
        .size:           8
        .value_kind:     global_buffer
      - .actual_access:  write_only
        .address_space:  global
        .offset:         16
        .size:           8
        .value_kind:     global_buffer
      - .offset:         24
        .size:           4
        .value_kind:     by_value
      - .offset:         28
        .size:           4
        .value_kind:     by_value
      - .offset:         32
        .size:           4
        .value_kind:     by_value
      - .offset:         40
        .size:           4
        .value_kind:     hidden_block_count_x
      - .offset:         44
        .size:           4
        .value_kind:     hidden_block_count_y
      - .offset:         48
        .size:           4
        .value_kind:     hidden_block_count_z
      - .offset:         52
        .size:           2
        .value_kind:     hidden_group_size_x
      - .offset:         54
        .size:           2
        .value_kind:     hidden_group_size_y
      - .offset:         56
        .size:           2
        .value_kind:     hidden_group_size_z
      - .offset:         58
        .size:           2
        .value_kind:     hidden_remainder_x
      - .offset:         60
        .size:           2
        .value_kind:     hidden_remainder_y
      - .offset:         62
        .size:           2
        .value_kind:     hidden_remainder_z
      - .offset:         80
        .size:           8
        .value_kind:     hidden_global_offset_x
      - .offset:         88
        .size:           8
        .value_kind:     hidden_global_offset_y
      - .offset:         96
        .size:           8
        .value_kind:     hidden_global_offset_z
      - .offset:         104
        .size:           2
        .value_kind:     hidden_grid_dims
    .group_segment_fixed_size: 0
    .kernarg_segment_align: 8
    .kernarg_segment_size: 296
    .language:       OpenCL C
    .language_version:
      - 2
      - 0
    .max_flat_workgroup_size: 1024
    .name:           _ZL13mul_mat_vec_qIN3c108BFloat16ELi256ELi8E12block_iq2_xsLi1EXadL_ZL19vec_dot_iq2_xs_q8_1PKvPK10block_q8_1RKiEEEvS4_S4_PT_iii
    .private_segment_fixed_size: 0
    .sgpr_count:     22
    .sgpr_spill_count: 0
    .symbol:         _ZL13mul_mat_vec_qIN3c108BFloat16ELi256ELi8E12block_iq2_xsLi1EXadL_ZL19vec_dot_iq2_xs_q8_1PKvPK10block_q8_1RKiEEEvS4_S4_PT_iii.kd
    .uniform_work_group_size: 1
    .uses_dynamic_stack: false
    .vgpr_count:     39
    .vgpr_spill_count: 0
    .wavefront_size: 64
  - .agpr_count:     0
    .args:
      - .actual_access:  read_only
        .address_space:  global
        .offset:         0
        .size:           8
        .value_kind:     global_buffer
      - .actual_access:  read_only
        .address_space:  global
        .offset:         8
        .size:           8
        .value_kind:     global_buffer
      - .actual_access:  write_only
        .address_space:  global
        .offset:         16
        .size:           8
        .value_kind:     global_buffer
      - .offset:         24
        .size:           4
        .value_kind:     by_value
      - .offset:         28
        .size:           4
        .value_kind:     by_value
      - .offset:         32
        .size:           4
        .value_kind:     by_value
      - .offset:         40
        .size:           4
        .value_kind:     hidden_block_count_x
      - .offset:         44
        .size:           4
        .value_kind:     hidden_block_count_y
      - .offset:         48
        .size:           4
        .value_kind:     hidden_block_count_z
      - .offset:         52
        .size:           2
        .value_kind:     hidden_group_size_x
      - .offset:         54
        .size:           2
        .value_kind:     hidden_group_size_y
      - .offset:         56
        .size:           2
        .value_kind:     hidden_group_size_z
      - .offset:         58
        .size:           2
        .value_kind:     hidden_remainder_x
      - .offset:         60
        .size:           2
        .value_kind:     hidden_remainder_y
      - .offset:         62
        .size:           2
        .value_kind:     hidden_remainder_z
      - .offset:         80
        .size:           8
        .value_kind:     hidden_global_offset_x
      - .offset:         88
        .size:           8
        .value_kind:     hidden_global_offset_y
      - .offset:         96
        .size:           8
        .value_kind:     hidden_global_offset_z
      - .offset:         104
        .size:           2
        .value_kind:     hidden_grid_dims
    .group_segment_fixed_size: 0
    .kernarg_segment_align: 8
    .kernarg_segment_size: 296
    .language:       OpenCL C
    .language_version:
      - 2
      - 0
    .max_flat_workgroup_size: 1024
    .name:           _ZL13mul_mat_vec_qIN3c108BFloat16ELi256ELi8E13block_iq3_xxsLi1EXadL_ZL20vec_dot_iq3_xxs_q8_1PKvPK10block_q8_1RKiEEEvS4_S4_PT_iii
    .private_segment_fixed_size: 0
    .sgpr_count:     24
    .sgpr_spill_count: 0
    .symbol:         _ZL13mul_mat_vec_qIN3c108BFloat16ELi256ELi8E13block_iq3_xxsLi1EXadL_ZL20vec_dot_iq3_xxs_q8_1PKvPK10block_q8_1RKiEEEvS4_S4_PT_iii.kd
    .uniform_work_group_size: 1
    .uses_dynamic_stack: false
    .vgpr_count:     61
    .vgpr_spill_count: 0
    .wavefront_size: 64
  - .agpr_count:     0
    .args:
      - .actual_access:  read_only
        .address_space:  global
        .offset:         0
        .size:           8
        .value_kind:     global_buffer
      - .actual_access:  read_only
        .address_space:  global
        .offset:         8
        .size:           8
        .value_kind:     global_buffer
      - .actual_access:  write_only
        .address_space:  global
        .offset:         16
        .size:           8
        .value_kind:     global_buffer
      - .offset:         24
        .size:           4
        .value_kind:     by_value
      - .offset:         28
        .size:           4
        .value_kind:     by_value
      - .offset:         32
        .size:           4
        .value_kind:     by_value
      - .offset:         40
        .size:           4
        .value_kind:     hidden_block_count_x
      - .offset:         44
        .size:           4
        .value_kind:     hidden_block_count_y
      - .offset:         48
        .size:           4
        .value_kind:     hidden_block_count_z
      - .offset:         52
        .size:           2
        .value_kind:     hidden_group_size_x
      - .offset:         54
        .size:           2
        .value_kind:     hidden_group_size_y
      - .offset:         56
        .size:           2
        .value_kind:     hidden_group_size_z
      - .offset:         58
        .size:           2
        .value_kind:     hidden_remainder_x
      - .offset:         60
        .size:           2
        .value_kind:     hidden_remainder_y
      - .offset:         62
        .size:           2
        .value_kind:     hidden_remainder_z
      - .offset:         80
        .size:           8
        .value_kind:     hidden_global_offset_x
      - .offset:         88
        .size:           8
        .value_kind:     hidden_global_offset_y
      - .offset:         96
        .size:           8
        .value_kind:     hidden_global_offset_z
      - .offset:         104
        .size:           2
        .value_kind:     hidden_grid_dims
    .group_segment_fixed_size: 0
    .kernarg_segment_align: 8
    .kernarg_segment_size: 296
    .language:       OpenCL C
    .language_version:
      - 2
      - 0
    .max_flat_workgroup_size: 1024
    .name:           _ZL13mul_mat_vec_qIN3c108BFloat16ELi256ELi8E11block_iq1_sLi1EXadL_ZL18vec_dot_iq1_s_q8_1PKvPK10block_q8_1RKiEEEvS4_S4_PT_iii
    .private_segment_fixed_size: 0
    .sgpr_count:     20
    .sgpr_spill_count: 0
    .symbol:         _ZL13mul_mat_vec_qIN3c108BFloat16ELi256ELi8E11block_iq1_sLi1EXadL_ZL18vec_dot_iq1_s_q8_1PKvPK10block_q8_1RKiEEEvS4_S4_PT_iii.kd
    .uniform_work_group_size: 1
    .uses_dynamic_stack: false
    .vgpr_count:     35
    .vgpr_spill_count: 0
    .wavefront_size: 64
  - .agpr_count:     0
    .args:
      - .actual_access:  read_only
        .address_space:  global
        .offset:         0
        .size:           8
        .value_kind:     global_buffer
      - .actual_access:  read_only
        .address_space:  global
        .offset:         8
        .size:           8
        .value_kind:     global_buffer
      - .actual_access:  write_only
        .address_space:  global
        .offset:         16
        .size:           8
        .value_kind:     global_buffer
      - .offset:         24
        .size:           4
        .value_kind:     by_value
      - .offset:         28
        .size:           4
        .value_kind:     by_value
      - .offset:         32
        .size:           4
        .value_kind:     by_value
      - .offset:         40
        .size:           4
        .value_kind:     hidden_block_count_x
      - .offset:         44
        .size:           4
        .value_kind:     hidden_block_count_y
      - .offset:         48
        .size:           4
        .value_kind:     hidden_block_count_z
      - .offset:         52
        .size:           2
        .value_kind:     hidden_group_size_x
      - .offset:         54
        .size:           2
        .value_kind:     hidden_group_size_y
      - .offset:         56
        .size:           2
        .value_kind:     hidden_group_size_z
      - .offset:         58
        .size:           2
        .value_kind:     hidden_remainder_x
      - .offset:         60
        .size:           2
        .value_kind:     hidden_remainder_y
      - .offset:         62
        .size:           2
        .value_kind:     hidden_remainder_z
      - .offset:         80
        .size:           8
        .value_kind:     hidden_global_offset_x
      - .offset:         88
        .size:           8
        .value_kind:     hidden_global_offset_y
      - .offset:         96
        .size:           8
        .value_kind:     hidden_global_offset_z
      - .offset:         104
        .size:           2
        .value_kind:     hidden_grid_dims
    .group_segment_fixed_size: 0
    .kernarg_segment_align: 8
    .kernarg_segment_size: 296
    .language:       OpenCL C
    .language_version:
      - 2
      - 0
    .max_flat_workgroup_size: 1024
    .name:           _ZL13mul_mat_vec_qIN3c108BFloat16ELi32ELi4E12block_iq4_nlLi2EXadL_ZL19vec_dot_iq4_nl_q8_1PKvPK10block_q8_1RKiEEEvS4_S4_PT_iii
    .private_segment_fixed_size: 0
    .sgpr_count:     24
    .sgpr_spill_count: 0
    .symbol:         _ZL13mul_mat_vec_qIN3c108BFloat16ELi32ELi4E12block_iq4_nlLi2EXadL_ZL19vec_dot_iq4_nl_q8_1PKvPK10block_q8_1RKiEEEvS4_S4_PT_iii.kd
    .uniform_work_group_size: 1
    .uses_dynamic_stack: false
    .vgpr_count:     47
    .vgpr_spill_count: 0
    .wavefront_size: 64
  - .agpr_count:     0
    .args:
      - .actual_access:  read_only
        .address_space:  global
        .offset:         0
        .size:           8
        .value_kind:     global_buffer
      - .actual_access:  read_only
        .address_space:  global
        .offset:         8
        .size:           8
        .value_kind:     global_buffer
      - .actual_access:  write_only
        .address_space:  global
        .offset:         16
        .size:           8
        .value_kind:     global_buffer
      - .offset:         24
        .size:           4
        .value_kind:     by_value
      - .offset:         28
        .size:           4
        .value_kind:     by_value
      - .offset:         32
        .size:           4
        .value_kind:     by_value
      - .offset:         40
        .size:           4
        .value_kind:     hidden_block_count_x
      - .offset:         44
        .size:           4
        .value_kind:     hidden_block_count_y
      - .offset:         48
        .size:           4
        .value_kind:     hidden_block_count_z
      - .offset:         52
        .size:           2
        .value_kind:     hidden_group_size_x
      - .offset:         54
        .size:           2
        .value_kind:     hidden_group_size_y
      - .offset:         56
        .size:           2
        .value_kind:     hidden_group_size_z
      - .offset:         58
        .size:           2
        .value_kind:     hidden_remainder_x
      - .offset:         60
        .size:           2
        .value_kind:     hidden_remainder_y
      - .offset:         62
        .size:           2
        .value_kind:     hidden_remainder_z
      - .offset:         80
        .size:           8
        .value_kind:     hidden_global_offset_x
      - .offset:         88
        .size:           8
        .value_kind:     hidden_global_offset_y
      - .offset:         96
        .size:           8
        .value_kind:     hidden_global_offset_z
      - .offset:         104
        .size:           2
        .value_kind:     hidden_grid_dims
    .group_segment_fixed_size: 0
    .kernarg_segment_align: 8
    .kernarg_segment_size: 296
    .language:       OpenCL C
    .language_version:
      - 2
      - 0
    .max_flat_workgroup_size: 1024
    .name:           _ZL13mul_mat_vec_qIN3c108BFloat16ELi256ELi8E11block_iq3_sLi1EXadL_ZL18vec_dot_iq3_s_q8_1PKvPK10block_q8_1RKiEEEvS4_S4_PT_iii
    .private_segment_fixed_size: 0
    .sgpr_count:     28
    .sgpr_spill_count: 0
    .symbol:         _ZL13mul_mat_vec_qIN3c108BFloat16ELi256ELi8E11block_iq3_sLi1EXadL_ZL18vec_dot_iq3_s_q8_1PKvPK10block_q8_1RKiEEEvS4_S4_PT_iii.kd
    .uniform_work_group_size: 1
    .uses_dynamic_stack: false
    .vgpr_count:     48
    .vgpr_spill_count: 0
    .wavefront_size: 64
  - .agpr_count:     0
    .args:
      - .actual_access:  read_only
        .address_space:  global
        .offset:         0
        .size:           8
        .value_kind:     global_buffer
      - .actual_access:  read_only
        .address_space:  global
        .offset:         8
        .size:           8
        .value_kind:     global_buffer
      - .actual_access:  write_only
        .address_space:  global
        .offset:         16
        .size:           8
        .value_kind:     global_buffer
      - .offset:         24
        .size:           4
        .value_kind:     by_value
      - .offset:         28
        .size:           4
        .value_kind:     by_value
      - .offset:         32
        .size:           4
        .value_kind:     by_value
      - .offset:         40
        .size:           4
        .value_kind:     hidden_block_count_x
      - .offset:         44
        .size:           4
        .value_kind:     hidden_block_count_y
      - .offset:         48
        .size:           4
        .value_kind:     hidden_block_count_z
      - .offset:         52
        .size:           2
        .value_kind:     hidden_group_size_x
      - .offset:         54
        .size:           2
        .value_kind:     hidden_group_size_y
      - .offset:         56
        .size:           2
        .value_kind:     hidden_group_size_z
      - .offset:         58
        .size:           2
        .value_kind:     hidden_remainder_x
      - .offset:         60
        .size:           2
        .value_kind:     hidden_remainder_y
      - .offset:         62
        .size:           2
        .value_kind:     hidden_remainder_z
      - .offset:         80
        .size:           8
        .value_kind:     hidden_global_offset_x
      - .offset:         88
        .size:           8
        .value_kind:     hidden_global_offset_y
      - .offset:         96
        .size:           8
        .value_kind:     hidden_global_offset_z
      - .offset:         104
        .size:           2
        .value_kind:     hidden_grid_dims
    .group_segment_fixed_size: 0
    .kernarg_segment_align: 8
    .kernarg_segment_size: 296
    .language:       OpenCL C
    .language_version:
      - 2
      - 0
    .max_flat_workgroup_size: 1024
    .name:           _ZL13mul_mat_vec_qIN3c108BFloat16ELi256ELi8E11block_iq2_sLi1EXadL_ZL18vec_dot_iq2_s_q8_1PKvPK10block_q8_1RKiEEEvS4_S4_PT_iii
    .private_segment_fixed_size: 0
    .sgpr_count:     28
    .sgpr_spill_count: 0
    .symbol:         _ZL13mul_mat_vec_qIN3c108BFloat16ELi256ELi8E11block_iq2_sLi1EXadL_ZL18vec_dot_iq2_s_q8_1PKvPK10block_q8_1RKiEEEvS4_S4_PT_iii.kd
    .uniform_work_group_size: 1
    .uses_dynamic_stack: false
    .vgpr_count:     64
    .vgpr_spill_count: 0
    .wavefront_size: 64
  - .agpr_count:     0
    .args:
      - .actual_access:  read_only
        .address_space:  global
        .offset:         0
        .size:           8
        .value_kind:     global_buffer
      - .actual_access:  read_only
        .address_space:  global
        .offset:         8
        .size:           8
        .value_kind:     global_buffer
      - .actual_access:  write_only
        .address_space:  global
        .offset:         16
        .size:           8
        .value_kind:     global_buffer
      - .offset:         24
        .size:           4
        .value_kind:     by_value
      - .offset:         28
        .size:           4
        .value_kind:     by_value
      - .offset:         32
        .size:           4
        .value_kind:     by_value
      - .offset:         40
        .size:           4
        .value_kind:     hidden_block_count_x
      - .offset:         44
        .size:           4
        .value_kind:     hidden_block_count_y
      - .offset:         48
        .size:           4
        .value_kind:     hidden_block_count_z
      - .offset:         52
        .size:           2
        .value_kind:     hidden_group_size_x
      - .offset:         54
        .size:           2
        .value_kind:     hidden_group_size_y
      - .offset:         56
        .size:           2
        .value_kind:     hidden_group_size_z
      - .offset:         58
        .size:           2
        .value_kind:     hidden_remainder_x
      - .offset:         60
        .size:           2
        .value_kind:     hidden_remainder_y
      - .offset:         62
        .size:           2
        .value_kind:     hidden_remainder_z
      - .offset:         80
        .size:           8
        .value_kind:     hidden_global_offset_x
      - .offset:         88
        .size:           8
        .value_kind:     hidden_global_offset_y
      - .offset:         96
        .size:           8
        .value_kind:     hidden_global_offset_z
      - .offset:         104
        .size:           2
        .value_kind:     hidden_grid_dims
    .group_segment_fixed_size: 0
    .kernarg_segment_align: 8
    .kernarg_segment_size: 296
    .language:       OpenCL C
    .language_version:
      - 2
      - 0
    .max_flat_workgroup_size: 1024
    .name:           _ZL13mul_mat_vec_qIN3c108BFloat16ELi256ELi8E12block_iq4_xsLi1EXadL_ZL19vec_dot_iq4_xs_q8_1PKvPK10block_q8_1RKiEEEvS4_S4_PT_iii
    .private_segment_fixed_size: 0
    .sgpr_count:     22
    .sgpr_spill_count: 0
    .symbol:         _ZL13mul_mat_vec_qIN3c108BFloat16ELi256ELi8E12block_iq4_xsLi1EXadL_ZL19vec_dot_iq4_xs_q8_1PKvPK10block_q8_1RKiEEEvS4_S4_PT_iii.kd
    .uniform_work_group_size: 1
    .uses_dynamic_stack: false
    .vgpr_count:     64
    .vgpr_spill_count: 0
    .wavefront_size: 64
  - .agpr_count:     0
    .args:
      - .actual_access:  read_only
        .address_space:  global
        .offset:         0
        .size:           8
        .value_kind:     global_buffer
      - .actual_access:  read_only
        .address_space:  global
        .offset:         8
        .size:           8
        .value_kind:     global_buffer
      - .actual_access:  write_only
        .address_space:  global
        .offset:         16
        .size:           8
        .value_kind:     global_buffer
      - .offset:         24
        .size:           4
        .value_kind:     by_value
      - .offset:         28
        .size:           4
        .value_kind:     by_value
      - .offset:         32
        .size:           4
        .value_kind:     by_value
      - .offset:         40
        .size:           4
        .value_kind:     hidden_block_count_x
      - .offset:         44
        .size:           4
        .value_kind:     hidden_block_count_y
      - .offset:         48
        .size:           4
        .value_kind:     hidden_block_count_z
      - .offset:         52
        .size:           2
        .value_kind:     hidden_group_size_x
      - .offset:         54
        .size:           2
        .value_kind:     hidden_group_size_y
      - .offset:         56
        .size:           2
        .value_kind:     hidden_group_size_z
      - .offset:         58
        .size:           2
        .value_kind:     hidden_remainder_x
      - .offset:         60
        .size:           2
        .value_kind:     hidden_remainder_y
      - .offset:         62
        .size:           2
        .value_kind:     hidden_remainder_z
      - .offset:         80
        .size:           8
        .value_kind:     hidden_global_offset_x
      - .offset:         88
        .size:           8
        .value_kind:     hidden_global_offset_y
      - .offset:         96
        .size:           8
        .value_kind:     hidden_global_offset_z
      - .offset:         104
        .size:           2
        .value_kind:     hidden_grid_dims
    .group_segment_fixed_size: 0
    .kernarg_segment_align: 8
    .kernarg_segment_size: 296
    .language:       OpenCL C
    .language_version:
      - 2
      - 0
    .max_flat_workgroup_size: 1024
    .name:           _ZL13mul_mat_vec_qIN3c108BFloat16ELi256ELi8E11block_iq1_mLi1EXadL_ZL18vec_dot_iq1_m_q8_1PKvPK10block_q8_1RKiEEEvS4_S4_PT_iii
    .private_segment_fixed_size: 0
    .sgpr_count:     23
    .sgpr_spill_count: 0
    .symbol:         _ZL13mul_mat_vec_qIN3c108BFloat16ELi256ELi8E11block_iq1_mLi1EXadL_ZL18vec_dot_iq1_m_q8_1PKvPK10block_q8_1RKiEEEvS4_S4_PT_iii.kd
    .uniform_work_group_size: 1
    .uses_dynamic_stack: false
    .vgpr_count:     49
    .vgpr_spill_count: 0
    .wavefront_size: 64
  - .agpr_count:     0
    .args:
      - .actual_access:  read_only
        .address_space:  global
        .offset:         0
        .size:           8
        .value_kind:     global_buffer
      - .actual_access:  read_only
        .address_space:  global
        .offset:         8
        .size:           8
        .value_kind:     global_buffer
      - .actual_access:  write_only
        .address_space:  global
        .offset:         16
        .size:           8
        .value_kind:     global_buffer
      - .offset:         24
        .size:           4
        .value_kind:     by_value
      - .offset:         28
        .size:           4
        .value_kind:     by_value
      - .offset:         32
        .size:           4
        .value_kind:     by_value
      - .offset:         36
        .size:           4
        .value_kind:     by_value
      - .offset:         40
        .size:           4
        .value_kind:     by_value
    .group_segment_fixed_size: 30336
    .kernarg_segment_align: 8
    .kernarg_segment_size: 44
    .language:       OpenCL C
    .language_version:
      - 2
      - 0
    .max_flat_workgroup_size: 256
    .name:           _ZL12mul_mat_q4_0IfLb0EEvPKvS1_PT_iiiii
    .private_segment_fixed_size: 0
    .sgpr_count:     24
    .sgpr_spill_count: 0
    .symbol:         _ZL12mul_mat_q4_0IfLb0EEvPKvS1_PT_iiiii.kd
    .uniform_work_group_size: 1
    .uses_dynamic_stack: false
    .vgpr_count:     243
    .vgpr_spill_count: 0
    .wavefront_size: 64
  - .agpr_count:     0
    .args:
      - .actual_access:  read_only
        .address_space:  global
        .offset:         0
        .size:           8
        .value_kind:     global_buffer
      - .actual_access:  read_only
        .address_space:  global
        .offset:         8
        .size:           8
        .value_kind:     global_buffer
      - .actual_access:  write_only
        .address_space:  global
        .offset:         16
        .size:           8
        .value_kind:     global_buffer
      - .offset:         24
        .size:           4
        .value_kind:     by_value
      - .offset:         28
        .size:           4
        .value_kind:     by_value
      - .offset:         32
        .size:           4
        .value_kind:     by_value
      - .offset:         36
        .size:           4
        .value_kind:     by_value
      - .offset:         40
        .size:           4
        .value_kind:     by_value
    .group_segment_fixed_size: 30336
    .kernarg_segment_align: 8
    .kernarg_segment_size: 44
    .language:       OpenCL C
    .language_version:
      - 2
      - 0
    .max_flat_workgroup_size: 256
    .name:           _ZL12mul_mat_q4_0IfLb1EEvPKvS1_PT_iiiii
    .private_segment_fixed_size: 0
    .sgpr_count:     24
    .sgpr_spill_count: 0
    .symbol:         _ZL12mul_mat_q4_0IfLb1EEvPKvS1_PT_iiiii.kd
    .uniform_work_group_size: 1
    .uses_dynamic_stack: false
    .vgpr_count:     243
    .vgpr_spill_count: 0
    .wavefront_size: 64
  - .agpr_count:     0
    .args:
      - .actual_access:  read_only
        .address_space:  global
        .offset:         0
        .size:           8
        .value_kind:     global_buffer
      - .actual_access:  read_only
        .address_space:  global
        .offset:         8
        .size:           8
        .value_kind:     global_buffer
      - .actual_access:  write_only
        .address_space:  global
        .offset:         16
        .size:           8
        .value_kind:     global_buffer
      - .offset:         24
        .size:           4
        .value_kind:     by_value
      - .offset:         28
        .size:           4
        .value_kind:     by_value
      - .offset:         32
        .size:           4
        .value_kind:     by_value
      - .offset:         36
        .size:           4
        .value_kind:     by_value
      - .offset:         40
        .size:           4
        .value_kind:     by_value
    .group_segment_fixed_size: 30336
    .kernarg_segment_align: 8
    .kernarg_segment_size: 44
    .language:       OpenCL C
    .language_version:
      - 2
      - 0
    .max_flat_workgroup_size: 256
    .name:           _ZL12mul_mat_q4_1IfLb0EEvPKvS1_PT_iiiii
    .private_segment_fixed_size: 0
    .sgpr_count:     25
    .sgpr_spill_count: 0
    .symbol:         _ZL12mul_mat_q4_1IfLb0EEvPKvS1_PT_iiiii.kd
    .uniform_work_group_size: 1
    .uses_dynamic_stack: false
    .vgpr_count:     251
    .vgpr_spill_count: 0
    .wavefront_size: 64
  - .agpr_count:     0
    .args:
      - .actual_access:  read_only
        .address_space:  global
        .offset:         0
        .size:           8
        .value_kind:     global_buffer
      - .actual_access:  read_only
        .address_space:  global
        .offset:         8
        .size:           8
        .value_kind:     global_buffer
      - .actual_access:  write_only
        .address_space:  global
        .offset:         16
        .size:           8
        .value_kind:     global_buffer
      - .offset:         24
        .size:           4
        .value_kind:     by_value
      - .offset:         28
        .size:           4
        .value_kind:     by_value
      - .offset:         32
        .size:           4
        .value_kind:     by_value
      - .offset:         36
        .size:           4
        .value_kind:     by_value
      - .offset:         40
        .size:           4
        .value_kind:     by_value
    .group_segment_fixed_size: 30336
    .kernarg_segment_align: 8
    .kernarg_segment_size: 44
    .language:       OpenCL C
    .language_version:
      - 2
      - 0
    .max_flat_workgroup_size: 256
    .name:           _ZL12mul_mat_q4_1IfLb1EEvPKvS1_PT_iiiii
    .private_segment_fixed_size: 0
    .sgpr_count:     24
    .sgpr_spill_count: 0
    .symbol:         _ZL12mul_mat_q4_1IfLb1EEvPKvS1_PT_iiiii.kd
    .uniform_work_group_size: 1
    .uses_dynamic_stack: false
    .vgpr_count:     251
    .vgpr_spill_count: 0
    .wavefront_size: 64
  - .agpr_count:     0
    .args:
      - .actual_access:  read_only
        .address_space:  global
        .offset:         0
        .size:           8
        .value_kind:     global_buffer
      - .actual_access:  read_only
        .address_space:  global
        .offset:         8
        .size:           8
        .value_kind:     global_buffer
      - .actual_access:  write_only
        .address_space:  global
        .offset:         16
        .size:           8
        .value_kind:     global_buffer
      - .offset:         24
        .size:           4
        .value_kind:     by_value
      - .offset:         28
        .size:           4
        .value_kind:     by_value
      - .offset:         32
        .size:           4
        .value_kind:     by_value
      - .offset:         36
        .size:           4
        .value_kind:     by_value
      - .offset:         40
        .size:           4
        .value_kind:     by_value
    .group_segment_fixed_size: 46720
    .kernarg_segment_align: 8
    .kernarg_segment_size: 44
    .language:       OpenCL C
    .language_version:
      - 2
      - 0
    .max_flat_workgroup_size: 256
    .name:           _ZL12mul_mat_q5_0IfLb0EEvPKvS1_PT_iiiii
    .private_segment_fixed_size: 0
    .sgpr_count:     26
    .sgpr_spill_count: 0
    .symbol:         _ZL12mul_mat_q5_0IfLb0EEvPKvS1_PT_iiiii.kd
    .uniform_work_group_size: 1
    .uses_dynamic_stack: false
    .vgpr_count:     247
    .vgpr_spill_count: 0
    .wavefront_size: 64
  - .agpr_count:     0
    .args:
      - .actual_access:  read_only
        .address_space:  global
        .offset:         0
        .size:           8
        .value_kind:     global_buffer
      - .actual_access:  read_only
        .address_space:  global
        .offset:         8
        .size:           8
        .value_kind:     global_buffer
      - .actual_access:  write_only
        .address_space:  global
        .offset:         16
        .size:           8
        .value_kind:     global_buffer
      - .offset:         24
        .size:           4
        .value_kind:     by_value
      - .offset:         28
        .size:           4
        .value_kind:     by_value
      - .offset:         32
        .size:           4
        .value_kind:     by_value
      - .offset:         36
        .size:           4
        .value_kind:     by_value
      - .offset:         40
        .size:           4
        .value_kind:     by_value
    .group_segment_fixed_size: 46720
    .kernarg_segment_align: 8
    .kernarg_segment_size: 44
    .language:       OpenCL C
    .language_version:
      - 2
      - 0
    .max_flat_workgroup_size: 256
    .name:           _ZL12mul_mat_q5_0IfLb1EEvPKvS1_PT_iiiii
    .private_segment_fixed_size: 0
    .sgpr_count:     26
    .sgpr_spill_count: 0
    .symbol:         _ZL12mul_mat_q5_0IfLb1EEvPKvS1_PT_iiiii.kd
    .uniform_work_group_size: 1
    .uses_dynamic_stack: false
    .vgpr_count:     247
    .vgpr_spill_count: 0
    .wavefront_size: 64
  - .agpr_count:     0
    .args:
      - .actual_access:  read_only
        .address_space:  global
        .offset:         0
        .size:           8
        .value_kind:     global_buffer
      - .actual_access:  read_only
        .address_space:  global
        .offset:         8
        .size:           8
        .value_kind:     global_buffer
      - .actual_access:  write_only
        .address_space:  global
        .offset:         16
        .size:           8
        .value_kind:     global_buffer
      - .offset:         24
        .size:           4
        .value_kind:     by_value
      - .offset:         28
        .size:           4
        .value_kind:     by_value
      - .offset:         32
        .size:           4
        .value_kind:     by_value
      - .offset:         36
        .size:           4
        .value_kind:     by_value
      - .offset:         40
        .size:           4
        .value_kind:     by_value
    .group_segment_fixed_size: 46720
    .kernarg_segment_align: 8
    .kernarg_segment_size: 44
    .language:       OpenCL C
    .language_version:
      - 2
      - 0
    .max_flat_workgroup_size: 256
    .name:           _ZL12mul_mat_q5_1IfLb0EEvPKvS1_PT_iiiii
    .private_segment_fixed_size: 0
    .sgpr_count:     24
    .sgpr_spill_count: 0
    .symbol:         _ZL12mul_mat_q5_1IfLb0EEvPKvS1_PT_iiiii.kd
    .uniform_work_group_size: 1
    .uses_dynamic_stack: false
    .vgpr_count:     246
    .vgpr_spill_count: 0
    .wavefront_size: 64
  - .agpr_count:     0
    .args:
      - .actual_access:  read_only
        .address_space:  global
        .offset:         0
        .size:           8
        .value_kind:     global_buffer
      - .actual_access:  read_only
        .address_space:  global
        .offset:         8
        .size:           8
        .value_kind:     global_buffer
      - .actual_access:  write_only
        .address_space:  global
        .offset:         16
        .size:           8
        .value_kind:     global_buffer
      - .offset:         24
        .size:           4
        .value_kind:     by_value
      - .offset:         28
        .size:           4
        .value_kind:     by_value
      - .offset:         32
        .size:           4
        .value_kind:     by_value
      - .offset:         36
        .size:           4
        .value_kind:     by_value
      - .offset:         40
        .size:           4
        .value_kind:     by_value
    .group_segment_fixed_size: 46720
    .kernarg_segment_align: 8
    .kernarg_segment_size: 44
    .language:       OpenCL C
    .language_version:
      - 2
      - 0
    .max_flat_workgroup_size: 256
    .name:           _ZL12mul_mat_q5_1IfLb1EEvPKvS1_PT_iiiii
    .private_segment_fixed_size: 0
    .sgpr_count:     24
    .sgpr_spill_count: 0
    .symbol:         _ZL12mul_mat_q5_1IfLb1EEvPKvS1_PT_iiiii.kd
    .uniform_work_group_size: 1
    .uses_dynamic_stack: false
    .vgpr_count:     246
    .vgpr_spill_count: 0
    .wavefront_size: 64
  - .agpr_count:     0
    .args:
      - .actual_access:  read_only
        .address_space:  global
        .offset:         0
        .size:           8
        .value_kind:     global_buffer
      - .actual_access:  read_only
        .address_space:  global
        .offset:         8
        .size:           8
        .value_kind:     global_buffer
      - .actual_access:  write_only
        .address_space:  global
        .offset:         16
        .size:           8
        .value_kind:     global_buffer
      - .offset:         24
        .size:           4
        .value_kind:     by_value
      - .offset:         28
        .size:           4
        .value_kind:     by_value
      - .offset:         32
        .size:           4
        .value_kind:     by_value
      - .offset:         36
        .size:           4
        .value_kind:     by_value
      - .offset:         40
        .size:           4
        .value_kind:     by_value
    .group_segment_fixed_size: 28224
    .kernarg_segment_align: 8
    .kernarg_segment_size: 44
    .language:       OpenCL C
    .language_version:
      - 2
      - 0
    .max_flat_workgroup_size: 256
    .name:           _ZL12mul_mat_q8_0IfLb0EEvPKvS1_PT_iiiii
    .private_segment_fixed_size: 0
    .sgpr_count:     22
    .sgpr_spill_count: 0
    .symbol:         _ZL12mul_mat_q8_0IfLb0EEvPKvS1_PT_iiiii.kd
    .uniform_work_group_size: 1
    .uses_dynamic_stack: false
    .vgpr_count:     162
    .vgpr_spill_count: 0
    .wavefront_size: 64
  - .agpr_count:     0
    .args:
      - .actual_access:  read_only
        .address_space:  global
        .offset:         0
        .size:           8
        .value_kind:     global_buffer
      - .actual_access:  read_only
        .address_space:  global
        .offset:         8
        .size:           8
        .value_kind:     global_buffer
      - .actual_access:  write_only
        .address_space:  global
        .offset:         16
        .size:           8
        .value_kind:     global_buffer
      - .offset:         24
        .size:           4
        .value_kind:     by_value
      - .offset:         28
        .size:           4
        .value_kind:     by_value
      - .offset:         32
        .size:           4
        .value_kind:     by_value
      - .offset:         36
        .size:           4
        .value_kind:     by_value
      - .offset:         40
        .size:           4
        .value_kind:     by_value
    .group_segment_fixed_size: 28224
    .kernarg_segment_align: 8
    .kernarg_segment_size: 44
    .language:       OpenCL C
    .language_version:
      - 2
      - 0
    .max_flat_workgroup_size: 256
    .name:           _ZL12mul_mat_q8_0IfLb1EEvPKvS1_PT_iiiii
    .private_segment_fixed_size: 0
    .sgpr_count:     24
    .sgpr_spill_count: 0
    .symbol:         _ZL12mul_mat_q8_0IfLb1EEvPKvS1_PT_iiiii.kd
    .uniform_work_group_size: 1
    .uses_dynamic_stack: false
    .vgpr_count:     164
    .vgpr_spill_count: 0
    .wavefront_size: 64
  - .agpr_count:     0
    .args:
      - .actual_access:  read_only
        .address_space:  global
        .offset:         0
        .size:           8
        .value_kind:     global_buffer
      - .actual_access:  read_only
        .address_space:  global
        .offset:         8
        .size:           8
        .value_kind:     global_buffer
      - .actual_access:  write_only
        .address_space:  global
        .offset:         16
        .size:           8
        .value_kind:     global_buffer
      - .offset:         24
        .size:           4
        .value_kind:     by_value
      - .offset:         28
        .size:           4
        .value_kind:     by_value
      - .offset:         32
        .size:           4
        .value_kind:     by_value
      - .offset:         36
        .size:           4
        .value_kind:     by_value
      - .offset:         40
        .size:           4
        .value_kind:     by_value
    .group_segment_fixed_size: 31392
    .kernarg_segment_align: 8
    .kernarg_segment_size: 44
    .language:       OpenCL C
    .language_version:
      - 2
      - 0
    .max_flat_workgroup_size: 256
    .name:           _ZL12mul_mat_q2_KIfLb0EEvPKvS1_PT_iiiii
    .private_segment_fixed_size: 0
    .sgpr_count:     25
    .sgpr_spill_count: 0
    .symbol:         _ZL12mul_mat_q2_KIfLb0EEvPKvS1_PT_iiiii.kd
    .uniform_work_group_size: 1
    .uses_dynamic_stack: false
    .vgpr_count:     215
    .vgpr_spill_count: 0
    .wavefront_size: 64
  - .agpr_count:     0
    .args:
      - .actual_access:  read_only
        .address_space:  global
        .offset:         0
        .size:           8
        .value_kind:     global_buffer
      - .actual_access:  read_only
        .address_space:  global
        .offset:         8
        .size:           8
        .value_kind:     global_buffer
      - .actual_access:  write_only
        .address_space:  global
        .offset:         16
        .size:           8
        .value_kind:     global_buffer
      - .offset:         24
        .size:           4
        .value_kind:     by_value
      - .offset:         28
        .size:           4
        .value_kind:     by_value
      - .offset:         32
        .size:           4
        .value_kind:     by_value
      - .offset:         36
        .size:           4
        .value_kind:     by_value
      - .offset:         40
        .size:           4
        .value_kind:     by_value
    .group_segment_fixed_size: 31392
    .kernarg_segment_align: 8
    .kernarg_segment_size: 44
    .language:       OpenCL C
    .language_version:
      - 2
      - 0
    .max_flat_workgroup_size: 256
    .name:           _ZL12mul_mat_q2_KIfLb1EEvPKvS1_PT_iiiii
    .private_segment_fixed_size: 0
    .sgpr_count:     25
    .sgpr_spill_count: 0
    .symbol:         _ZL12mul_mat_q2_KIfLb1EEvPKvS1_PT_iiiii.kd
    .uniform_work_group_size: 1
    .uses_dynamic_stack: false
    .vgpr_count:     215
    .vgpr_spill_count: 0
    .wavefront_size: 64
  - .agpr_count:     0
    .args:
      - .actual_access:  read_only
        .address_space:  global
        .offset:         0
        .size:           8
        .value_kind:     global_buffer
      - .actual_access:  read_only
        .address_space:  global
        .offset:         8
        .size:           8
        .value_kind:     global_buffer
      - .actual_access:  write_only
        .address_space:  global
        .offset:         16
        .size:           8
        .value_kind:     global_buffer
      - .offset:         24
        .size:           4
        .value_kind:     by_value
      - .offset:         28
        .size:           4
        .value_kind:     by_value
      - .offset:         32
        .size:           4
        .value_kind:     by_value
      - .offset:         36
        .size:           4
        .value_kind:     by_value
      - .offset:         40
        .size:           4
        .value_kind:     by_value
    .group_segment_fixed_size: 39840
    .kernarg_segment_align: 8
    .kernarg_segment_size: 44
    .language:       OpenCL C
    .language_version:
      - 2
      - 0
    .max_flat_workgroup_size: 256
    .name:           _ZL12mul_mat_q3_KIfLb0EEvPKvS1_PT_iiiii
    .private_segment_fixed_size: 0
    .sgpr_count:     32
    .sgpr_spill_count: 0
    .symbol:         _ZL12mul_mat_q3_KIfLb0EEvPKvS1_PT_iiiii.kd
    .uniform_work_group_size: 1
    .uses_dynamic_stack: false
    .vgpr_count:     246
    .vgpr_spill_count: 0
    .wavefront_size: 64
  - .agpr_count:     0
    .args:
      - .actual_access:  read_only
        .address_space:  global
        .offset:         0
        .size:           8
        .value_kind:     global_buffer
      - .actual_access:  read_only
        .address_space:  global
        .offset:         8
        .size:           8
        .value_kind:     global_buffer
      - .actual_access:  write_only
        .address_space:  global
        .offset:         16
        .size:           8
        .value_kind:     global_buffer
      - .offset:         24
        .size:           4
        .value_kind:     by_value
      - .offset:         28
        .size:           4
        .value_kind:     by_value
      - .offset:         32
        .size:           4
        .value_kind:     by_value
      - .offset:         36
        .size:           4
        .value_kind:     by_value
      - .offset:         40
        .size:           4
        .value_kind:     by_value
    .group_segment_fixed_size: 39840
    .kernarg_segment_align: 8
    .kernarg_segment_size: 44
    .language:       OpenCL C
    .language_version:
      - 2
      - 0
    .max_flat_workgroup_size: 256
    .name:           _ZL12mul_mat_q3_KIfLb1EEvPKvS1_PT_iiiii
    .private_segment_fixed_size: 0
    .sgpr_count:     32
    .sgpr_spill_count: 0
    .symbol:         _ZL12mul_mat_q3_KIfLb1EEvPKvS1_PT_iiiii.kd
    .uniform_work_group_size: 1
    .uses_dynamic_stack: false
    .vgpr_count:     250
    .vgpr_spill_count: 0
    .wavefront_size: 64
  - .agpr_count:     0
    .args:
      - .actual_access:  read_only
        .address_space:  global
        .offset:         0
        .size:           8
        .value_kind:     global_buffer
      - .actual_access:  read_only
        .address_space:  global
        .offset:         8
        .size:           8
        .value_kind:     global_buffer
      - .actual_access:  write_only
        .address_space:  global
        .offset:         16
        .size:           8
        .value_kind:     global_buffer
      - .offset:         24
        .size:           4
        .value_kind:     by_value
      - .offset:         28
        .size:           4
        .value_kind:     by_value
      - .offset:         32
        .size:           4
        .value_kind:     by_value
      - .offset:         36
        .size:           4
        .value_kind:     by_value
      - .offset:         40
        .size:           4
        .value_kind:     by_value
    .group_segment_fixed_size: 28752
    .kernarg_segment_align: 8
    .kernarg_segment_size: 44
    .language:       OpenCL C
    .language_version:
      - 2
      - 0
    .max_flat_workgroup_size: 256
    .name:           _ZL12mul_mat_q4_KIfLb0EEvPKvS1_PT_iiiii
    .private_segment_fixed_size: 0
    .sgpr_count:     26
    .sgpr_spill_count: 0
    .symbol:         _ZL12mul_mat_q4_KIfLb0EEvPKvS1_PT_iiiii.kd
    .uniform_work_group_size: 1
    .uses_dynamic_stack: false
    .vgpr_count:     256
    .vgpr_spill_count: 0
    .wavefront_size: 64
  - .agpr_count:     0
    .args:
      - .actual_access:  read_only
        .address_space:  global
        .offset:         0
        .size:           8
        .value_kind:     global_buffer
      - .actual_access:  read_only
        .address_space:  global
        .offset:         8
        .size:           8
        .value_kind:     global_buffer
      - .actual_access:  write_only
        .address_space:  global
        .offset:         16
        .size:           8
        .value_kind:     global_buffer
      - .offset:         24
        .size:           4
        .value_kind:     by_value
      - .offset:         28
        .size:           4
        .value_kind:     by_value
      - .offset:         32
        .size:           4
        .value_kind:     by_value
      - .offset:         36
        .size:           4
        .value_kind:     by_value
      - .offset:         40
        .size:           4
        .value_kind:     by_value
    .group_segment_fixed_size: 28752
    .kernarg_segment_align: 8
    .kernarg_segment_size: 44
    .language:       OpenCL C
    .language_version:
      - 2
      - 0
    .max_flat_workgroup_size: 256
    .name:           _ZL12mul_mat_q4_KIfLb1EEvPKvS1_PT_iiiii
    .private_segment_fixed_size: 92
    .sgpr_count:     26
    .sgpr_spill_count: 0
    .symbol:         _ZL12mul_mat_q4_KIfLb1EEvPKvS1_PT_iiiii.kd
    .uniform_work_group_size: 1
    .uses_dynamic_stack: false
    .vgpr_count:     256
    .vgpr_spill_count: 22
    .wavefront_size: 64
  - .agpr_count:     0
    .args:
      - .actual_access:  read_only
        .address_space:  global
        .offset:         0
        .size:           8
        .value_kind:     global_buffer
      - .actual_access:  read_only
        .address_space:  global
        .offset:         8
        .size:           8
        .value_kind:     global_buffer
      - .actual_access:  write_only
        .address_space:  global
        .offset:         16
        .size:           8
        .value_kind:     global_buffer
      - .offset:         24
        .size:           4
        .value_kind:     by_value
      - .offset:         28
        .size:           4
        .value_kind:     by_value
      - .offset:         32
        .size:           4
        .value_kind:     by_value
      - .offset:         36
        .size:           4
        .value_kind:     by_value
      - .offset:         40
        .size:           4
        .value_kind:     by_value
    .group_segment_fixed_size: 45136
    .kernarg_segment_align: 8
    .kernarg_segment_size: 44
    .language:       OpenCL C
    .language_version:
      - 2
      - 0
    .max_flat_workgroup_size: 256
    .name:           _ZL12mul_mat_q5_KIfLb0EEvPKvS1_PT_iiiii
    .private_segment_fixed_size: 0
    .sgpr_count:     27
    .sgpr_spill_count: 0
    .symbol:         _ZL12mul_mat_q5_KIfLb0EEvPKvS1_PT_iiiii.kd
    .uniform_work_group_size: 1
    .uses_dynamic_stack: false
    .vgpr_count:     255
    .vgpr_spill_count: 0
    .wavefront_size: 64
  - .agpr_count:     0
    .args:
      - .actual_access:  read_only
        .address_space:  global
        .offset:         0
        .size:           8
        .value_kind:     global_buffer
      - .actual_access:  read_only
        .address_space:  global
        .offset:         8
        .size:           8
        .value_kind:     global_buffer
      - .actual_access:  write_only
        .address_space:  global
        .offset:         16
        .size:           8
        .value_kind:     global_buffer
      - .offset:         24
        .size:           4
        .value_kind:     by_value
      - .offset:         28
        .size:           4
        .value_kind:     by_value
      - .offset:         32
        .size:           4
        .value_kind:     by_value
      - .offset:         36
        .size:           4
        .value_kind:     by_value
      - .offset:         40
        .size:           4
        .value_kind:     by_value
    .group_segment_fixed_size: 45136
    .kernarg_segment_align: 8
    .kernarg_segment_size: 44
    .language:       OpenCL C
    .language_version:
      - 2
      - 0
    .max_flat_workgroup_size: 256
    .name:           _ZL12mul_mat_q5_KIfLb1EEvPKvS1_PT_iiiii
    .private_segment_fixed_size: 112
    .sgpr_count:     27
    .sgpr_spill_count: 0
    .symbol:         _ZL12mul_mat_q5_KIfLb1EEvPKvS1_PT_iiiii.kd
    .uniform_work_group_size: 1
    .uses_dynamic_stack: false
    .vgpr_count:     256
    .vgpr_spill_count: 27
    .wavefront_size: 64
  - .agpr_count:     0
    .args:
      - .actual_access:  read_only
        .address_space:  global
        .offset:         0
        .size:           8
        .value_kind:     global_buffer
      - .actual_access:  read_only
        .address_space:  global
        .offset:         8
        .size:           8
        .value_kind:     global_buffer
      - .actual_access:  write_only
        .address_space:  global
        .offset:         16
        .size:           8
        .value_kind:     global_buffer
      - .offset:         24
        .size:           4
        .value_kind:     by_value
      - .offset:         28
        .size:           4
        .value_kind:     by_value
      - .offset:         32
        .size:           4
        .value_kind:     by_value
      - .offset:         36
        .size:           4
        .value_kind:     by_value
      - .offset:         40
        .size:           4
        .value_kind:     by_value
    .group_segment_fixed_size: 45136
    .kernarg_segment_align: 8
    .kernarg_segment_size: 44
    .language:       OpenCL C
    .language_version:
      - 2
      - 0
    .max_flat_workgroup_size: 256
    .name:           _ZL12mul_mat_q6_KIfLb0EEvPKvS1_PT_iiiii
    .private_segment_fixed_size: 196
    .sgpr_count:     28
    .sgpr_spill_count: 0
    .symbol:         _ZL12mul_mat_q6_KIfLb0EEvPKvS1_PT_iiiii.kd
    .uniform_work_group_size: 1
    .uses_dynamic_stack: false
    .vgpr_count:     256
    .vgpr_spill_count: 48
    .wavefront_size: 64
  - .agpr_count:     0
    .args:
      - .actual_access:  read_only
        .address_space:  global
        .offset:         0
        .size:           8
        .value_kind:     global_buffer
      - .actual_access:  read_only
        .address_space:  global
        .offset:         8
        .size:           8
        .value_kind:     global_buffer
      - .actual_access:  write_only
        .address_space:  global
        .offset:         16
        .size:           8
        .value_kind:     global_buffer
      - .offset:         24
        .size:           4
        .value_kind:     by_value
      - .offset:         28
        .size:           4
        .value_kind:     by_value
      - .offset:         32
        .size:           4
        .value_kind:     by_value
      - .offset:         36
        .size:           4
        .value_kind:     by_value
      - .offset:         40
        .size:           4
        .value_kind:     by_value
    .group_segment_fixed_size: 45136
    .kernarg_segment_align: 8
    .kernarg_segment_size: 44
    .language:       OpenCL C
    .language_version:
      - 2
      - 0
    .max_flat_workgroup_size: 256
    .name:           _ZL12mul_mat_q6_KIfLb1EEvPKvS1_PT_iiiii
    .private_segment_fixed_size: 332
    .sgpr_count:     28
    .sgpr_spill_count: 0
    .symbol:         _ZL12mul_mat_q6_KIfLb1EEvPKvS1_PT_iiiii.kd
    .uniform_work_group_size: 1
    .uses_dynamic_stack: false
    .vgpr_count:     256
    .vgpr_spill_count: 82
    .wavefront_size: 64
  - .agpr_count:     0
    .args:
      - .actual_access:  read_only
        .address_space:  global
        .offset:         0
        .size:           8
        .value_kind:     global_buffer
      - .actual_access:  read_only
        .address_space:  global
        .offset:         8
        .size:           8
        .value_kind:     global_buffer
      - .actual_access:  write_only
        .address_space:  global
        .offset:         16
        .size:           8
        .value_kind:     global_buffer
      - .offset:         24
        .size:           4
        .value_kind:     by_value
      - .offset:         28
        .size:           4
        .value_kind:     by_value
      - .offset:         32
        .size:           4
        .value_kind:     by_value
      - .offset:         36
        .size:           4
        .value_kind:     by_value
      - .offset:         40
        .size:           4
        .value_kind:     by_value
    .group_segment_fixed_size: 30336
    .kernarg_segment_align: 8
    .kernarg_segment_size: 44
    .language:       OpenCL C
    .language_version:
      - 2
      - 0
    .max_flat_workgroup_size: 256
    .name:           _ZL12mul_mat_q4_0IN3c104HalfELb0EEvPKvS3_PT_iiiii
    .private_segment_fixed_size: 0
    .sgpr_count:     24
    .sgpr_spill_count: 0
    .symbol:         _ZL12mul_mat_q4_0IN3c104HalfELb0EEvPKvS3_PT_iiiii.kd
    .uniform_work_group_size: 1
    .uses_dynamic_stack: false
    .vgpr_count:     243
    .vgpr_spill_count: 0
    .wavefront_size: 64
  - .agpr_count:     0
    .args:
      - .actual_access:  read_only
        .address_space:  global
        .offset:         0
        .size:           8
        .value_kind:     global_buffer
      - .actual_access:  read_only
        .address_space:  global
        .offset:         8
        .size:           8
        .value_kind:     global_buffer
      - .actual_access:  write_only
        .address_space:  global
        .offset:         16
        .size:           8
        .value_kind:     global_buffer
      - .offset:         24
        .size:           4
        .value_kind:     by_value
      - .offset:         28
        .size:           4
        .value_kind:     by_value
      - .offset:         32
        .size:           4
        .value_kind:     by_value
      - .offset:         36
        .size:           4
        .value_kind:     by_value
      - .offset:         40
        .size:           4
        .value_kind:     by_value
    .group_segment_fixed_size: 30336
    .kernarg_segment_align: 8
    .kernarg_segment_size: 44
    .language:       OpenCL C
    .language_version:
      - 2
      - 0
    .max_flat_workgroup_size: 256
    .name:           _ZL12mul_mat_q4_0IN3c104HalfELb1EEvPKvS3_PT_iiiii
    .private_segment_fixed_size: 0
    .sgpr_count:     24
    .sgpr_spill_count: 0
    .symbol:         _ZL12mul_mat_q4_0IN3c104HalfELb1EEvPKvS3_PT_iiiii.kd
    .uniform_work_group_size: 1
    .uses_dynamic_stack: false
    .vgpr_count:     243
    .vgpr_spill_count: 0
    .wavefront_size: 64
  - .agpr_count:     0
    .args:
      - .actual_access:  read_only
        .address_space:  global
        .offset:         0
        .size:           8
        .value_kind:     global_buffer
      - .actual_access:  read_only
        .address_space:  global
        .offset:         8
        .size:           8
        .value_kind:     global_buffer
      - .actual_access:  write_only
        .address_space:  global
        .offset:         16
        .size:           8
        .value_kind:     global_buffer
      - .offset:         24
        .size:           4
        .value_kind:     by_value
      - .offset:         28
        .size:           4
        .value_kind:     by_value
      - .offset:         32
        .size:           4
        .value_kind:     by_value
      - .offset:         36
        .size:           4
        .value_kind:     by_value
      - .offset:         40
        .size:           4
        .value_kind:     by_value
    .group_segment_fixed_size: 30336
    .kernarg_segment_align: 8
    .kernarg_segment_size: 44
    .language:       OpenCL C
    .language_version:
      - 2
      - 0
    .max_flat_workgroup_size: 256
    .name:           _ZL12mul_mat_q4_1IN3c104HalfELb0EEvPKvS3_PT_iiiii
    .private_segment_fixed_size: 0
    .sgpr_count:     25
    .sgpr_spill_count: 0
    .symbol:         _ZL12mul_mat_q4_1IN3c104HalfELb0EEvPKvS3_PT_iiiii.kd
    .uniform_work_group_size: 1
    .uses_dynamic_stack: false
    .vgpr_count:     251
    .vgpr_spill_count: 0
    .wavefront_size: 64
  - .agpr_count:     0
    .args:
      - .actual_access:  read_only
        .address_space:  global
        .offset:         0
        .size:           8
        .value_kind:     global_buffer
      - .actual_access:  read_only
        .address_space:  global
        .offset:         8
        .size:           8
        .value_kind:     global_buffer
      - .actual_access:  write_only
        .address_space:  global
        .offset:         16
        .size:           8
        .value_kind:     global_buffer
      - .offset:         24
        .size:           4
        .value_kind:     by_value
      - .offset:         28
        .size:           4
        .value_kind:     by_value
      - .offset:         32
        .size:           4
        .value_kind:     by_value
      - .offset:         36
        .size:           4
        .value_kind:     by_value
      - .offset:         40
        .size:           4
        .value_kind:     by_value
    .group_segment_fixed_size: 30336
    .kernarg_segment_align: 8
    .kernarg_segment_size: 44
    .language:       OpenCL C
    .language_version:
      - 2
      - 0
    .max_flat_workgroup_size: 256
    .name:           _ZL12mul_mat_q4_1IN3c104HalfELb1EEvPKvS3_PT_iiiii
    .private_segment_fixed_size: 0
    .sgpr_count:     24
    .sgpr_spill_count: 0
    .symbol:         _ZL12mul_mat_q4_1IN3c104HalfELb1EEvPKvS3_PT_iiiii.kd
    .uniform_work_group_size: 1
    .uses_dynamic_stack: false
    .vgpr_count:     251
    .vgpr_spill_count: 0
    .wavefront_size: 64
  - .agpr_count:     0
    .args:
      - .actual_access:  read_only
        .address_space:  global
        .offset:         0
        .size:           8
        .value_kind:     global_buffer
      - .actual_access:  read_only
        .address_space:  global
        .offset:         8
        .size:           8
        .value_kind:     global_buffer
      - .actual_access:  write_only
        .address_space:  global
        .offset:         16
        .size:           8
        .value_kind:     global_buffer
      - .offset:         24
        .size:           4
        .value_kind:     by_value
      - .offset:         28
        .size:           4
        .value_kind:     by_value
      - .offset:         32
        .size:           4
        .value_kind:     by_value
      - .offset:         36
        .size:           4
        .value_kind:     by_value
      - .offset:         40
        .size:           4
        .value_kind:     by_value
    .group_segment_fixed_size: 46720
    .kernarg_segment_align: 8
    .kernarg_segment_size: 44
    .language:       OpenCL C
    .language_version:
      - 2
      - 0
    .max_flat_workgroup_size: 256
    .name:           _ZL12mul_mat_q5_0IN3c104HalfELb0EEvPKvS3_PT_iiiii
    .private_segment_fixed_size: 0
    .sgpr_count:     26
    .sgpr_spill_count: 0
    .symbol:         _ZL12mul_mat_q5_0IN3c104HalfELb0EEvPKvS3_PT_iiiii.kd
    .uniform_work_group_size: 1
    .uses_dynamic_stack: false
    .vgpr_count:     247
    .vgpr_spill_count: 0
    .wavefront_size: 64
  - .agpr_count:     0
    .args:
      - .actual_access:  read_only
        .address_space:  global
        .offset:         0
        .size:           8
        .value_kind:     global_buffer
      - .actual_access:  read_only
        .address_space:  global
        .offset:         8
        .size:           8
        .value_kind:     global_buffer
      - .actual_access:  write_only
        .address_space:  global
        .offset:         16
        .size:           8
        .value_kind:     global_buffer
      - .offset:         24
        .size:           4
        .value_kind:     by_value
      - .offset:         28
        .size:           4
        .value_kind:     by_value
      - .offset:         32
        .size:           4
        .value_kind:     by_value
      - .offset:         36
        .size:           4
        .value_kind:     by_value
      - .offset:         40
        .size:           4
        .value_kind:     by_value
    .group_segment_fixed_size: 46720
    .kernarg_segment_align: 8
    .kernarg_segment_size: 44
    .language:       OpenCL C
    .language_version:
      - 2
      - 0
    .max_flat_workgroup_size: 256
    .name:           _ZL12mul_mat_q5_0IN3c104HalfELb1EEvPKvS3_PT_iiiii
    .private_segment_fixed_size: 0
    .sgpr_count:     26
    .sgpr_spill_count: 0
    .symbol:         _ZL12mul_mat_q5_0IN3c104HalfELb1EEvPKvS3_PT_iiiii.kd
    .uniform_work_group_size: 1
    .uses_dynamic_stack: false
    .vgpr_count:     247
    .vgpr_spill_count: 0
    .wavefront_size: 64
  - .agpr_count:     0
    .args:
      - .actual_access:  read_only
        .address_space:  global
        .offset:         0
        .size:           8
        .value_kind:     global_buffer
      - .actual_access:  read_only
        .address_space:  global
        .offset:         8
        .size:           8
        .value_kind:     global_buffer
      - .actual_access:  write_only
        .address_space:  global
        .offset:         16
        .size:           8
        .value_kind:     global_buffer
      - .offset:         24
        .size:           4
        .value_kind:     by_value
      - .offset:         28
        .size:           4
        .value_kind:     by_value
      - .offset:         32
        .size:           4
        .value_kind:     by_value
      - .offset:         36
        .size:           4
        .value_kind:     by_value
      - .offset:         40
        .size:           4
        .value_kind:     by_value
    .group_segment_fixed_size: 46720
    .kernarg_segment_align: 8
    .kernarg_segment_size: 44
    .language:       OpenCL C
    .language_version:
      - 2
      - 0
    .max_flat_workgroup_size: 256
    .name:           _ZL12mul_mat_q5_1IN3c104HalfELb0EEvPKvS3_PT_iiiii
    .private_segment_fixed_size: 0
    .sgpr_count:     24
    .sgpr_spill_count: 0
    .symbol:         _ZL12mul_mat_q5_1IN3c104HalfELb0EEvPKvS3_PT_iiiii.kd
    .uniform_work_group_size: 1
    .uses_dynamic_stack: false
    .vgpr_count:     246
    .vgpr_spill_count: 0
    .wavefront_size: 64
  - .agpr_count:     0
    .args:
      - .actual_access:  read_only
        .address_space:  global
        .offset:         0
        .size:           8
        .value_kind:     global_buffer
      - .actual_access:  read_only
        .address_space:  global
        .offset:         8
        .size:           8
        .value_kind:     global_buffer
      - .actual_access:  write_only
        .address_space:  global
        .offset:         16
        .size:           8
        .value_kind:     global_buffer
      - .offset:         24
        .size:           4
        .value_kind:     by_value
      - .offset:         28
        .size:           4
        .value_kind:     by_value
      - .offset:         32
        .size:           4
        .value_kind:     by_value
      - .offset:         36
        .size:           4
        .value_kind:     by_value
      - .offset:         40
        .size:           4
        .value_kind:     by_value
    .group_segment_fixed_size: 46720
    .kernarg_segment_align: 8
    .kernarg_segment_size: 44
    .language:       OpenCL C
    .language_version:
      - 2
      - 0
    .max_flat_workgroup_size: 256
    .name:           _ZL12mul_mat_q5_1IN3c104HalfELb1EEvPKvS3_PT_iiiii
    .private_segment_fixed_size: 0
    .sgpr_count:     24
    .sgpr_spill_count: 0
    .symbol:         _ZL12mul_mat_q5_1IN3c104HalfELb1EEvPKvS3_PT_iiiii.kd
    .uniform_work_group_size: 1
    .uses_dynamic_stack: false
    .vgpr_count:     246
    .vgpr_spill_count: 0
    .wavefront_size: 64
  - .agpr_count:     0
    .args:
      - .actual_access:  read_only
        .address_space:  global
        .offset:         0
        .size:           8
        .value_kind:     global_buffer
      - .actual_access:  read_only
        .address_space:  global
        .offset:         8
        .size:           8
        .value_kind:     global_buffer
      - .actual_access:  write_only
        .address_space:  global
        .offset:         16
        .size:           8
        .value_kind:     global_buffer
      - .offset:         24
        .size:           4
        .value_kind:     by_value
      - .offset:         28
        .size:           4
        .value_kind:     by_value
      - .offset:         32
        .size:           4
        .value_kind:     by_value
      - .offset:         36
        .size:           4
        .value_kind:     by_value
      - .offset:         40
        .size:           4
        .value_kind:     by_value
    .group_segment_fixed_size: 28224
    .kernarg_segment_align: 8
    .kernarg_segment_size: 44
    .language:       OpenCL C
    .language_version:
      - 2
      - 0
    .max_flat_workgroup_size: 256
    .name:           _ZL12mul_mat_q8_0IN3c104HalfELb0EEvPKvS3_PT_iiiii
    .private_segment_fixed_size: 0
    .sgpr_count:     22
    .sgpr_spill_count: 0
    .symbol:         _ZL12mul_mat_q8_0IN3c104HalfELb0EEvPKvS3_PT_iiiii.kd
    .uniform_work_group_size: 1
    .uses_dynamic_stack: false
    .vgpr_count:     162
    .vgpr_spill_count: 0
    .wavefront_size: 64
  - .agpr_count:     0
    .args:
      - .actual_access:  read_only
        .address_space:  global
        .offset:         0
        .size:           8
        .value_kind:     global_buffer
      - .actual_access:  read_only
        .address_space:  global
        .offset:         8
        .size:           8
        .value_kind:     global_buffer
      - .actual_access:  write_only
        .address_space:  global
        .offset:         16
        .size:           8
        .value_kind:     global_buffer
      - .offset:         24
        .size:           4
        .value_kind:     by_value
      - .offset:         28
        .size:           4
        .value_kind:     by_value
      - .offset:         32
        .size:           4
        .value_kind:     by_value
      - .offset:         36
        .size:           4
        .value_kind:     by_value
      - .offset:         40
        .size:           4
        .value_kind:     by_value
    .group_segment_fixed_size: 28224
    .kernarg_segment_align: 8
    .kernarg_segment_size: 44
    .language:       OpenCL C
    .language_version:
      - 2
      - 0
    .max_flat_workgroup_size: 256
    .name:           _ZL12mul_mat_q8_0IN3c104HalfELb1EEvPKvS3_PT_iiiii
    .private_segment_fixed_size: 0
    .sgpr_count:     24
    .sgpr_spill_count: 0
    .symbol:         _ZL12mul_mat_q8_0IN3c104HalfELb1EEvPKvS3_PT_iiiii.kd
    .uniform_work_group_size: 1
    .uses_dynamic_stack: false
    .vgpr_count:     164
    .vgpr_spill_count: 0
    .wavefront_size: 64
  - .agpr_count:     0
    .args:
      - .actual_access:  read_only
        .address_space:  global
        .offset:         0
        .size:           8
        .value_kind:     global_buffer
      - .actual_access:  read_only
        .address_space:  global
        .offset:         8
        .size:           8
        .value_kind:     global_buffer
      - .actual_access:  write_only
        .address_space:  global
        .offset:         16
        .size:           8
        .value_kind:     global_buffer
      - .offset:         24
        .size:           4
        .value_kind:     by_value
      - .offset:         28
        .size:           4
        .value_kind:     by_value
      - .offset:         32
        .size:           4
        .value_kind:     by_value
      - .offset:         36
        .size:           4
        .value_kind:     by_value
      - .offset:         40
        .size:           4
        .value_kind:     by_value
    .group_segment_fixed_size: 31392
    .kernarg_segment_align: 8
    .kernarg_segment_size: 44
    .language:       OpenCL C
    .language_version:
      - 2
      - 0
    .max_flat_workgroup_size: 256
    .name:           _ZL12mul_mat_q2_KIN3c104HalfELb0EEvPKvS3_PT_iiiii
    .private_segment_fixed_size: 0
    .sgpr_count:     25
    .sgpr_spill_count: 0
    .symbol:         _ZL12mul_mat_q2_KIN3c104HalfELb0EEvPKvS3_PT_iiiii.kd
    .uniform_work_group_size: 1
    .uses_dynamic_stack: false
    .vgpr_count:     215
    .vgpr_spill_count: 0
    .wavefront_size: 64
  - .agpr_count:     0
    .args:
      - .actual_access:  read_only
        .address_space:  global
        .offset:         0
        .size:           8
        .value_kind:     global_buffer
      - .actual_access:  read_only
        .address_space:  global
        .offset:         8
        .size:           8
        .value_kind:     global_buffer
      - .actual_access:  write_only
        .address_space:  global
        .offset:         16
        .size:           8
        .value_kind:     global_buffer
      - .offset:         24
        .size:           4
        .value_kind:     by_value
      - .offset:         28
        .size:           4
        .value_kind:     by_value
      - .offset:         32
        .size:           4
        .value_kind:     by_value
      - .offset:         36
        .size:           4
        .value_kind:     by_value
      - .offset:         40
        .size:           4
        .value_kind:     by_value
    .group_segment_fixed_size: 31392
    .kernarg_segment_align: 8
    .kernarg_segment_size: 44
    .language:       OpenCL C
    .language_version:
      - 2
      - 0
    .max_flat_workgroup_size: 256
    .name:           _ZL12mul_mat_q2_KIN3c104HalfELb1EEvPKvS3_PT_iiiii
    .private_segment_fixed_size: 0
    .sgpr_count:     25
    .sgpr_spill_count: 0
    .symbol:         _ZL12mul_mat_q2_KIN3c104HalfELb1EEvPKvS3_PT_iiiii.kd
    .uniform_work_group_size: 1
    .uses_dynamic_stack: false
    .vgpr_count:     215
    .vgpr_spill_count: 0
    .wavefront_size: 64
  - .agpr_count:     0
    .args:
      - .actual_access:  read_only
        .address_space:  global
        .offset:         0
        .size:           8
        .value_kind:     global_buffer
      - .actual_access:  read_only
        .address_space:  global
        .offset:         8
        .size:           8
        .value_kind:     global_buffer
      - .actual_access:  write_only
        .address_space:  global
        .offset:         16
        .size:           8
        .value_kind:     global_buffer
      - .offset:         24
        .size:           4
        .value_kind:     by_value
      - .offset:         28
        .size:           4
        .value_kind:     by_value
      - .offset:         32
        .size:           4
        .value_kind:     by_value
      - .offset:         36
        .size:           4
        .value_kind:     by_value
      - .offset:         40
        .size:           4
        .value_kind:     by_value
    .group_segment_fixed_size: 39840
    .kernarg_segment_align: 8
    .kernarg_segment_size: 44
    .language:       OpenCL C
    .language_version:
      - 2
      - 0
    .max_flat_workgroup_size: 256
    .name:           _ZL12mul_mat_q3_KIN3c104HalfELb0EEvPKvS3_PT_iiiii
    .private_segment_fixed_size: 0
    .sgpr_count:     32
    .sgpr_spill_count: 0
    .symbol:         _ZL12mul_mat_q3_KIN3c104HalfELb0EEvPKvS3_PT_iiiii.kd
    .uniform_work_group_size: 1
    .uses_dynamic_stack: false
    .vgpr_count:     226
    .vgpr_spill_count: 0
    .wavefront_size: 64
  - .agpr_count:     0
    .args:
      - .actual_access:  read_only
        .address_space:  global
        .offset:         0
        .size:           8
        .value_kind:     global_buffer
      - .actual_access:  read_only
        .address_space:  global
        .offset:         8
        .size:           8
        .value_kind:     global_buffer
      - .actual_access:  write_only
        .address_space:  global
        .offset:         16
        .size:           8
        .value_kind:     global_buffer
      - .offset:         24
        .size:           4
        .value_kind:     by_value
      - .offset:         28
        .size:           4
        .value_kind:     by_value
      - .offset:         32
        .size:           4
        .value_kind:     by_value
      - .offset:         36
        .size:           4
        .value_kind:     by_value
      - .offset:         40
        .size:           4
        .value_kind:     by_value
    .group_segment_fixed_size: 39840
    .kernarg_segment_align: 8
    .kernarg_segment_size: 44
    .language:       OpenCL C
    .language_version:
      - 2
      - 0
    .max_flat_workgroup_size: 256
    .name:           _ZL12mul_mat_q3_KIN3c104HalfELb1EEvPKvS3_PT_iiiii
    .private_segment_fixed_size: 0
    .sgpr_count:     32
    .sgpr_spill_count: 0
    .symbol:         _ZL12mul_mat_q3_KIN3c104HalfELb1EEvPKvS3_PT_iiiii.kd
    .uniform_work_group_size: 1
    .uses_dynamic_stack: false
    .vgpr_count:     230
    .vgpr_spill_count: 0
    .wavefront_size: 64
  - .agpr_count:     0
    .args:
      - .actual_access:  read_only
        .address_space:  global
        .offset:         0
        .size:           8
        .value_kind:     global_buffer
      - .actual_access:  read_only
        .address_space:  global
        .offset:         8
        .size:           8
        .value_kind:     global_buffer
      - .actual_access:  write_only
        .address_space:  global
        .offset:         16
        .size:           8
        .value_kind:     global_buffer
      - .offset:         24
        .size:           4
        .value_kind:     by_value
      - .offset:         28
        .size:           4
        .value_kind:     by_value
      - .offset:         32
        .size:           4
        .value_kind:     by_value
      - .offset:         36
        .size:           4
        .value_kind:     by_value
      - .offset:         40
        .size:           4
        .value_kind:     by_value
    .group_segment_fixed_size: 28752
    .kernarg_segment_align: 8
    .kernarg_segment_size: 44
    .language:       OpenCL C
    .language_version:
      - 2
      - 0
    .max_flat_workgroup_size: 256
    .name:           _ZL12mul_mat_q4_KIN3c104HalfELb0EEvPKvS3_PT_iiiii
    .private_segment_fixed_size: 0
    .sgpr_count:     26
    .sgpr_spill_count: 0
    .symbol:         _ZL12mul_mat_q4_KIN3c104HalfELb0EEvPKvS3_PT_iiiii.kd
    .uniform_work_group_size: 1
    .uses_dynamic_stack: false
    .vgpr_count:     256
    .vgpr_spill_count: 0
    .wavefront_size: 64
  - .agpr_count:     0
    .args:
      - .actual_access:  read_only
        .address_space:  global
        .offset:         0
        .size:           8
        .value_kind:     global_buffer
      - .actual_access:  read_only
        .address_space:  global
        .offset:         8
        .size:           8
        .value_kind:     global_buffer
      - .actual_access:  write_only
        .address_space:  global
        .offset:         16
        .size:           8
        .value_kind:     global_buffer
      - .offset:         24
        .size:           4
        .value_kind:     by_value
      - .offset:         28
        .size:           4
        .value_kind:     by_value
      - .offset:         32
        .size:           4
        .value_kind:     by_value
      - .offset:         36
        .size:           4
        .value_kind:     by_value
      - .offset:         40
        .size:           4
        .value_kind:     by_value
    .group_segment_fixed_size: 28752
    .kernarg_segment_align: 8
    .kernarg_segment_size: 44
    .language:       OpenCL C
    .language_version:
      - 2
      - 0
    .max_flat_workgroup_size: 256
    .name:           _ZL12mul_mat_q4_KIN3c104HalfELb1EEvPKvS3_PT_iiiii
    .private_segment_fixed_size: 84
    .sgpr_count:     26
    .sgpr_spill_count: 0
    .symbol:         _ZL12mul_mat_q4_KIN3c104HalfELb1EEvPKvS3_PT_iiiii.kd
    .uniform_work_group_size: 1
    .uses_dynamic_stack: false
    .vgpr_count:     256
    .vgpr_spill_count: 20
    .wavefront_size: 64
  - .agpr_count:     0
    .args:
      - .actual_access:  read_only
        .address_space:  global
        .offset:         0
        .size:           8
        .value_kind:     global_buffer
      - .actual_access:  read_only
        .address_space:  global
        .offset:         8
        .size:           8
        .value_kind:     global_buffer
      - .actual_access:  write_only
        .address_space:  global
        .offset:         16
        .size:           8
        .value_kind:     global_buffer
      - .offset:         24
        .size:           4
        .value_kind:     by_value
      - .offset:         28
        .size:           4
        .value_kind:     by_value
      - .offset:         32
        .size:           4
        .value_kind:     by_value
      - .offset:         36
        .size:           4
        .value_kind:     by_value
      - .offset:         40
        .size:           4
        .value_kind:     by_value
    .group_segment_fixed_size: 45136
    .kernarg_segment_align: 8
    .kernarg_segment_size: 44
    .language:       OpenCL C
    .language_version:
      - 2
      - 0
    .max_flat_workgroup_size: 256
    .name:           _ZL12mul_mat_q5_KIN3c104HalfELb0EEvPKvS3_PT_iiiii
    .private_segment_fixed_size: 0
    .sgpr_count:     27
    .sgpr_spill_count: 0
    .symbol:         _ZL12mul_mat_q5_KIN3c104HalfELb0EEvPKvS3_PT_iiiii.kd
    .uniform_work_group_size: 1
    .uses_dynamic_stack: false
    .vgpr_count:     255
    .vgpr_spill_count: 0
    .wavefront_size: 64
  - .agpr_count:     0
    .args:
      - .actual_access:  read_only
        .address_space:  global
        .offset:         0
        .size:           8
        .value_kind:     global_buffer
      - .actual_access:  read_only
        .address_space:  global
        .offset:         8
        .size:           8
        .value_kind:     global_buffer
      - .actual_access:  write_only
        .address_space:  global
        .offset:         16
        .size:           8
        .value_kind:     global_buffer
      - .offset:         24
        .size:           4
        .value_kind:     by_value
      - .offset:         28
        .size:           4
        .value_kind:     by_value
      - .offset:         32
        .size:           4
        .value_kind:     by_value
      - .offset:         36
        .size:           4
        .value_kind:     by_value
      - .offset:         40
        .size:           4
        .value_kind:     by_value
    .group_segment_fixed_size: 45136
    .kernarg_segment_align: 8
    .kernarg_segment_size: 44
    .language:       OpenCL C
    .language_version:
      - 2
      - 0
    .max_flat_workgroup_size: 256
    .name:           _ZL12mul_mat_q5_KIN3c104HalfELb1EEvPKvS3_PT_iiiii
    .private_segment_fixed_size: 112
    .sgpr_count:     27
    .sgpr_spill_count: 0
    .symbol:         _ZL12mul_mat_q5_KIN3c104HalfELb1EEvPKvS3_PT_iiiii.kd
    .uniform_work_group_size: 1
    .uses_dynamic_stack: false
    .vgpr_count:     256
    .vgpr_spill_count: 27
    .wavefront_size: 64
  - .agpr_count:     0
    .args:
      - .actual_access:  read_only
        .address_space:  global
        .offset:         0
        .size:           8
        .value_kind:     global_buffer
      - .actual_access:  read_only
        .address_space:  global
        .offset:         8
        .size:           8
        .value_kind:     global_buffer
      - .actual_access:  write_only
        .address_space:  global
        .offset:         16
        .size:           8
        .value_kind:     global_buffer
      - .offset:         24
        .size:           4
        .value_kind:     by_value
      - .offset:         28
        .size:           4
        .value_kind:     by_value
      - .offset:         32
        .size:           4
        .value_kind:     by_value
      - .offset:         36
        .size:           4
        .value_kind:     by_value
      - .offset:         40
        .size:           4
        .value_kind:     by_value
    .group_segment_fixed_size: 45136
    .kernarg_segment_align: 8
    .kernarg_segment_size: 44
    .language:       OpenCL C
    .language_version:
      - 2
      - 0
    .max_flat_workgroup_size: 256
    .name:           _ZL12mul_mat_q6_KIN3c104HalfELb0EEvPKvS3_PT_iiiii
    .private_segment_fixed_size: 0
    .sgpr_count:     28
    .sgpr_spill_count: 0
    .symbol:         _ZL12mul_mat_q6_KIN3c104HalfELb0EEvPKvS3_PT_iiiii.kd
    .uniform_work_group_size: 1
    .uses_dynamic_stack: false
    .vgpr_count:     254
    .vgpr_spill_count: 0
    .wavefront_size: 64
  - .agpr_count:     0
    .args:
      - .actual_access:  read_only
        .address_space:  global
        .offset:         0
        .size:           8
        .value_kind:     global_buffer
      - .actual_access:  read_only
        .address_space:  global
        .offset:         8
        .size:           8
        .value_kind:     global_buffer
      - .actual_access:  write_only
        .address_space:  global
        .offset:         16
        .size:           8
        .value_kind:     global_buffer
      - .offset:         24
        .size:           4
        .value_kind:     by_value
      - .offset:         28
        .size:           4
        .value_kind:     by_value
      - .offset:         32
        .size:           4
        .value_kind:     by_value
      - .offset:         36
        .size:           4
        .value_kind:     by_value
      - .offset:         40
        .size:           4
        .value_kind:     by_value
    .group_segment_fixed_size: 45136
    .kernarg_segment_align: 8
    .kernarg_segment_size: 44
    .language:       OpenCL C
    .language_version:
      - 2
      - 0
    .max_flat_workgroup_size: 256
    .name:           _ZL12mul_mat_q6_KIN3c104HalfELb1EEvPKvS3_PT_iiiii
    .private_segment_fixed_size: 32
    .sgpr_count:     28
    .sgpr_spill_count: 0
    .symbol:         _ZL12mul_mat_q6_KIN3c104HalfELb1EEvPKvS3_PT_iiiii.kd
    .uniform_work_group_size: 1
    .uses_dynamic_stack: false
    .vgpr_count:     256
    .vgpr_spill_count: 7
    .wavefront_size: 64
  - .agpr_count:     0
    .args:
      - .actual_access:  read_only
        .address_space:  global
        .offset:         0
        .size:           8
        .value_kind:     global_buffer
      - .actual_access:  read_only
        .address_space:  global
        .offset:         8
        .size:           8
        .value_kind:     global_buffer
      - .actual_access:  write_only
        .address_space:  global
        .offset:         16
        .size:           8
        .value_kind:     global_buffer
      - .offset:         24
        .size:           4
        .value_kind:     by_value
      - .offset:         28
        .size:           4
        .value_kind:     by_value
      - .offset:         32
        .size:           4
        .value_kind:     by_value
      - .offset:         36
        .size:           4
        .value_kind:     by_value
      - .offset:         40
        .size:           4
        .value_kind:     by_value
    .group_segment_fixed_size: 30336
    .kernarg_segment_align: 8
    .kernarg_segment_size: 44
    .language:       OpenCL C
    .language_version:
      - 2
      - 0
    .max_flat_workgroup_size: 256
    .name:           _ZL12mul_mat_q4_0IN3c108BFloat16ELb0EEvPKvS3_PT_iiiii
    .private_segment_fixed_size: 0
    .sgpr_count:     24
    .sgpr_spill_count: 0
    .symbol:         _ZL12mul_mat_q4_0IN3c108BFloat16ELb0EEvPKvS3_PT_iiiii.kd
    .uniform_work_group_size: 1
    .uses_dynamic_stack: false
    .vgpr_count:     243
    .vgpr_spill_count: 0
    .wavefront_size: 64
  - .agpr_count:     0
    .args:
      - .actual_access:  read_only
        .address_space:  global
        .offset:         0
        .size:           8
        .value_kind:     global_buffer
      - .actual_access:  read_only
        .address_space:  global
        .offset:         8
        .size:           8
        .value_kind:     global_buffer
      - .actual_access:  write_only
        .address_space:  global
        .offset:         16
        .size:           8
        .value_kind:     global_buffer
      - .offset:         24
        .size:           4
        .value_kind:     by_value
      - .offset:         28
        .size:           4
        .value_kind:     by_value
      - .offset:         32
        .size:           4
        .value_kind:     by_value
      - .offset:         36
        .size:           4
        .value_kind:     by_value
      - .offset:         40
        .size:           4
        .value_kind:     by_value
    .group_segment_fixed_size: 30336
    .kernarg_segment_align: 8
    .kernarg_segment_size: 44
    .language:       OpenCL C
    .language_version:
      - 2
      - 0
    .max_flat_workgroup_size: 256
    .name:           _ZL12mul_mat_q4_0IN3c108BFloat16ELb1EEvPKvS3_PT_iiiii
    .private_segment_fixed_size: 0
    .sgpr_count:     24
    .sgpr_spill_count: 0
    .symbol:         _ZL12mul_mat_q4_0IN3c108BFloat16ELb1EEvPKvS3_PT_iiiii.kd
    .uniform_work_group_size: 1
    .uses_dynamic_stack: false
    .vgpr_count:     243
    .vgpr_spill_count: 0
    .wavefront_size: 64
  - .agpr_count:     0
    .args:
      - .actual_access:  read_only
        .address_space:  global
        .offset:         0
        .size:           8
        .value_kind:     global_buffer
      - .actual_access:  read_only
        .address_space:  global
        .offset:         8
        .size:           8
        .value_kind:     global_buffer
      - .actual_access:  write_only
        .address_space:  global
        .offset:         16
        .size:           8
        .value_kind:     global_buffer
      - .offset:         24
        .size:           4
        .value_kind:     by_value
      - .offset:         28
        .size:           4
        .value_kind:     by_value
      - .offset:         32
        .size:           4
        .value_kind:     by_value
      - .offset:         36
        .size:           4
        .value_kind:     by_value
      - .offset:         40
        .size:           4
        .value_kind:     by_value
    .group_segment_fixed_size: 30336
    .kernarg_segment_align: 8
    .kernarg_segment_size: 44
    .language:       OpenCL C
    .language_version:
      - 2
      - 0
    .max_flat_workgroup_size: 256
    .name:           _ZL12mul_mat_q4_1IN3c108BFloat16ELb0EEvPKvS3_PT_iiiii
    .private_segment_fixed_size: 0
    .sgpr_count:     25
    .sgpr_spill_count: 0
    .symbol:         _ZL12mul_mat_q4_1IN3c108BFloat16ELb0EEvPKvS3_PT_iiiii.kd
    .uniform_work_group_size: 1
    .uses_dynamic_stack: false
    .vgpr_count:     251
    .vgpr_spill_count: 0
    .wavefront_size: 64
  - .agpr_count:     0
    .args:
      - .actual_access:  read_only
        .address_space:  global
        .offset:         0
        .size:           8
        .value_kind:     global_buffer
      - .actual_access:  read_only
        .address_space:  global
        .offset:         8
        .size:           8
        .value_kind:     global_buffer
      - .actual_access:  write_only
        .address_space:  global
        .offset:         16
        .size:           8
        .value_kind:     global_buffer
      - .offset:         24
        .size:           4
        .value_kind:     by_value
      - .offset:         28
        .size:           4
        .value_kind:     by_value
      - .offset:         32
        .size:           4
        .value_kind:     by_value
      - .offset:         36
        .size:           4
        .value_kind:     by_value
      - .offset:         40
        .size:           4
        .value_kind:     by_value
    .group_segment_fixed_size: 30336
    .kernarg_segment_align: 8
    .kernarg_segment_size: 44
    .language:       OpenCL C
    .language_version:
      - 2
      - 0
    .max_flat_workgroup_size: 256
    .name:           _ZL12mul_mat_q4_1IN3c108BFloat16ELb1EEvPKvS3_PT_iiiii
    .private_segment_fixed_size: 0
    .sgpr_count:     24
    .sgpr_spill_count: 0
    .symbol:         _ZL12mul_mat_q4_1IN3c108BFloat16ELb1EEvPKvS3_PT_iiiii.kd
    .uniform_work_group_size: 1
    .uses_dynamic_stack: false
    .vgpr_count:     251
    .vgpr_spill_count: 0
    .wavefront_size: 64
  - .agpr_count:     0
    .args:
      - .actual_access:  read_only
        .address_space:  global
        .offset:         0
        .size:           8
        .value_kind:     global_buffer
      - .actual_access:  read_only
        .address_space:  global
        .offset:         8
        .size:           8
        .value_kind:     global_buffer
      - .actual_access:  write_only
        .address_space:  global
        .offset:         16
        .size:           8
        .value_kind:     global_buffer
      - .offset:         24
        .size:           4
        .value_kind:     by_value
      - .offset:         28
        .size:           4
        .value_kind:     by_value
      - .offset:         32
        .size:           4
        .value_kind:     by_value
      - .offset:         36
        .size:           4
        .value_kind:     by_value
      - .offset:         40
        .size:           4
        .value_kind:     by_value
    .group_segment_fixed_size: 46720
    .kernarg_segment_align: 8
    .kernarg_segment_size: 44
    .language:       OpenCL C
    .language_version:
      - 2
      - 0
    .max_flat_workgroup_size: 256
    .name:           _ZL12mul_mat_q5_0IN3c108BFloat16ELb0EEvPKvS3_PT_iiiii
    .private_segment_fixed_size: 0
    .sgpr_count:     26
    .sgpr_spill_count: 0
    .symbol:         _ZL12mul_mat_q5_0IN3c108BFloat16ELb0EEvPKvS3_PT_iiiii.kd
    .uniform_work_group_size: 1
    .uses_dynamic_stack: false
    .vgpr_count:     247
    .vgpr_spill_count: 0
    .wavefront_size: 64
  - .agpr_count:     0
    .args:
      - .actual_access:  read_only
        .address_space:  global
        .offset:         0
        .size:           8
        .value_kind:     global_buffer
      - .actual_access:  read_only
        .address_space:  global
        .offset:         8
        .size:           8
        .value_kind:     global_buffer
      - .actual_access:  write_only
        .address_space:  global
        .offset:         16
        .size:           8
        .value_kind:     global_buffer
      - .offset:         24
        .size:           4
        .value_kind:     by_value
      - .offset:         28
        .size:           4
        .value_kind:     by_value
      - .offset:         32
        .size:           4
        .value_kind:     by_value
      - .offset:         36
        .size:           4
        .value_kind:     by_value
      - .offset:         40
        .size:           4
        .value_kind:     by_value
    .group_segment_fixed_size: 46720
    .kernarg_segment_align: 8
    .kernarg_segment_size: 44
    .language:       OpenCL C
    .language_version:
      - 2
      - 0
    .max_flat_workgroup_size: 256
    .name:           _ZL12mul_mat_q5_0IN3c108BFloat16ELb1EEvPKvS3_PT_iiiii
    .private_segment_fixed_size: 0
    .sgpr_count:     26
    .sgpr_spill_count: 0
    .symbol:         _ZL12mul_mat_q5_0IN3c108BFloat16ELb1EEvPKvS3_PT_iiiii.kd
    .uniform_work_group_size: 1
    .uses_dynamic_stack: false
    .vgpr_count:     247
    .vgpr_spill_count: 0
    .wavefront_size: 64
  - .agpr_count:     0
    .args:
      - .actual_access:  read_only
        .address_space:  global
        .offset:         0
        .size:           8
        .value_kind:     global_buffer
      - .actual_access:  read_only
        .address_space:  global
        .offset:         8
        .size:           8
        .value_kind:     global_buffer
      - .actual_access:  write_only
        .address_space:  global
        .offset:         16
        .size:           8
        .value_kind:     global_buffer
      - .offset:         24
        .size:           4
        .value_kind:     by_value
      - .offset:         28
        .size:           4
        .value_kind:     by_value
      - .offset:         32
        .size:           4
        .value_kind:     by_value
      - .offset:         36
        .size:           4
        .value_kind:     by_value
      - .offset:         40
        .size:           4
        .value_kind:     by_value
    .group_segment_fixed_size: 46720
    .kernarg_segment_align: 8
    .kernarg_segment_size: 44
    .language:       OpenCL C
    .language_version:
      - 2
      - 0
    .max_flat_workgroup_size: 256
    .name:           _ZL12mul_mat_q5_1IN3c108BFloat16ELb0EEvPKvS3_PT_iiiii
    .private_segment_fixed_size: 0
    .sgpr_count:     24
    .sgpr_spill_count: 0
    .symbol:         _ZL12mul_mat_q5_1IN3c108BFloat16ELb0EEvPKvS3_PT_iiiii.kd
    .uniform_work_group_size: 1
    .uses_dynamic_stack: false
    .vgpr_count:     246
    .vgpr_spill_count: 0
    .wavefront_size: 64
  - .agpr_count:     0
    .args:
      - .actual_access:  read_only
        .address_space:  global
        .offset:         0
        .size:           8
        .value_kind:     global_buffer
      - .actual_access:  read_only
        .address_space:  global
        .offset:         8
        .size:           8
        .value_kind:     global_buffer
      - .actual_access:  write_only
        .address_space:  global
        .offset:         16
        .size:           8
        .value_kind:     global_buffer
      - .offset:         24
        .size:           4
        .value_kind:     by_value
      - .offset:         28
        .size:           4
        .value_kind:     by_value
      - .offset:         32
        .size:           4
        .value_kind:     by_value
      - .offset:         36
        .size:           4
        .value_kind:     by_value
      - .offset:         40
        .size:           4
        .value_kind:     by_value
    .group_segment_fixed_size: 46720
    .kernarg_segment_align: 8
    .kernarg_segment_size: 44
    .language:       OpenCL C
    .language_version:
      - 2
      - 0
    .max_flat_workgroup_size: 256
    .name:           _ZL12mul_mat_q5_1IN3c108BFloat16ELb1EEvPKvS3_PT_iiiii
    .private_segment_fixed_size: 0
    .sgpr_count:     24
    .sgpr_spill_count: 0
    .symbol:         _ZL12mul_mat_q5_1IN3c108BFloat16ELb1EEvPKvS3_PT_iiiii.kd
    .uniform_work_group_size: 1
    .uses_dynamic_stack: false
    .vgpr_count:     246
    .vgpr_spill_count: 0
    .wavefront_size: 64
  - .agpr_count:     0
    .args:
      - .actual_access:  read_only
        .address_space:  global
        .offset:         0
        .size:           8
        .value_kind:     global_buffer
      - .actual_access:  read_only
        .address_space:  global
        .offset:         8
        .size:           8
        .value_kind:     global_buffer
      - .actual_access:  write_only
        .address_space:  global
        .offset:         16
        .size:           8
        .value_kind:     global_buffer
      - .offset:         24
        .size:           4
        .value_kind:     by_value
      - .offset:         28
        .size:           4
        .value_kind:     by_value
      - .offset:         32
        .size:           4
        .value_kind:     by_value
      - .offset:         36
        .size:           4
        .value_kind:     by_value
      - .offset:         40
        .size:           4
        .value_kind:     by_value
    .group_segment_fixed_size: 28224
    .kernarg_segment_align: 8
    .kernarg_segment_size: 44
    .language:       OpenCL C
    .language_version:
      - 2
      - 0
    .max_flat_workgroup_size: 256
    .name:           _ZL12mul_mat_q8_0IN3c108BFloat16ELb0EEvPKvS3_PT_iiiii
    .private_segment_fixed_size: 0
    .sgpr_count:     22
    .sgpr_spill_count: 0
    .symbol:         _ZL12mul_mat_q8_0IN3c108BFloat16ELb0EEvPKvS3_PT_iiiii.kd
    .uniform_work_group_size: 1
    .uses_dynamic_stack: false
    .vgpr_count:     162
    .vgpr_spill_count: 0
    .wavefront_size: 64
  - .agpr_count:     0
    .args:
      - .actual_access:  read_only
        .address_space:  global
        .offset:         0
        .size:           8
        .value_kind:     global_buffer
      - .actual_access:  read_only
        .address_space:  global
        .offset:         8
        .size:           8
        .value_kind:     global_buffer
      - .actual_access:  write_only
        .address_space:  global
        .offset:         16
        .size:           8
        .value_kind:     global_buffer
      - .offset:         24
        .size:           4
        .value_kind:     by_value
      - .offset:         28
        .size:           4
        .value_kind:     by_value
      - .offset:         32
        .size:           4
        .value_kind:     by_value
      - .offset:         36
        .size:           4
        .value_kind:     by_value
      - .offset:         40
        .size:           4
        .value_kind:     by_value
    .group_segment_fixed_size: 28224
    .kernarg_segment_align: 8
    .kernarg_segment_size: 44
    .language:       OpenCL C
    .language_version:
      - 2
      - 0
    .max_flat_workgroup_size: 256
    .name:           _ZL12mul_mat_q8_0IN3c108BFloat16ELb1EEvPKvS3_PT_iiiii
    .private_segment_fixed_size: 0
    .sgpr_count:     24
    .sgpr_spill_count: 0
    .symbol:         _ZL12mul_mat_q8_0IN3c108BFloat16ELb1EEvPKvS3_PT_iiiii.kd
    .uniform_work_group_size: 1
    .uses_dynamic_stack: false
    .vgpr_count:     164
    .vgpr_spill_count: 0
    .wavefront_size: 64
  - .agpr_count:     0
    .args:
      - .actual_access:  read_only
        .address_space:  global
        .offset:         0
        .size:           8
        .value_kind:     global_buffer
      - .actual_access:  read_only
        .address_space:  global
        .offset:         8
        .size:           8
        .value_kind:     global_buffer
      - .actual_access:  write_only
        .address_space:  global
        .offset:         16
        .size:           8
        .value_kind:     global_buffer
      - .offset:         24
        .size:           4
        .value_kind:     by_value
      - .offset:         28
        .size:           4
        .value_kind:     by_value
      - .offset:         32
        .size:           4
        .value_kind:     by_value
      - .offset:         36
        .size:           4
        .value_kind:     by_value
      - .offset:         40
        .size:           4
        .value_kind:     by_value
    .group_segment_fixed_size: 31392
    .kernarg_segment_align: 8
    .kernarg_segment_size: 44
    .language:       OpenCL C
    .language_version:
      - 2
      - 0
    .max_flat_workgroup_size: 256
    .name:           _ZL12mul_mat_q2_KIN3c108BFloat16ELb0EEvPKvS3_PT_iiiii
    .private_segment_fixed_size: 0
    .sgpr_count:     25
    .sgpr_spill_count: 0
    .symbol:         _ZL12mul_mat_q2_KIN3c108BFloat16ELb0EEvPKvS3_PT_iiiii.kd
    .uniform_work_group_size: 1
    .uses_dynamic_stack: false
    .vgpr_count:     215
    .vgpr_spill_count: 0
    .wavefront_size: 64
  - .agpr_count:     0
    .args:
      - .actual_access:  read_only
        .address_space:  global
        .offset:         0
        .size:           8
        .value_kind:     global_buffer
      - .actual_access:  read_only
        .address_space:  global
        .offset:         8
        .size:           8
        .value_kind:     global_buffer
      - .actual_access:  write_only
        .address_space:  global
        .offset:         16
        .size:           8
        .value_kind:     global_buffer
      - .offset:         24
        .size:           4
        .value_kind:     by_value
      - .offset:         28
        .size:           4
        .value_kind:     by_value
      - .offset:         32
        .size:           4
        .value_kind:     by_value
      - .offset:         36
        .size:           4
        .value_kind:     by_value
      - .offset:         40
        .size:           4
        .value_kind:     by_value
    .group_segment_fixed_size: 31392
    .kernarg_segment_align: 8
    .kernarg_segment_size: 44
    .language:       OpenCL C
    .language_version:
      - 2
      - 0
    .max_flat_workgroup_size: 256
    .name:           _ZL12mul_mat_q2_KIN3c108BFloat16ELb1EEvPKvS3_PT_iiiii
    .private_segment_fixed_size: 0
    .sgpr_count:     25
    .sgpr_spill_count: 0
    .symbol:         _ZL12mul_mat_q2_KIN3c108BFloat16ELb1EEvPKvS3_PT_iiiii.kd
    .uniform_work_group_size: 1
    .uses_dynamic_stack: false
    .vgpr_count:     215
    .vgpr_spill_count: 0
    .wavefront_size: 64
  - .agpr_count:     0
    .args:
      - .actual_access:  read_only
        .address_space:  global
        .offset:         0
        .size:           8
        .value_kind:     global_buffer
      - .actual_access:  read_only
        .address_space:  global
        .offset:         8
        .size:           8
        .value_kind:     global_buffer
      - .actual_access:  write_only
        .address_space:  global
        .offset:         16
        .size:           8
        .value_kind:     global_buffer
      - .offset:         24
        .size:           4
        .value_kind:     by_value
      - .offset:         28
        .size:           4
        .value_kind:     by_value
      - .offset:         32
        .size:           4
        .value_kind:     by_value
      - .offset:         36
        .size:           4
        .value_kind:     by_value
      - .offset:         40
        .size:           4
        .value_kind:     by_value
    .group_segment_fixed_size: 39840
    .kernarg_segment_align: 8
    .kernarg_segment_size: 44
    .language:       OpenCL C
    .language_version:
      - 2
      - 0
    .max_flat_workgroup_size: 256
    .name:           _ZL12mul_mat_q3_KIN3c108BFloat16ELb0EEvPKvS3_PT_iiiii
    .private_segment_fixed_size: 0
    .sgpr_count:     32
    .sgpr_spill_count: 0
    .symbol:         _ZL12mul_mat_q3_KIN3c108BFloat16ELb0EEvPKvS3_PT_iiiii.kd
    .uniform_work_group_size: 1
    .uses_dynamic_stack: false
    .vgpr_count:     246
    .vgpr_spill_count: 0
    .wavefront_size: 64
  - .agpr_count:     0
    .args:
      - .actual_access:  read_only
        .address_space:  global
        .offset:         0
        .size:           8
        .value_kind:     global_buffer
      - .actual_access:  read_only
        .address_space:  global
        .offset:         8
        .size:           8
        .value_kind:     global_buffer
      - .actual_access:  write_only
        .address_space:  global
        .offset:         16
        .size:           8
        .value_kind:     global_buffer
      - .offset:         24
        .size:           4
        .value_kind:     by_value
      - .offset:         28
        .size:           4
        .value_kind:     by_value
      - .offset:         32
        .size:           4
        .value_kind:     by_value
      - .offset:         36
        .size:           4
        .value_kind:     by_value
      - .offset:         40
        .size:           4
        .value_kind:     by_value
    .group_segment_fixed_size: 39840
    .kernarg_segment_align: 8
    .kernarg_segment_size: 44
    .language:       OpenCL C
    .language_version:
      - 2
      - 0
    .max_flat_workgroup_size: 256
    .name:           _ZL12mul_mat_q3_KIN3c108BFloat16ELb1EEvPKvS3_PT_iiiii
    .private_segment_fixed_size: 0
    .sgpr_count:     32
    .sgpr_spill_count: 0
    .symbol:         _ZL12mul_mat_q3_KIN3c108BFloat16ELb1EEvPKvS3_PT_iiiii.kd
    .uniform_work_group_size: 1
    .uses_dynamic_stack: false
    .vgpr_count:     250
    .vgpr_spill_count: 0
    .wavefront_size: 64
  - .agpr_count:     0
    .args:
      - .actual_access:  read_only
        .address_space:  global
        .offset:         0
        .size:           8
        .value_kind:     global_buffer
      - .actual_access:  read_only
        .address_space:  global
        .offset:         8
        .size:           8
        .value_kind:     global_buffer
      - .actual_access:  write_only
        .address_space:  global
        .offset:         16
        .size:           8
        .value_kind:     global_buffer
      - .offset:         24
        .size:           4
        .value_kind:     by_value
      - .offset:         28
        .size:           4
        .value_kind:     by_value
      - .offset:         32
        .size:           4
        .value_kind:     by_value
      - .offset:         36
        .size:           4
        .value_kind:     by_value
      - .offset:         40
        .size:           4
        .value_kind:     by_value
    .group_segment_fixed_size: 28752
    .kernarg_segment_align: 8
    .kernarg_segment_size: 44
    .language:       OpenCL C
    .language_version:
      - 2
      - 0
    .max_flat_workgroup_size: 256
    .name:           _ZL12mul_mat_q4_KIN3c108BFloat16ELb0EEvPKvS3_PT_iiiii
    .private_segment_fixed_size: 0
    .sgpr_count:     26
    .sgpr_spill_count: 0
    .symbol:         _ZL12mul_mat_q4_KIN3c108BFloat16ELb0EEvPKvS3_PT_iiiii.kd
    .uniform_work_group_size: 1
    .uses_dynamic_stack: false
    .vgpr_count:     256
    .vgpr_spill_count: 0
    .wavefront_size: 64
  - .agpr_count:     0
    .args:
      - .actual_access:  read_only
        .address_space:  global
        .offset:         0
        .size:           8
        .value_kind:     global_buffer
      - .actual_access:  read_only
        .address_space:  global
        .offset:         8
        .size:           8
        .value_kind:     global_buffer
      - .actual_access:  write_only
        .address_space:  global
        .offset:         16
        .size:           8
        .value_kind:     global_buffer
      - .offset:         24
        .size:           4
        .value_kind:     by_value
      - .offset:         28
        .size:           4
        .value_kind:     by_value
      - .offset:         32
        .size:           4
        .value_kind:     by_value
      - .offset:         36
        .size:           4
        .value_kind:     by_value
      - .offset:         40
        .size:           4
        .value_kind:     by_value
    .group_segment_fixed_size: 28752
    .kernarg_segment_align: 8
    .kernarg_segment_size: 44
    .language:       OpenCL C
    .language_version:
      - 2
      - 0
    .max_flat_workgroup_size: 256
    .name:           _ZL12mul_mat_q4_KIN3c108BFloat16ELb1EEvPKvS3_PT_iiiii
    .private_segment_fixed_size: 92
    .sgpr_count:     26
    .sgpr_spill_count: 0
    .symbol:         _ZL12mul_mat_q4_KIN3c108BFloat16ELb1EEvPKvS3_PT_iiiii.kd
    .uniform_work_group_size: 1
    .uses_dynamic_stack: false
    .vgpr_count:     256
    .vgpr_spill_count: 22
    .wavefront_size: 64
  - .agpr_count:     0
    .args:
      - .actual_access:  read_only
        .address_space:  global
        .offset:         0
        .size:           8
        .value_kind:     global_buffer
      - .actual_access:  read_only
        .address_space:  global
        .offset:         8
        .size:           8
        .value_kind:     global_buffer
      - .actual_access:  write_only
        .address_space:  global
        .offset:         16
        .size:           8
        .value_kind:     global_buffer
      - .offset:         24
        .size:           4
        .value_kind:     by_value
      - .offset:         28
        .size:           4
        .value_kind:     by_value
      - .offset:         32
        .size:           4
        .value_kind:     by_value
      - .offset:         36
        .size:           4
        .value_kind:     by_value
      - .offset:         40
        .size:           4
        .value_kind:     by_value
    .group_segment_fixed_size: 45136
    .kernarg_segment_align: 8
    .kernarg_segment_size: 44
    .language:       OpenCL C
    .language_version:
      - 2
      - 0
    .max_flat_workgroup_size: 256
    .name:           _ZL12mul_mat_q5_KIN3c108BFloat16ELb0EEvPKvS3_PT_iiiii
    .private_segment_fixed_size: 0
    .sgpr_count:     27
    .sgpr_spill_count: 0
    .symbol:         _ZL12mul_mat_q5_KIN3c108BFloat16ELb0EEvPKvS3_PT_iiiii.kd
    .uniform_work_group_size: 1
    .uses_dynamic_stack: false
    .vgpr_count:     255
    .vgpr_spill_count: 0
    .wavefront_size: 64
  - .agpr_count:     0
    .args:
      - .actual_access:  read_only
        .address_space:  global
        .offset:         0
        .size:           8
        .value_kind:     global_buffer
      - .actual_access:  read_only
        .address_space:  global
        .offset:         8
        .size:           8
        .value_kind:     global_buffer
      - .actual_access:  write_only
        .address_space:  global
        .offset:         16
        .size:           8
        .value_kind:     global_buffer
      - .offset:         24
        .size:           4
        .value_kind:     by_value
      - .offset:         28
        .size:           4
        .value_kind:     by_value
      - .offset:         32
        .size:           4
        .value_kind:     by_value
      - .offset:         36
        .size:           4
        .value_kind:     by_value
      - .offset:         40
        .size:           4
        .value_kind:     by_value
    .group_segment_fixed_size: 45136
    .kernarg_segment_align: 8
    .kernarg_segment_size: 44
    .language:       OpenCL C
    .language_version:
      - 2
      - 0
    .max_flat_workgroup_size: 256
    .name:           _ZL12mul_mat_q5_KIN3c108BFloat16ELb1EEvPKvS3_PT_iiiii
    .private_segment_fixed_size: 112
    .sgpr_count:     27
    .sgpr_spill_count: 0
    .symbol:         _ZL12mul_mat_q5_KIN3c108BFloat16ELb1EEvPKvS3_PT_iiiii.kd
    .uniform_work_group_size: 1
    .uses_dynamic_stack: false
    .vgpr_count:     256
    .vgpr_spill_count: 27
    .wavefront_size: 64
  - .agpr_count:     0
    .args:
      - .actual_access:  read_only
        .address_space:  global
        .offset:         0
        .size:           8
        .value_kind:     global_buffer
      - .actual_access:  read_only
        .address_space:  global
        .offset:         8
        .size:           8
        .value_kind:     global_buffer
      - .actual_access:  write_only
        .address_space:  global
        .offset:         16
        .size:           8
        .value_kind:     global_buffer
      - .offset:         24
        .size:           4
        .value_kind:     by_value
      - .offset:         28
        .size:           4
        .value_kind:     by_value
      - .offset:         32
        .size:           4
        .value_kind:     by_value
      - .offset:         36
        .size:           4
        .value_kind:     by_value
      - .offset:         40
        .size:           4
        .value_kind:     by_value
    .group_segment_fixed_size: 45136
    .kernarg_segment_align: 8
    .kernarg_segment_size: 44
    .language:       OpenCL C
    .language_version:
      - 2
      - 0
    .max_flat_workgroup_size: 256
    .name:           _ZL12mul_mat_q6_KIN3c108BFloat16ELb0EEvPKvS3_PT_iiiii
    .private_segment_fixed_size: 196
    .sgpr_count:     28
    .sgpr_spill_count: 0
    .symbol:         _ZL12mul_mat_q6_KIN3c108BFloat16ELb0EEvPKvS3_PT_iiiii.kd
    .uniform_work_group_size: 1
    .uses_dynamic_stack: false
    .vgpr_count:     256
    .vgpr_spill_count: 48
    .wavefront_size: 64
  - .agpr_count:     0
    .args:
      - .actual_access:  read_only
        .address_space:  global
        .offset:         0
        .size:           8
        .value_kind:     global_buffer
      - .actual_access:  read_only
        .address_space:  global
        .offset:         8
        .size:           8
        .value_kind:     global_buffer
      - .actual_access:  write_only
        .address_space:  global
        .offset:         16
        .size:           8
        .value_kind:     global_buffer
      - .offset:         24
        .size:           4
        .value_kind:     by_value
      - .offset:         28
        .size:           4
        .value_kind:     by_value
      - .offset:         32
        .size:           4
        .value_kind:     by_value
      - .offset:         36
        .size:           4
        .value_kind:     by_value
      - .offset:         40
        .size:           4
        .value_kind:     by_value
    .group_segment_fixed_size: 45136
    .kernarg_segment_align: 8
    .kernarg_segment_size: 44
    .language:       OpenCL C
    .language_version:
      - 2
      - 0
    .max_flat_workgroup_size: 256
    .name:           _ZL12mul_mat_q6_KIN3c108BFloat16ELb1EEvPKvS3_PT_iiiii
    .private_segment_fixed_size: 332
    .sgpr_count:     28
    .sgpr_spill_count: 0
    .symbol:         _ZL12mul_mat_q6_KIN3c108BFloat16ELb1EEvPKvS3_PT_iiiii.kd
    .uniform_work_group_size: 1
    .uses_dynamic_stack: false
    .vgpr_count:     256
    .vgpr_spill_count: 82
    .wavefront_size: 64
  - .agpr_count:     0
    .args:
      - .actual_access:  read_only
        .address_space:  global
        .offset:         0
        .size:           8
        .value_kind:     global_buffer
      - .actual_access:  read_only
        .address_space:  global
        .offset:         8
        .size:           8
        .value_kind:     global_buffer
      - .actual_access:  write_only
        .address_space:  global
        .offset:         16
        .size:           8
        .value_kind:     global_buffer
      - .address_space:  global
        .offset:         24
        .size:           8
        .value_kind:     global_buffer
      - .address_space:  global
        .offset:         32
        .size:           8
        .value_kind:     global_buffer
      - .address_space:  global
        .offset:         40
        .size:           8
        .value_kind:     global_buffer
      - .offset:         48
        .size:           4
        .value_kind:     by_value
      - .offset:         52
        .size:           4
        .value_kind:     by_value
      - .offset:         56
        .size:           4
        .value_kind:     by_value
      - .offset:         60
        .size:           4
        .value_kind:     by_value
      - .offset:         64
        .size:           4
        .value_kind:     by_value
      - .offset:         68
        .size:           4
        .value_kind:     by_value
      - .offset:         72
        .size:           4
        .value_kind:     by_value
    .group_segment_fixed_size: 22272
    .kernarg_segment_align: 8
    .kernarg_segment_size: 76
    .language:       OpenCL C
    .language_version:
      - 2
      - 0
    .max_flat_workgroup_size: 256
    .name:           _ZL8moe_q4_0IfLb0EEvPKvS1_PT_PKiS5_S5_iiiiiii
    .private_segment_fixed_size: 0
    .sgpr_count:     30
    .sgpr_spill_count: 0
    .symbol:         _ZL8moe_q4_0IfLb0EEvPKvS1_PT_PKiS5_S5_iiiiiii.kd
    .uniform_work_group_size: 1
    .uses_dynamic_stack: false
    .vgpr_count:     100
    .vgpr_spill_count: 0
    .wavefront_size: 64
  - .agpr_count:     0
    .args:
      - .actual_access:  read_only
        .address_space:  global
        .offset:         0
        .size:           8
        .value_kind:     global_buffer
      - .actual_access:  read_only
        .address_space:  global
        .offset:         8
        .size:           8
        .value_kind:     global_buffer
      - .actual_access:  write_only
        .address_space:  global
        .offset:         16
        .size:           8
        .value_kind:     global_buffer
      - .address_space:  global
        .offset:         24
        .size:           8
        .value_kind:     global_buffer
      - .address_space:  global
        .offset:         32
        .size:           8
        .value_kind:     global_buffer
      - .address_space:  global
        .offset:         40
        .size:           8
        .value_kind:     global_buffer
      - .offset:         48
        .size:           4
        .value_kind:     by_value
      - .offset:         52
        .size:           4
        .value_kind:     by_value
      - .offset:         56
        .size:           4
        .value_kind:     by_value
      - .offset:         60
        .size:           4
        .value_kind:     by_value
      - .offset:         64
        .size:           4
        .value_kind:     by_value
      - .offset:         68
        .size:           4
        .value_kind:     by_value
      - .offset:         72
        .size:           4
        .value_kind:     by_value
    .group_segment_fixed_size: 22272
    .kernarg_segment_align: 8
    .kernarg_segment_size: 76
    .language:       OpenCL C
    .language_version:
      - 2
      - 0
    .max_flat_workgroup_size: 256
    .name:           _ZL8moe_q4_0IfLb1EEvPKvS1_PT_PKiS5_S5_iiiiiii
    .private_segment_fixed_size: 0
    .sgpr_count:     29
    .sgpr_spill_count: 0
    .symbol:         _ZL8moe_q4_0IfLb1EEvPKvS1_PT_PKiS5_S5_iiiiiii.kd
    .uniform_work_group_size: 1
    .uses_dynamic_stack: false
    .vgpr_count:     112
    .vgpr_spill_count: 0
    .wavefront_size: 64
  - .agpr_count:     0
    .args:
      - .actual_access:  read_only
        .address_space:  global
        .offset:         0
        .size:           8
        .value_kind:     global_buffer
      - .actual_access:  read_only
        .address_space:  global
        .offset:         8
        .size:           8
        .value_kind:     global_buffer
      - .actual_access:  write_only
        .address_space:  global
        .offset:         16
        .size:           8
        .value_kind:     global_buffer
      - .address_space:  global
        .offset:         24
        .size:           8
        .value_kind:     global_buffer
      - .address_space:  global
        .offset:         32
        .size:           8
        .value_kind:     global_buffer
      - .address_space:  global
        .offset:         40
        .size:           8
        .value_kind:     global_buffer
      - .offset:         48
        .size:           4
        .value_kind:     by_value
      - .offset:         52
        .size:           4
        .value_kind:     by_value
      - .offset:         56
        .size:           4
        .value_kind:     by_value
      - .offset:         60
        .size:           4
        .value_kind:     by_value
      - .offset:         64
        .size:           4
        .value_kind:     by_value
      - .offset:         68
        .size:           4
        .value_kind:     by_value
      - .offset:         72
        .size:           4
        .value_kind:     by_value
    .group_segment_fixed_size: 22272
    .kernarg_segment_align: 8
    .kernarg_segment_size: 76
    .language:       OpenCL C
    .language_version:
      - 2
      - 0
    .max_flat_workgroup_size: 256
    .name:           _ZL8moe_q4_1IfLb0EEvPKvS1_PT_PKiS5_S5_iiiiiii
    .private_segment_fixed_size: 0
    .sgpr_count:     30
    .sgpr_spill_count: 0
    .symbol:         _ZL8moe_q4_1IfLb0EEvPKvS1_PT_PKiS5_S5_iiiiiii.kd
    .uniform_work_group_size: 1
    .uses_dynamic_stack: false
    .vgpr_count:     98
    .vgpr_spill_count: 0
    .wavefront_size: 64
  - .agpr_count:     0
    .args:
      - .actual_access:  read_only
        .address_space:  global
        .offset:         0
        .size:           8
        .value_kind:     global_buffer
      - .actual_access:  read_only
        .address_space:  global
        .offset:         8
        .size:           8
        .value_kind:     global_buffer
      - .actual_access:  write_only
        .address_space:  global
        .offset:         16
        .size:           8
        .value_kind:     global_buffer
      - .address_space:  global
        .offset:         24
        .size:           8
        .value_kind:     global_buffer
      - .address_space:  global
        .offset:         32
        .size:           8
        .value_kind:     global_buffer
      - .address_space:  global
        .offset:         40
        .size:           8
        .value_kind:     global_buffer
      - .offset:         48
        .size:           4
        .value_kind:     by_value
      - .offset:         52
        .size:           4
        .value_kind:     by_value
      - .offset:         56
        .size:           4
        .value_kind:     by_value
      - .offset:         60
        .size:           4
        .value_kind:     by_value
      - .offset:         64
        .size:           4
        .value_kind:     by_value
      - .offset:         68
        .size:           4
        .value_kind:     by_value
      - .offset:         72
        .size:           4
        .value_kind:     by_value
    .group_segment_fixed_size: 22272
    .kernarg_segment_align: 8
    .kernarg_segment_size: 76
    .language:       OpenCL C
    .language_version:
      - 2
      - 0
    .max_flat_workgroup_size: 256
    .name:           _ZL8moe_q4_1IfLb1EEvPKvS1_PT_PKiS5_S5_iiiiiii
    .private_segment_fixed_size: 0
    .sgpr_count:     29
    .sgpr_spill_count: 0
    .symbol:         _ZL8moe_q4_1IfLb1EEvPKvS1_PT_PKiS5_S5_iiiiiii.kd
    .uniform_work_group_size: 1
    .uses_dynamic_stack: false
    .vgpr_count:     110
    .vgpr_spill_count: 0
    .wavefront_size: 64
  - .agpr_count:     0
    .args:
      - .actual_access:  read_only
        .address_space:  global
        .offset:         0
        .size:           8
        .value_kind:     global_buffer
      - .actual_access:  read_only
        .address_space:  global
        .offset:         8
        .size:           8
        .value_kind:     global_buffer
      - .actual_access:  write_only
        .address_space:  global
        .offset:         16
        .size:           8
        .value_kind:     global_buffer
      - .address_space:  global
        .offset:         24
        .size:           8
        .value_kind:     global_buffer
      - .address_space:  global
        .offset:         32
        .size:           8
        .value_kind:     global_buffer
      - .address_space:  global
        .offset:         40
        .size:           8
        .value_kind:     global_buffer
      - .offset:         48
        .size:           4
        .value_kind:     by_value
      - .offset:         52
        .size:           4
        .value_kind:     by_value
      - .offset:         56
        .size:           4
        .value_kind:     by_value
      - .offset:         60
        .size:           4
        .value_kind:     by_value
      - .offset:         64
        .size:           4
        .value_kind:     by_value
      - .offset:         68
        .size:           4
        .value_kind:     by_value
      - .offset:         72
        .size:           4
        .value_kind:     by_value
    .group_segment_fixed_size: 38656
    .kernarg_segment_align: 8
    .kernarg_segment_size: 76
    .language:       OpenCL C
    .language_version:
      - 2
      - 0
    .max_flat_workgroup_size: 256
    .name:           _ZL8moe_q5_0IfLb0EEvPKvS1_PT_PKiS5_S5_iiiiiii
    .private_segment_fixed_size: 0
    .sgpr_count:     35
    .sgpr_spill_count: 0
    .symbol:         _ZL8moe_q5_0IfLb0EEvPKvS1_PT_PKiS5_S5_iiiiiii.kd
    .uniform_work_group_size: 1
    .uses_dynamic_stack: false
    .vgpr_count:     168
    .vgpr_spill_count: 0
    .wavefront_size: 64
  - .agpr_count:     0
    .args:
      - .actual_access:  read_only
        .address_space:  global
        .offset:         0
        .size:           8
        .value_kind:     global_buffer
      - .actual_access:  read_only
        .address_space:  global
        .offset:         8
        .size:           8
        .value_kind:     global_buffer
      - .actual_access:  write_only
        .address_space:  global
        .offset:         16
        .size:           8
        .value_kind:     global_buffer
      - .address_space:  global
        .offset:         24
        .size:           8
        .value_kind:     global_buffer
      - .address_space:  global
        .offset:         32
        .size:           8
        .value_kind:     global_buffer
      - .address_space:  global
        .offset:         40
        .size:           8
        .value_kind:     global_buffer
      - .offset:         48
        .size:           4
        .value_kind:     by_value
      - .offset:         52
        .size:           4
        .value_kind:     by_value
      - .offset:         56
        .size:           4
        .value_kind:     by_value
      - .offset:         60
        .size:           4
        .value_kind:     by_value
      - .offset:         64
        .size:           4
        .value_kind:     by_value
      - .offset:         68
        .size:           4
        .value_kind:     by_value
      - .offset:         72
        .size:           4
        .value_kind:     by_value
    .group_segment_fixed_size: 38656
    .kernarg_segment_align: 8
    .kernarg_segment_size: 76
    .language:       OpenCL C
    .language_version:
      - 2
      - 0
    .max_flat_workgroup_size: 256
    .name:           _ZL8moe_q5_0IfLb1EEvPKvS1_PT_PKiS5_S5_iiiiiii
    .private_segment_fixed_size: 0
    .sgpr_count:     35
    .sgpr_spill_count: 0
    .symbol:         _ZL8moe_q5_0IfLb1EEvPKvS1_PT_PKiS5_S5_iiiiiii.kd
    .uniform_work_group_size: 1
    .uses_dynamic_stack: false
    .vgpr_count:     168
    .vgpr_spill_count: 0
    .wavefront_size: 64
  - .agpr_count:     0
    .args:
      - .actual_access:  read_only
        .address_space:  global
        .offset:         0
        .size:           8
        .value_kind:     global_buffer
      - .actual_access:  read_only
        .address_space:  global
        .offset:         8
        .size:           8
        .value_kind:     global_buffer
      - .actual_access:  write_only
        .address_space:  global
        .offset:         16
        .size:           8
        .value_kind:     global_buffer
      - .address_space:  global
        .offset:         24
        .size:           8
        .value_kind:     global_buffer
      - .address_space:  global
        .offset:         32
        .size:           8
        .value_kind:     global_buffer
      - .address_space:  global
        .offset:         40
        .size:           8
        .value_kind:     global_buffer
      - .offset:         48
        .size:           4
        .value_kind:     by_value
      - .offset:         52
        .size:           4
        .value_kind:     by_value
      - .offset:         56
        .size:           4
        .value_kind:     by_value
      - .offset:         60
        .size:           4
        .value_kind:     by_value
      - .offset:         64
        .size:           4
        .value_kind:     by_value
      - .offset:         68
        .size:           4
        .value_kind:     by_value
      - .offset:         72
        .size:           4
        .value_kind:     by_value
    .group_segment_fixed_size: 38656
    .kernarg_segment_align: 8
    .kernarg_segment_size: 76
    .language:       OpenCL C
    .language_version:
      - 2
      - 0
    .max_flat_workgroup_size: 256
    .name:           _ZL8moe_q5_1IfLb0EEvPKvS1_PT_PKiS5_S5_iiiiiii
    .private_segment_fixed_size: 0
    .sgpr_count:     30
    .sgpr_spill_count: 0
    .symbol:         _ZL8moe_q5_1IfLb0EEvPKvS1_PT_PKiS5_S5_iiiiiii.kd
    .uniform_work_group_size: 1
    .uses_dynamic_stack: false
    .vgpr_count:     129
    .vgpr_spill_count: 0
    .wavefront_size: 64
  - .agpr_count:     0
    .args:
      - .actual_access:  read_only
        .address_space:  global
        .offset:         0
        .size:           8
        .value_kind:     global_buffer
      - .actual_access:  read_only
        .address_space:  global
        .offset:         8
        .size:           8
        .value_kind:     global_buffer
      - .actual_access:  write_only
        .address_space:  global
        .offset:         16
        .size:           8
        .value_kind:     global_buffer
      - .address_space:  global
        .offset:         24
        .size:           8
        .value_kind:     global_buffer
      - .address_space:  global
        .offset:         32
        .size:           8
        .value_kind:     global_buffer
      - .address_space:  global
        .offset:         40
        .size:           8
        .value_kind:     global_buffer
      - .offset:         48
        .size:           4
        .value_kind:     by_value
      - .offset:         52
        .size:           4
        .value_kind:     by_value
      - .offset:         56
        .size:           4
        .value_kind:     by_value
      - .offset:         60
        .size:           4
        .value_kind:     by_value
      - .offset:         64
        .size:           4
        .value_kind:     by_value
      - .offset:         68
        .size:           4
        .value_kind:     by_value
      - .offset:         72
        .size:           4
        .value_kind:     by_value
    .group_segment_fixed_size: 38656
    .kernarg_segment_align: 8
    .kernarg_segment_size: 76
    .language:       OpenCL C
    .language_version:
      - 2
      - 0
    .max_flat_workgroup_size: 256
    .name:           _ZL8moe_q5_1IfLb1EEvPKvS1_PT_PKiS5_S5_iiiiiii
    .private_segment_fixed_size: 0
    .sgpr_count:     29
    .sgpr_spill_count: 0
    .symbol:         _ZL8moe_q5_1IfLb1EEvPKvS1_PT_PKiS5_S5_iiiiiii.kd
    .uniform_work_group_size: 1
    .uses_dynamic_stack: false
    .vgpr_count:     135
    .vgpr_spill_count: 0
    .wavefront_size: 64
  - .agpr_count:     0
    .args:
      - .actual_access:  read_only
        .address_space:  global
        .offset:         0
        .size:           8
        .value_kind:     global_buffer
      - .actual_access:  read_only
        .address_space:  global
        .offset:         8
        .size:           8
        .value_kind:     global_buffer
      - .actual_access:  write_only
        .address_space:  global
        .offset:         16
        .size:           8
        .value_kind:     global_buffer
      - .address_space:  global
        .offset:         24
        .size:           8
        .value_kind:     global_buffer
      - .address_space:  global
        .offset:         32
        .size:           8
        .value_kind:     global_buffer
      - .address_space:  global
        .offset:         40
        .size:           8
        .value_kind:     global_buffer
      - .offset:         48
        .size:           4
        .value_kind:     by_value
      - .offset:         52
        .size:           4
        .value_kind:     by_value
      - .offset:         56
        .size:           4
        .value_kind:     by_value
      - .offset:         60
        .size:           4
        .value_kind:     by_value
      - .offset:         64
        .size:           4
        .value_kind:     by_value
      - .offset:         68
        .size:           4
        .value_kind:     by_value
      - .offset:         72
        .size:           4
        .value_kind:     by_value
    .group_segment_fixed_size: 20160
    .kernarg_segment_align: 8
    .kernarg_segment_size: 76
    .language:       OpenCL C
    .language_version:
      - 2
      - 0
    .max_flat_workgroup_size: 256
    .name:           _ZL8moe_q8_0IfLb0EEvPKvS1_PT_PKiS5_S5_iiiiiii
    .private_segment_fixed_size: 0
    .sgpr_count:     26
    .sgpr_spill_count: 0
    .symbol:         _ZL8moe_q8_0IfLb0EEvPKvS1_PT_PKiS5_S5_iiiiiii.kd
    .uniform_work_group_size: 1
    .uses_dynamic_stack: false
    .vgpr_count:     115
    .vgpr_spill_count: 0
    .wavefront_size: 64
  - .agpr_count:     0
    .args:
      - .actual_access:  read_only
        .address_space:  global
        .offset:         0
        .size:           8
        .value_kind:     global_buffer
      - .actual_access:  read_only
        .address_space:  global
        .offset:         8
        .size:           8
        .value_kind:     global_buffer
      - .actual_access:  write_only
        .address_space:  global
        .offset:         16
        .size:           8
        .value_kind:     global_buffer
      - .address_space:  global
        .offset:         24
        .size:           8
        .value_kind:     global_buffer
      - .address_space:  global
        .offset:         32
        .size:           8
        .value_kind:     global_buffer
      - .address_space:  global
        .offset:         40
        .size:           8
        .value_kind:     global_buffer
      - .offset:         48
        .size:           4
        .value_kind:     by_value
      - .offset:         52
        .size:           4
        .value_kind:     by_value
      - .offset:         56
        .size:           4
        .value_kind:     by_value
      - .offset:         60
        .size:           4
        .value_kind:     by_value
      - .offset:         64
        .size:           4
        .value_kind:     by_value
      - .offset:         68
        .size:           4
        .value_kind:     by_value
      - .offset:         72
        .size:           4
        .value_kind:     by_value
    .group_segment_fixed_size: 20160
    .kernarg_segment_align: 8
    .kernarg_segment_size: 76
    .language:       OpenCL C
    .language_version:
      - 2
      - 0
    .max_flat_workgroup_size: 256
    .name:           _ZL8moe_q8_0IfLb1EEvPKvS1_PT_PKiS5_S5_iiiiiii
    .private_segment_fixed_size: 0
    .sgpr_count:     28
    .sgpr_spill_count: 0
    .symbol:         _ZL8moe_q8_0IfLb1EEvPKvS1_PT_PKiS5_S5_iiiiiii.kd
    .uniform_work_group_size: 1
    .uses_dynamic_stack: false
    .vgpr_count:     128
    .vgpr_spill_count: 0
    .wavefront_size: 64
  - .agpr_count:     0
    .args:
      - .actual_access:  read_only
        .address_space:  global
        .offset:         0
        .size:           8
        .value_kind:     global_buffer
      - .actual_access:  read_only
        .address_space:  global
        .offset:         8
        .size:           8
        .value_kind:     global_buffer
      - .actual_access:  write_only
        .address_space:  global
        .offset:         16
        .size:           8
        .value_kind:     global_buffer
      - .address_space:  global
        .offset:         24
        .size:           8
        .value_kind:     global_buffer
      - .address_space:  global
        .offset:         32
        .size:           8
        .value_kind:     global_buffer
      - .address_space:  global
        .offset:         40
        .size:           8
        .value_kind:     global_buffer
      - .offset:         48
        .size:           4
        .value_kind:     by_value
      - .offset:         52
        .size:           4
        .value_kind:     by_value
      - .offset:         56
        .size:           4
        .value_kind:     by_value
      - .offset:         60
        .size:           4
        .value_kind:     by_value
      - .offset:         64
        .size:           4
        .value_kind:     by_value
      - .offset:         68
        .size:           4
        .value_kind:     by_value
      - .offset:         72
        .size:           4
        .value_kind:     by_value
    .group_segment_fixed_size: 23328
    .kernarg_segment_align: 8
    .kernarg_segment_size: 76
    .language:       OpenCL C
    .language_version:
      - 2
      - 0
    .max_flat_workgroup_size: 256
    .name:           _ZL8moe_q2_KIfLb0EEvPKvS1_PT_PKiS5_S5_iiiiiii
    .private_segment_fixed_size: 0
    .sgpr_count:     34
    .sgpr_spill_count: 0
    .symbol:         _ZL8moe_q2_KIfLb0EEvPKvS1_PT_PKiS5_S5_iiiiiii.kd
    .uniform_work_group_size: 1
    .uses_dynamic_stack: false
    .vgpr_count:     102
    .vgpr_spill_count: 0
    .wavefront_size: 64
  - .agpr_count:     0
    .args:
      - .actual_access:  read_only
        .address_space:  global
        .offset:         0
        .size:           8
        .value_kind:     global_buffer
      - .actual_access:  read_only
        .address_space:  global
        .offset:         8
        .size:           8
        .value_kind:     global_buffer
      - .actual_access:  write_only
        .address_space:  global
        .offset:         16
        .size:           8
        .value_kind:     global_buffer
      - .address_space:  global
        .offset:         24
        .size:           8
        .value_kind:     global_buffer
      - .address_space:  global
        .offset:         32
        .size:           8
        .value_kind:     global_buffer
      - .address_space:  global
        .offset:         40
        .size:           8
        .value_kind:     global_buffer
      - .offset:         48
        .size:           4
        .value_kind:     by_value
      - .offset:         52
        .size:           4
        .value_kind:     by_value
      - .offset:         56
        .size:           4
        .value_kind:     by_value
      - .offset:         60
        .size:           4
        .value_kind:     by_value
      - .offset:         64
        .size:           4
        .value_kind:     by_value
      - .offset:         68
        .size:           4
        .value_kind:     by_value
      - .offset:         72
        .size:           4
        .value_kind:     by_value
    .group_segment_fixed_size: 23328
    .kernarg_segment_align: 8
    .kernarg_segment_size: 76
    .language:       OpenCL C
    .language_version:
      - 2
      - 0
    .max_flat_workgroup_size: 256
    .name:           _ZL8moe_q2_KIfLb1EEvPKvS1_PT_PKiS5_S5_iiiiiii
    .private_segment_fixed_size: 0
    .sgpr_count:     34
    .sgpr_spill_count: 0
    .symbol:         _ZL8moe_q2_KIfLb1EEvPKvS1_PT_PKiS5_S5_iiiiiii.kd
    .uniform_work_group_size: 1
    .uses_dynamic_stack: false
    .vgpr_count:     121
    .vgpr_spill_count: 0
    .wavefront_size: 64
  - .agpr_count:     0
    .args:
      - .actual_access:  read_only
        .address_space:  global
        .offset:         0
        .size:           8
        .value_kind:     global_buffer
      - .actual_access:  read_only
        .address_space:  global
        .offset:         8
        .size:           8
        .value_kind:     global_buffer
      - .actual_access:  write_only
        .address_space:  global
        .offset:         16
        .size:           8
        .value_kind:     global_buffer
      - .address_space:  global
        .offset:         24
        .size:           8
        .value_kind:     global_buffer
      - .address_space:  global
        .offset:         32
        .size:           8
        .value_kind:     global_buffer
      - .address_space:  global
        .offset:         40
        .size:           8
        .value_kind:     global_buffer
      - .offset:         48
        .size:           4
        .value_kind:     by_value
      - .offset:         52
        .size:           4
        .value_kind:     by_value
      - .offset:         56
        .size:           4
        .value_kind:     by_value
      - .offset:         60
        .size:           4
        .value_kind:     by_value
      - .offset:         64
        .size:           4
        .value_kind:     by_value
      - .offset:         68
        .size:           4
        .value_kind:     by_value
      - .offset:         72
        .size:           4
        .value_kind:     by_value
    .group_segment_fixed_size: 31776
    .kernarg_segment_align: 8
    .kernarg_segment_size: 76
    .language:       OpenCL C
    .language_version:
      - 2
      - 0
    .max_flat_workgroup_size: 256
    .name:           _ZL8moe_q3_KIfLb0EEvPKvS1_PT_PKiS5_S5_iiiiiii
    .private_segment_fixed_size: 0
    .sgpr_count:     42
    .sgpr_spill_count: 0
    .symbol:         _ZL8moe_q3_KIfLb0EEvPKvS1_PT_PKiS5_S5_iiiiiii.kd
    .uniform_work_group_size: 1
    .uses_dynamic_stack: false
    .vgpr_count:     153
    .vgpr_spill_count: 0
    .wavefront_size: 64
  - .agpr_count:     0
    .args:
      - .actual_access:  read_only
        .address_space:  global
        .offset:         0
        .size:           8
        .value_kind:     global_buffer
      - .actual_access:  read_only
        .address_space:  global
        .offset:         8
        .size:           8
        .value_kind:     global_buffer
      - .actual_access:  write_only
        .address_space:  global
        .offset:         16
        .size:           8
        .value_kind:     global_buffer
      - .address_space:  global
        .offset:         24
        .size:           8
        .value_kind:     global_buffer
      - .address_space:  global
        .offset:         32
        .size:           8
        .value_kind:     global_buffer
      - .address_space:  global
        .offset:         40
        .size:           8
        .value_kind:     global_buffer
      - .offset:         48
        .size:           4
        .value_kind:     by_value
      - .offset:         52
        .size:           4
        .value_kind:     by_value
      - .offset:         56
        .size:           4
        .value_kind:     by_value
      - .offset:         60
        .size:           4
        .value_kind:     by_value
      - .offset:         64
        .size:           4
        .value_kind:     by_value
      - .offset:         68
        .size:           4
        .value_kind:     by_value
      - .offset:         72
        .size:           4
        .value_kind:     by_value
    .group_segment_fixed_size: 31776
    .kernarg_segment_align: 8
    .kernarg_segment_size: 76
    .language:       OpenCL C
    .language_version:
      - 2
      - 0
    .max_flat_workgroup_size: 256
    .name:           _ZL8moe_q3_KIfLb1EEvPKvS1_PT_PKiS5_S5_iiiiiii
    .private_segment_fixed_size: 0
    .sgpr_count:     42
    .sgpr_spill_count: 0
    .symbol:         _ZL8moe_q3_KIfLb1EEvPKvS1_PT_PKiS5_S5_iiiiiii.kd
    .uniform_work_group_size: 1
    .uses_dynamic_stack: false
    .vgpr_count:     152
    .vgpr_spill_count: 0
    .wavefront_size: 64
  - .agpr_count:     0
    .args:
      - .actual_access:  read_only
        .address_space:  global
        .offset:         0
        .size:           8
        .value_kind:     global_buffer
      - .actual_access:  read_only
        .address_space:  global
        .offset:         8
        .size:           8
        .value_kind:     global_buffer
      - .actual_access:  write_only
        .address_space:  global
        .offset:         16
        .size:           8
        .value_kind:     global_buffer
      - .address_space:  global
        .offset:         24
        .size:           8
        .value_kind:     global_buffer
      - .address_space:  global
        .offset:         32
        .size:           8
        .value_kind:     global_buffer
      - .address_space:  global
        .offset:         40
        .size:           8
        .value_kind:     global_buffer
      - .offset:         48
        .size:           4
        .value_kind:     by_value
      - .offset:         52
        .size:           4
        .value_kind:     by_value
      - .offset:         56
        .size:           4
        .value_kind:     by_value
      - .offset:         60
        .size:           4
        .value_kind:     by_value
      - .offset:         64
        .size:           4
        .value_kind:     by_value
      - .offset:         68
        .size:           4
        .value_kind:     by_value
      - .offset:         72
        .size:           4
        .value_kind:     by_value
    .group_segment_fixed_size: 20688
    .kernarg_segment_align: 8
    .kernarg_segment_size: 76
    .language:       OpenCL C
    .language_version:
      - 2
      - 0
    .max_flat_workgroup_size: 256
    .name:           _ZL8moe_q4_KIfLb0EEvPKvS1_PT_PKiS5_S5_iiiiiii
    .private_segment_fixed_size: 0
    .sgpr_count:     33
    .sgpr_spill_count: 0
    .symbol:         _ZL8moe_q4_KIfLb0EEvPKvS1_PT_PKiS5_S5_iiiiiii.kd
    .uniform_work_group_size: 1
    .uses_dynamic_stack: false
    .vgpr_count:     171
    .vgpr_spill_count: 0
    .wavefront_size: 64
  - .agpr_count:     0
    .args:
      - .actual_access:  read_only
        .address_space:  global
        .offset:         0
        .size:           8
        .value_kind:     global_buffer
      - .actual_access:  read_only
        .address_space:  global
        .offset:         8
        .size:           8
        .value_kind:     global_buffer
      - .actual_access:  write_only
        .address_space:  global
        .offset:         16
        .size:           8
        .value_kind:     global_buffer
      - .address_space:  global
        .offset:         24
        .size:           8
        .value_kind:     global_buffer
      - .address_space:  global
        .offset:         32
        .size:           8
        .value_kind:     global_buffer
      - .address_space:  global
        .offset:         40
        .size:           8
        .value_kind:     global_buffer
      - .offset:         48
        .size:           4
        .value_kind:     by_value
      - .offset:         52
        .size:           4
        .value_kind:     by_value
      - .offset:         56
        .size:           4
        .value_kind:     by_value
      - .offset:         60
        .size:           4
        .value_kind:     by_value
      - .offset:         64
        .size:           4
        .value_kind:     by_value
      - .offset:         68
        .size:           4
        .value_kind:     by_value
      - .offset:         72
        .size:           4
        .value_kind:     by_value
    .group_segment_fixed_size: 20688
    .kernarg_segment_align: 8
    .kernarg_segment_size: 76
    .language:       OpenCL C
    .language_version:
      - 2
      - 0
    .max_flat_workgroup_size: 256
    .name:           _ZL8moe_q4_KIfLb1EEvPKvS1_PT_PKiS5_S5_iiiiiii
    .private_segment_fixed_size: 0
    .sgpr_count:     34
    .sgpr_spill_count: 0
    .symbol:         _ZL8moe_q4_KIfLb1EEvPKvS1_PT_PKiS5_S5_iiiiiii.kd
    .uniform_work_group_size: 1
    .uses_dynamic_stack: false
    .vgpr_count:     171
    .vgpr_spill_count: 0
    .wavefront_size: 64
  - .agpr_count:     0
    .args:
      - .actual_access:  read_only
        .address_space:  global
        .offset:         0
        .size:           8
        .value_kind:     global_buffer
      - .actual_access:  read_only
        .address_space:  global
        .offset:         8
        .size:           8
        .value_kind:     global_buffer
      - .actual_access:  write_only
        .address_space:  global
        .offset:         16
        .size:           8
        .value_kind:     global_buffer
      - .address_space:  global
        .offset:         24
        .size:           8
        .value_kind:     global_buffer
      - .address_space:  global
        .offset:         32
        .size:           8
        .value_kind:     global_buffer
      - .address_space:  global
        .offset:         40
        .size:           8
        .value_kind:     global_buffer
      - .offset:         48
        .size:           4
        .value_kind:     by_value
      - .offset:         52
        .size:           4
        .value_kind:     by_value
      - .offset:         56
        .size:           4
        .value_kind:     by_value
      - .offset:         60
        .size:           4
        .value_kind:     by_value
      - .offset:         64
        .size:           4
        .value_kind:     by_value
      - .offset:         68
        .size:           4
        .value_kind:     by_value
      - .offset:         72
        .size:           4
        .value_kind:     by_value
    .group_segment_fixed_size: 37072
    .kernarg_segment_align: 8
    .kernarg_segment_size: 76
    .language:       OpenCL C
    .language_version:
      - 2
      - 0
    .max_flat_workgroup_size: 256
    .name:           _ZL8moe_q5_KIfLb0EEvPKvS1_PT_PKiS5_S5_iiiiiii
    .private_segment_fixed_size: 0
    .sgpr_count:     33
    .sgpr_spill_count: 0
    .symbol:         _ZL8moe_q5_KIfLb0EEvPKvS1_PT_PKiS5_S5_iiiiiii.kd
    .uniform_work_group_size: 1
    .uses_dynamic_stack: false
    .vgpr_count:     189
    .vgpr_spill_count: 0
    .wavefront_size: 64
  - .agpr_count:     0
    .args:
      - .actual_access:  read_only
        .address_space:  global
        .offset:         0
        .size:           8
        .value_kind:     global_buffer
      - .actual_access:  read_only
        .address_space:  global
        .offset:         8
        .size:           8
        .value_kind:     global_buffer
      - .actual_access:  write_only
        .address_space:  global
        .offset:         16
        .size:           8
        .value_kind:     global_buffer
      - .address_space:  global
        .offset:         24
        .size:           8
        .value_kind:     global_buffer
      - .address_space:  global
        .offset:         32
        .size:           8
        .value_kind:     global_buffer
      - .address_space:  global
        .offset:         40
        .size:           8
        .value_kind:     global_buffer
      - .offset:         48
        .size:           4
        .value_kind:     by_value
      - .offset:         52
        .size:           4
        .value_kind:     by_value
      - .offset:         56
        .size:           4
        .value_kind:     by_value
      - .offset:         60
        .size:           4
        .value_kind:     by_value
      - .offset:         64
        .size:           4
        .value_kind:     by_value
      - .offset:         68
        .size:           4
        .value_kind:     by_value
      - .offset:         72
        .size:           4
        .value_kind:     by_value
    .group_segment_fixed_size: 37072
    .kernarg_segment_align: 8
    .kernarg_segment_size: 76
    .language:       OpenCL C
    .language_version:
      - 2
      - 0
    .max_flat_workgroup_size: 256
    .name:           _ZL8moe_q5_KIfLb1EEvPKvS1_PT_PKiS5_S5_iiiiiii
    .private_segment_fixed_size: 0
    .sgpr_count:     32
    .sgpr_spill_count: 0
    .symbol:         _ZL8moe_q5_KIfLb1EEvPKvS1_PT_PKiS5_S5_iiiiiii.kd
    .uniform_work_group_size: 1
    .uses_dynamic_stack: false
    .vgpr_count:     189
    .vgpr_spill_count: 0
    .wavefront_size: 64
  - .agpr_count:     0
    .args:
      - .actual_access:  read_only
        .address_space:  global
        .offset:         0
        .size:           8
        .value_kind:     global_buffer
      - .actual_access:  read_only
        .address_space:  global
        .offset:         8
        .size:           8
        .value_kind:     global_buffer
      - .actual_access:  write_only
        .address_space:  global
        .offset:         16
        .size:           8
        .value_kind:     global_buffer
      - .address_space:  global
        .offset:         24
        .size:           8
        .value_kind:     global_buffer
      - .address_space:  global
        .offset:         32
        .size:           8
        .value_kind:     global_buffer
      - .address_space:  global
        .offset:         40
        .size:           8
        .value_kind:     global_buffer
      - .offset:         48
        .size:           4
        .value_kind:     by_value
      - .offset:         52
        .size:           4
        .value_kind:     by_value
      - .offset:         56
        .size:           4
        .value_kind:     by_value
      - .offset:         60
        .size:           4
        .value_kind:     by_value
      - .offset:         64
        .size:           4
        .value_kind:     by_value
      - .offset:         68
        .size:           4
        .value_kind:     by_value
      - .offset:         72
        .size:           4
        .value_kind:     by_value
    .group_segment_fixed_size: 37072
    .kernarg_segment_align: 8
    .kernarg_segment_size: 76
    .language:       OpenCL C
    .language_version:
      - 2
      - 0
    .max_flat_workgroup_size: 256
    .name:           _ZL8moe_q6_KIfLb0EEvPKvS1_PT_PKiS5_S5_iiiiiii
    .private_segment_fixed_size: 0
    .sgpr_count:     33
    .sgpr_spill_count: 0
    .symbol:         _ZL8moe_q6_KIfLb0EEvPKvS1_PT_PKiS5_S5_iiiiiii.kd
    .uniform_work_group_size: 1
    .uses_dynamic_stack: false
    .vgpr_count:     169
    .vgpr_spill_count: 0
    .wavefront_size: 64
  - .agpr_count:     0
    .args:
      - .actual_access:  read_only
        .address_space:  global
        .offset:         0
        .size:           8
        .value_kind:     global_buffer
      - .actual_access:  read_only
        .address_space:  global
        .offset:         8
        .size:           8
        .value_kind:     global_buffer
      - .actual_access:  write_only
        .address_space:  global
        .offset:         16
        .size:           8
        .value_kind:     global_buffer
      - .address_space:  global
        .offset:         24
        .size:           8
        .value_kind:     global_buffer
      - .address_space:  global
        .offset:         32
        .size:           8
        .value_kind:     global_buffer
      - .address_space:  global
        .offset:         40
        .size:           8
        .value_kind:     global_buffer
      - .offset:         48
        .size:           4
        .value_kind:     by_value
      - .offset:         52
        .size:           4
        .value_kind:     by_value
      - .offset:         56
        .size:           4
        .value_kind:     by_value
      - .offset:         60
        .size:           4
        .value_kind:     by_value
      - .offset:         64
        .size:           4
        .value_kind:     by_value
      - .offset:         68
        .size:           4
        .value_kind:     by_value
      - .offset:         72
        .size:           4
        .value_kind:     by_value
    .group_segment_fixed_size: 37072
    .kernarg_segment_align: 8
    .kernarg_segment_size: 76
    .language:       OpenCL C
    .language_version:
      - 2
      - 0
    .max_flat_workgroup_size: 256
    .name:           _ZL8moe_q6_KIfLb1EEvPKvS1_PT_PKiS5_S5_iiiiiii
    .private_segment_fixed_size: 0
    .sgpr_count:     34
    .sgpr_spill_count: 0
    .symbol:         _ZL8moe_q6_KIfLb1EEvPKvS1_PT_PKiS5_S5_iiiiiii.kd
    .uniform_work_group_size: 1
    .uses_dynamic_stack: false
    .vgpr_count:     177
    .vgpr_spill_count: 0
    .wavefront_size: 64
  - .agpr_count:     0
    .args:
      - .actual_access:  read_only
        .address_space:  global
        .offset:         0
        .size:           8
        .value_kind:     global_buffer
      - .actual_access:  read_only
        .address_space:  global
        .offset:         8
        .size:           8
        .value_kind:     global_buffer
      - .actual_access:  write_only
        .address_space:  global
        .offset:         16
        .size:           8
        .value_kind:     global_buffer
      - .address_space:  global
        .offset:         24
        .size:           8
        .value_kind:     global_buffer
      - .address_space:  global
        .offset:         32
        .size:           8
        .value_kind:     global_buffer
      - .address_space:  global
        .offset:         40
        .size:           8
        .value_kind:     global_buffer
      - .offset:         48
        .size:           4
        .value_kind:     by_value
      - .offset:         52
        .size:           4
        .value_kind:     by_value
      - .offset:         56
        .size:           4
        .value_kind:     by_value
      - .offset:         60
        .size:           4
        .value_kind:     by_value
      - .offset:         64
        .size:           4
        .value_kind:     by_value
      - .offset:         68
        .size:           4
        .value_kind:     by_value
      - .offset:         72
        .size:           4
        .value_kind:     by_value
    .group_segment_fixed_size: 22272
    .kernarg_segment_align: 8
    .kernarg_segment_size: 76
    .language:       OpenCL C
    .language_version:
      - 2
      - 0
    .max_flat_workgroup_size: 256
    .name:           _ZL8moe_q4_0IN3c104HalfELb0EEvPKvS3_PT_PKiS7_S7_iiiiiii
    .private_segment_fixed_size: 0
    .sgpr_count:     30
    .sgpr_spill_count: 0
    .symbol:         _ZL8moe_q4_0IN3c104HalfELb0EEvPKvS3_PT_PKiS7_S7_iiiiiii.kd
    .uniform_work_group_size: 1
    .uses_dynamic_stack: false
    .vgpr_count:     100
    .vgpr_spill_count: 0
    .wavefront_size: 64
  - .agpr_count:     0
    .args:
      - .actual_access:  read_only
        .address_space:  global
        .offset:         0
        .size:           8
        .value_kind:     global_buffer
      - .actual_access:  read_only
        .address_space:  global
        .offset:         8
        .size:           8
        .value_kind:     global_buffer
      - .actual_access:  write_only
        .address_space:  global
        .offset:         16
        .size:           8
        .value_kind:     global_buffer
      - .address_space:  global
        .offset:         24
        .size:           8
        .value_kind:     global_buffer
      - .address_space:  global
        .offset:         32
        .size:           8
        .value_kind:     global_buffer
      - .address_space:  global
        .offset:         40
        .size:           8
        .value_kind:     global_buffer
      - .offset:         48
        .size:           4
        .value_kind:     by_value
      - .offset:         52
        .size:           4
        .value_kind:     by_value
      - .offset:         56
        .size:           4
        .value_kind:     by_value
      - .offset:         60
        .size:           4
        .value_kind:     by_value
      - .offset:         64
        .size:           4
        .value_kind:     by_value
      - .offset:         68
        .size:           4
        .value_kind:     by_value
      - .offset:         72
        .size:           4
        .value_kind:     by_value
    .group_segment_fixed_size: 22272
    .kernarg_segment_align: 8
    .kernarg_segment_size: 76
    .language:       OpenCL C
    .language_version:
      - 2
      - 0
    .max_flat_workgroup_size: 256
    .name:           _ZL8moe_q4_0IN3c104HalfELb1EEvPKvS3_PT_PKiS7_S7_iiiiiii
    .private_segment_fixed_size: 0
    .sgpr_count:     29
    .sgpr_spill_count: 0
    .symbol:         _ZL8moe_q4_0IN3c104HalfELb1EEvPKvS3_PT_PKiS7_S7_iiiiiii.kd
    .uniform_work_group_size: 1
    .uses_dynamic_stack: false
    .vgpr_count:     112
    .vgpr_spill_count: 0
    .wavefront_size: 64
  - .agpr_count:     0
    .args:
      - .actual_access:  read_only
        .address_space:  global
        .offset:         0
        .size:           8
        .value_kind:     global_buffer
      - .actual_access:  read_only
        .address_space:  global
        .offset:         8
        .size:           8
        .value_kind:     global_buffer
      - .actual_access:  write_only
        .address_space:  global
        .offset:         16
        .size:           8
        .value_kind:     global_buffer
      - .address_space:  global
        .offset:         24
        .size:           8
        .value_kind:     global_buffer
      - .address_space:  global
        .offset:         32
        .size:           8
        .value_kind:     global_buffer
      - .address_space:  global
        .offset:         40
        .size:           8
        .value_kind:     global_buffer
      - .offset:         48
        .size:           4
        .value_kind:     by_value
      - .offset:         52
        .size:           4
        .value_kind:     by_value
      - .offset:         56
        .size:           4
        .value_kind:     by_value
      - .offset:         60
        .size:           4
        .value_kind:     by_value
      - .offset:         64
        .size:           4
        .value_kind:     by_value
      - .offset:         68
        .size:           4
        .value_kind:     by_value
      - .offset:         72
        .size:           4
        .value_kind:     by_value
    .group_segment_fixed_size: 22272
    .kernarg_segment_align: 8
    .kernarg_segment_size: 76
    .language:       OpenCL C
    .language_version:
      - 2
      - 0
    .max_flat_workgroup_size: 256
    .name:           _ZL8moe_q4_1IN3c104HalfELb0EEvPKvS3_PT_PKiS7_S7_iiiiiii
    .private_segment_fixed_size: 0
    .sgpr_count:     30
    .sgpr_spill_count: 0
    .symbol:         _ZL8moe_q4_1IN3c104HalfELb0EEvPKvS3_PT_PKiS7_S7_iiiiiii.kd
    .uniform_work_group_size: 1
    .uses_dynamic_stack: false
    .vgpr_count:     98
    .vgpr_spill_count: 0
    .wavefront_size: 64
  - .agpr_count:     0
    .args:
      - .actual_access:  read_only
        .address_space:  global
        .offset:         0
        .size:           8
        .value_kind:     global_buffer
      - .actual_access:  read_only
        .address_space:  global
        .offset:         8
        .size:           8
        .value_kind:     global_buffer
      - .actual_access:  write_only
        .address_space:  global
        .offset:         16
        .size:           8
        .value_kind:     global_buffer
      - .address_space:  global
        .offset:         24
        .size:           8
        .value_kind:     global_buffer
      - .address_space:  global
        .offset:         32
        .size:           8
        .value_kind:     global_buffer
      - .address_space:  global
        .offset:         40
        .size:           8
        .value_kind:     global_buffer
      - .offset:         48
        .size:           4
        .value_kind:     by_value
      - .offset:         52
        .size:           4
        .value_kind:     by_value
      - .offset:         56
        .size:           4
        .value_kind:     by_value
      - .offset:         60
        .size:           4
        .value_kind:     by_value
      - .offset:         64
        .size:           4
        .value_kind:     by_value
      - .offset:         68
        .size:           4
        .value_kind:     by_value
      - .offset:         72
        .size:           4
        .value_kind:     by_value
    .group_segment_fixed_size: 22272
    .kernarg_segment_align: 8
    .kernarg_segment_size: 76
    .language:       OpenCL C
    .language_version:
      - 2
      - 0
    .max_flat_workgroup_size: 256
    .name:           _ZL8moe_q4_1IN3c104HalfELb1EEvPKvS3_PT_PKiS7_S7_iiiiiii
    .private_segment_fixed_size: 0
    .sgpr_count:     29
    .sgpr_spill_count: 0
    .symbol:         _ZL8moe_q4_1IN3c104HalfELb1EEvPKvS3_PT_PKiS7_S7_iiiiiii.kd
    .uniform_work_group_size: 1
    .uses_dynamic_stack: false
    .vgpr_count:     110
    .vgpr_spill_count: 0
    .wavefront_size: 64
  - .agpr_count:     0
    .args:
      - .actual_access:  read_only
        .address_space:  global
        .offset:         0
        .size:           8
        .value_kind:     global_buffer
      - .actual_access:  read_only
        .address_space:  global
        .offset:         8
        .size:           8
        .value_kind:     global_buffer
      - .actual_access:  write_only
        .address_space:  global
        .offset:         16
        .size:           8
        .value_kind:     global_buffer
      - .address_space:  global
        .offset:         24
        .size:           8
        .value_kind:     global_buffer
      - .address_space:  global
        .offset:         32
        .size:           8
        .value_kind:     global_buffer
      - .address_space:  global
        .offset:         40
        .size:           8
        .value_kind:     global_buffer
      - .offset:         48
        .size:           4
        .value_kind:     by_value
      - .offset:         52
        .size:           4
        .value_kind:     by_value
      - .offset:         56
        .size:           4
        .value_kind:     by_value
      - .offset:         60
        .size:           4
        .value_kind:     by_value
      - .offset:         64
        .size:           4
        .value_kind:     by_value
      - .offset:         68
        .size:           4
        .value_kind:     by_value
      - .offset:         72
        .size:           4
        .value_kind:     by_value
    .group_segment_fixed_size: 38656
    .kernarg_segment_align: 8
    .kernarg_segment_size: 76
    .language:       OpenCL C
    .language_version:
      - 2
      - 0
    .max_flat_workgroup_size: 256
    .name:           _ZL8moe_q5_0IN3c104HalfELb0EEvPKvS3_PT_PKiS7_S7_iiiiiii
    .private_segment_fixed_size: 0
    .sgpr_count:     35
    .sgpr_spill_count: 0
    .symbol:         _ZL8moe_q5_0IN3c104HalfELb0EEvPKvS3_PT_PKiS7_S7_iiiiiii.kd
    .uniform_work_group_size: 1
    .uses_dynamic_stack: false
    .vgpr_count:     168
    .vgpr_spill_count: 0
    .wavefront_size: 64
  - .agpr_count:     0
    .args:
      - .actual_access:  read_only
        .address_space:  global
        .offset:         0
        .size:           8
        .value_kind:     global_buffer
      - .actual_access:  read_only
        .address_space:  global
        .offset:         8
        .size:           8
        .value_kind:     global_buffer
      - .actual_access:  write_only
        .address_space:  global
        .offset:         16
        .size:           8
        .value_kind:     global_buffer
      - .address_space:  global
        .offset:         24
        .size:           8
        .value_kind:     global_buffer
      - .address_space:  global
        .offset:         32
        .size:           8
        .value_kind:     global_buffer
      - .address_space:  global
        .offset:         40
        .size:           8
        .value_kind:     global_buffer
      - .offset:         48
        .size:           4
        .value_kind:     by_value
      - .offset:         52
        .size:           4
        .value_kind:     by_value
      - .offset:         56
        .size:           4
        .value_kind:     by_value
      - .offset:         60
        .size:           4
        .value_kind:     by_value
      - .offset:         64
        .size:           4
        .value_kind:     by_value
      - .offset:         68
        .size:           4
        .value_kind:     by_value
      - .offset:         72
        .size:           4
        .value_kind:     by_value
    .group_segment_fixed_size: 38656
    .kernarg_segment_align: 8
    .kernarg_segment_size: 76
    .language:       OpenCL C
    .language_version:
      - 2
      - 0
    .max_flat_workgroup_size: 256
    .name:           _ZL8moe_q5_0IN3c104HalfELb1EEvPKvS3_PT_PKiS7_S7_iiiiiii
    .private_segment_fixed_size: 0
    .sgpr_count:     35
    .sgpr_spill_count: 0
    .symbol:         _ZL8moe_q5_0IN3c104HalfELb1EEvPKvS3_PT_PKiS7_S7_iiiiiii.kd
    .uniform_work_group_size: 1
    .uses_dynamic_stack: false
    .vgpr_count:     168
    .vgpr_spill_count: 0
    .wavefront_size: 64
  - .agpr_count:     0
    .args:
      - .actual_access:  read_only
        .address_space:  global
        .offset:         0
        .size:           8
        .value_kind:     global_buffer
      - .actual_access:  read_only
        .address_space:  global
        .offset:         8
        .size:           8
        .value_kind:     global_buffer
      - .actual_access:  write_only
        .address_space:  global
        .offset:         16
        .size:           8
        .value_kind:     global_buffer
      - .address_space:  global
        .offset:         24
        .size:           8
        .value_kind:     global_buffer
      - .address_space:  global
        .offset:         32
        .size:           8
        .value_kind:     global_buffer
      - .address_space:  global
        .offset:         40
        .size:           8
        .value_kind:     global_buffer
      - .offset:         48
        .size:           4
        .value_kind:     by_value
      - .offset:         52
        .size:           4
        .value_kind:     by_value
      - .offset:         56
        .size:           4
        .value_kind:     by_value
      - .offset:         60
        .size:           4
        .value_kind:     by_value
      - .offset:         64
        .size:           4
        .value_kind:     by_value
      - .offset:         68
        .size:           4
        .value_kind:     by_value
      - .offset:         72
        .size:           4
        .value_kind:     by_value
    .group_segment_fixed_size: 38656
    .kernarg_segment_align: 8
    .kernarg_segment_size: 76
    .language:       OpenCL C
    .language_version:
      - 2
      - 0
    .max_flat_workgroup_size: 256
    .name:           _ZL8moe_q5_1IN3c104HalfELb0EEvPKvS3_PT_PKiS7_S7_iiiiiii
    .private_segment_fixed_size: 0
    .sgpr_count:     30
    .sgpr_spill_count: 0
    .symbol:         _ZL8moe_q5_1IN3c104HalfELb0EEvPKvS3_PT_PKiS7_S7_iiiiiii.kd
    .uniform_work_group_size: 1
    .uses_dynamic_stack: false
    .vgpr_count:     129
    .vgpr_spill_count: 0
    .wavefront_size: 64
  - .agpr_count:     0
    .args:
      - .actual_access:  read_only
        .address_space:  global
        .offset:         0
        .size:           8
        .value_kind:     global_buffer
      - .actual_access:  read_only
        .address_space:  global
        .offset:         8
        .size:           8
        .value_kind:     global_buffer
      - .actual_access:  write_only
        .address_space:  global
        .offset:         16
        .size:           8
        .value_kind:     global_buffer
      - .address_space:  global
        .offset:         24
        .size:           8
        .value_kind:     global_buffer
      - .address_space:  global
        .offset:         32
        .size:           8
        .value_kind:     global_buffer
      - .address_space:  global
        .offset:         40
        .size:           8
        .value_kind:     global_buffer
      - .offset:         48
        .size:           4
        .value_kind:     by_value
      - .offset:         52
        .size:           4
        .value_kind:     by_value
      - .offset:         56
        .size:           4
        .value_kind:     by_value
      - .offset:         60
        .size:           4
        .value_kind:     by_value
      - .offset:         64
        .size:           4
        .value_kind:     by_value
      - .offset:         68
        .size:           4
        .value_kind:     by_value
      - .offset:         72
        .size:           4
        .value_kind:     by_value
    .group_segment_fixed_size: 38656
    .kernarg_segment_align: 8
    .kernarg_segment_size: 76
    .language:       OpenCL C
    .language_version:
      - 2
      - 0
    .max_flat_workgroup_size: 256
    .name:           _ZL8moe_q5_1IN3c104HalfELb1EEvPKvS3_PT_PKiS7_S7_iiiiiii
    .private_segment_fixed_size: 0
    .sgpr_count:     29
    .sgpr_spill_count: 0
    .symbol:         _ZL8moe_q5_1IN3c104HalfELb1EEvPKvS3_PT_PKiS7_S7_iiiiiii.kd
    .uniform_work_group_size: 1
    .uses_dynamic_stack: false
    .vgpr_count:     135
    .vgpr_spill_count: 0
    .wavefront_size: 64
  - .agpr_count:     0
    .args:
      - .actual_access:  read_only
        .address_space:  global
        .offset:         0
        .size:           8
        .value_kind:     global_buffer
      - .actual_access:  read_only
        .address_space:  global
        .offset:         8
        .size:           8
        .value_kind:     global_buffer
      - .actual_access:  write_only
        .address_space:  global
        .offset:         16
        .size:           8
        .value_kind:     global_buffer
      - .address_space:  global
        .offset:         24
        .size:           8
        .value_kind:     global_buffer
      - .address_space:  global
        .offset:         32
        .size:           8
        .value_kind:     global_buffer
      - .address_space:  global
        .offset:         40
        .size:           8
        .value_kind:     global_buffer
      - .offset:         48
        .size:           4
        .value_kind:     by_value
      - .offset:         52
        .size:           4
        .value_kind:     by_value
      - .offset:         56
        .size:           4
        .value_kind:     by_value
      - .offset:         60
        .size:           4
        .value_kind:     by_value
      - .offset:         64
        .size:           4
        .value_kind:     by_value
      - .offset:         68
        .size:           4
        .value_kind:     by_value
      - .offset:         72
        .size:           4
        .value_kind:     by_value
    .group_segment_fixed_size: 20160
    .kernarg_segment_align: 8
    .kernarg_segment_size: 76
    .language:       OpenCL C
    .language_version:
      - 2
      - 0
    .max_flat_workgroup_size: 256
    .name:           _ZL8moe_q8_0IN3c104HalfELb0EEvPKvS3_PT_PKiS7_S7_iiiiiii
    .private_segment_fixed_size: 0
    .sgpr_count:     26
    .sgpr_spill_count: 0
    .symbol:         _ZL8moe_q8_0IN3c104HalfELb0EEvPKvS3_PT_PKiS7_S7_iiiiiii.kd
    .uniform_work_group_size: 1
    .uses_dynamic_stack: false
    .vgpr_count:     115
    .vgpr_spill_count: 0
    .wavefront_size: 64
  - .agpr_count:     0
    .args:
      - .actual_access:  read_only
        .address_space:  global
        .offset:         0
        .size:           8
        .value_kind:     global_buffer
      - .actual_access:  read_only
        .address_space:  global
        .offset:         8
        .size:           8
        .value_kind:     global_buffer
      - .actual_access:  write_only
        .address_space:  global
        .offset:         16
        .size:           8
        .value_kind:     global_buffer
      - .address_space:  global
        .offset:         24
        .size:           8
        .value_kind:     global_buffer
      - .address_space:  global
        .offset:         32
        .size:           8
        .value_kind:     global_buffer
      - .address_space:  global
        .offset:         40
        .size:           8
        .value_kind:     global_buffer
      - .offset:         48
        .size:           4
        .value_kind:     by_value
      - .offset:         52
        .size:           4
        .value_kind:     by_value
      - .offset:         56
        .size:           4
        .value_kind:     by_value
      - .offset:         60
        .size:           4
        .value_kind:     by_value
      - .offset:         64
        .size:           4
        .value_kind:     by_value
      - .offset:         68
        .size:           4
        .value_kind:     by_value
      - .offset:         72
        .size:           4
        .value_kind:     by_value
    .group_segment_fixed_size: 20160
    .kernarg_segment_align: 8
    .kernarg_segment_size: 76
    .language:       OpenCL C
    .language_version:
      - 2
      - 0
    .max_flat_workgroup_size: 256
    .name:           _ZL8moe_q8_0IN3c104HalfELb1EEvPKvS3_PT_PKiS7_S7_iiiiiii
    .private_segment_fixed_size: 0
    .sgpr_count:     28
    .sgpr_spill_count: 0
    .symbol:         _ZL8moe_q8_0IN3c104HalfELb1EEvPKvS3_PT_PKiS7_S7_iiiiiii.kd
    .uniform_work_group_size: 1
    .uses_dynamic_stack: false
    .vgpr_count:     128
    .vgpr_spill_count: 0
    .wavefront_size: 64
  - .agpr_count:     0
    .args:
      - .actual_access:  read_only
        .address_space:  global
        .offset:         0
        .size:           8
        .value_kind:     global_buffer
      - .actual_access:  read_only
        .address_space:  global
        .offset:         8
        .size:           8
        .value_kind:     global_buffer
      - .actual_access:  write_only
        .address_space:  global
        .offset:         16
        .size:           8
        .value_kind:     global_buffer
      - .address_space:  global
        .offset:         24
        .size:           8
        .value_kind:     global_buffer
      - .address_space:  global
        .offset:         32
        .size:           8
        .value_kind:     global_buffer
      - .address_space:  global
        .offset:         40
        .size:           8
        .value_kind:     global_buffer
      - .offset:         48
        .size:           4
        .value_kind:     by_value
      - .offset:         52
        .size:           4
        .value_kind:     by_value
      - .offset:         56
        .size:           4
        .value_kind:     by_value
      - .offset:         60
        .size:           4
        .value_kind:     by_value
      - .offset:         64
        .size:           4
        .value_kind:     by_value
      - .offset:         68
        .size:           4
        .value_kind:     by_value
      - .offset:         72
        .size:           4
        .value_kind:     by_value
    .group_segment_fixed_size: 23328
    .kernarg_segment_align: 8
    .kernarg_segment_size: 76
    .language:       OpenCL C
    .language_version:
      - 2
      - 0
    .max_flat_workgroup_size: 256
    .name:           _ZL8moe_q2_KIN3c104HalfELb0EEvPKvS3_PT_PKiS7_S7_iiiiiii
    .private_segment_fixed_size: 0
    .sgpr_count:     34
    .sgpr_spill_count: 0
    .symbol:         _ZL8moe_q2_KIN3c104HalfELb0EEvPKvS3_PT_PKiS7_S7_iiiiiii.kd
    .uniform_work_group_size: 1
    .uses_dynamic_stack: false
    .vgpr_count:     102
    .vgpr_spill_count: 0
    .wavefront_size: 64
  - .agpr_count:     0
    .args:
      - .actual_access:  read_only
        .address_space:  global
        .offset:         0
        .size:           8
        .value_kind:     global_buffer
      - .actual_access:  read_only
        .address_space:  global
        .offset:         8
        .size:           8
        .value_kind:     global_buffer
      - .actual_access:  write_only
        .address_space:  global
        .offset:         16
        .size:           8
        .value_kind:     global_buffer
      - .address_space:  global
        .offset:         24
        .size:           8
        .value_kind:     global_buffer
      - .address_space:  global
        .offset:         32
        .size:           8
        .value_kind:     global_buffer
      - .address_space:  global
        .offset:         40
        .size:           8
        .value_kind:     global_buffer
      - .offset:         48
        .size:           4
        .value_kind:     by_value
      - .offset:         52
        .size:           4
        .value_kind:     by_value
      - .offset:         56
        .size:           4
        .value_kind:     by_value
      - .offset:         60
        .size:           4
        .value_kind:     by_value
      - .offset:         64
        .size:           4
        .value_kind:     by_value
      - .offset:         68
        .size:           4
        .value_kind:     by_value
      - .offset:         72
        .size:           4
        .value_kind:     by_value
    .group_segment_fixed_size: 23328
    .kernarg_segment_align: 8
    .kernarg_segment_size: 76
    .language:       OpenCL C
    .language_version:
      - 2
      - 0
    .max_flat_workgroup_size: 256
    .name:           _ZL8moe_q2_KIN3c104HalfELb1EEvPKvS3_PT_PKiS7_S7_iiiiiii
    .private_segment_fixed_size: 0
    .sgpr_count:     34
    .sgpr_spill_count: 0
    .symbol:         _ZL8moe_q2_KIN3c104HalfELb1EEvPKvS3_PT_PKiS7_S7_iiiiiii.kd
    .uniform_work_group_size: 1
    .uses_dynamic_stack: false
    .vgpr_count:     121
    .vgpr_spill_count: 0
    .wavefront_size: 64
  - .agpr_count:     0
    .args:
      - .actual_access:  read_only
        .address_space:  global
        .offset:         0
        .size:           8
        .value_kind:     global_buffer
      - .actual_access:  read_only
        .address_space:  global
        .offset:         8
        .size:           8
        .value_kind:     global_buffer
      - .actual_access:  write_only
        .address_space:  global
        .offset:         16
        .size:           8
        .value_kind:     global_buffer
      - .address_space:  global
        .offset:         24
        .size:           8
        .value_kind:     global_buffer
      - .address_space:  global
        .offset:         32
        .size:           8
        .value_kind:     global_buffer
      - .address_space:  global
        .offset:         40
        .size:           8
        .value_kind:     global_buffer
      - .offset:         48
        .size:           4
        .value_kind:     by_value
      - .offset:         52
        .size:           4
        .value_kind:     by_value
      - .offset:         56
        .size:           4
        .value_kind:     by_value
      - .offset:         60
        .size:           4
        .value_kind:     by_value
      - .offset:         64
        .size:           4
        .value_kind:     by_value
      - .offset:         68
        .size:           4
        .value_kind:     by_value
      - .offset:         72
        .size:           4
        .value_kind:     by_value
    .group_segment_fixed_size: 31776
    .kernarg_segment_align: 8
    .kernarg_segment_size: 76
    .language:       OpenCL C
    .language_version:
      - 2
      - 0
    .max_flat_workgroup_size: 256
    .name:           _ZL8moe_q3_KIN3c104HalfELb0EEvPKvS3_PT_PKiS7_S7_iiiiiii
    .private_segment_fixed_size: 0
    .sgpr_count:     42
    .sgpr_spill_count: 0
    .symbol:         _ZL8moe_q3_KIN3c104HalfELb0EEvPKvS3_PT_PKiS7_S7_iiiiiii.kd
    .uniform_work_group_size: 1
    .uses_dynamic_stack: false
    .vgpr_count:     153
    .vgpr_spill_count: 0
    .wavefront_size: 64
  - .agpr_count:     0
    .args:
      - .actual_access:  read_only
        .address_space:  global
        .offset:         0
        .size:           8
        .value_kind:     global_buffer
      - .actual_access:  read_only
        .address_space:  global
        .offset:         8
        .size:           8
        .value_kind:     global_buffer
      - .actual_access:  write_only
        .address_space:  global
        .offset:         16
        .size:           8
        .value_kind:     global_buffer
      - .address_space:  global
        .offset:         24
        .size:           8
        .value_kind:     global_buffer
      - .address_space:  global
        .offset:         32
        .size:           8
        .value_kind:     global_buffer
      - .address_space:  global
        .offset:         40
        .size:           8
        .value_kind:     global_buffer
      - .offset:         48
        .size:           4
        .value_kind:     by_value
      - .offset:         52
        .size:           4
        .value_kind:     by_value
      - .offset:         56
        .size:           4
        .value_kind:     by_value
      - .offset:         60
        .size:           4
        .value_kind:     by_value
      - .offset:         64
        .size:           4
        .value_kind:     by_value
      - .offset:         68
        .size:           4
        .value_kind:     by_value
      - .offset:         72
        .size:           4
        .value_kind:     by_value
    .group_segment_fixed_size: 31776
    .kernarg_segment_align: 8
    .kernarg_segment_size: 76
    .language:       OpenCL C
    .language_version:
      - 2
      - 0
    .max_flat_workgroup_size: 256
    .name:           _ZL8moe_q3_KIN3c104HalfELb1EEvPKvS3_PT_PKiS7_S7_iiiiiii
    .private_segment_fixed_size: 0
    .sgpr_count:     42
    .sgpr_spill_count: 0
    .symbol:         _ZL8moe_q3_KIN3c104HalfELb1EEvPKvS3_PT_PKiS7_S7_iiiiiii.kd
    .uniform_work_group_size: 1
    .uses_dynamic_stack: false
    .vgpr_count:     152
    .vgpr_spill_count: 0
    .wavefront_size: 64
  - .agpr_count:     0
    .args:
      - .actual_access:  read_only
        .address_space:  global
        .offset:         0
        .size:           8
        .value_kind:     global_buffer
      - .actual_access:  read_only
        .address_space:  global
        .offset:         8
        .size:           8
        .value_kind:     global_buffer
      - .actual_access:  write_only
        .address_space:  global
        .offset:         16
        .size:           8
        .value_kind:     global_buffer
      - .address_space:  global
        .offset:         24
        .size:           8
        .value_kind:     global_buffer
      - .address_space:  global
        .offset:         32
        .size:           8
        .value_kind:     global_buffer
      - .address_space:  global
        .offset:         40
        .size:           8
        .value_kind:     global_buffer
      - .offset:         48
        .size:           4
        .value_kind:     by_value
      - .offset:         52
        .size:           4
        .value_kind:     by_value
      - .offset:         56
        .size:           4
        .value_kind:     by_value
      - .offset:         60
        .size:           4
        .value_kind:     by_value
      - .offset:         64
        .size:           4
        .value_kind:     by_value
      - .offset:         68
        .size:           4
        .value_kind:     by_value
      - .offset:         72
        .size:           4
        .value_kind:     by_value
    .group_segment_fixed_size: 20688
    .kernarg_segment_align: 8
    .kernarg_segment_size: 76
    .language:       OpenCL C
    .language_version:
      - 2
      - 0
    .max_flat_workgroup_size: 256
    .name:           _ZL8moe_q4_KIN3c104HalfELb0EEvPKvS3_PT_PKiS7_S7_iiiiiii
    .private_segment_fixed_size: 0
    .sgpr_count:     33
    .sgpr_spill_count: 0
    .symbol:         _ZL8moe_q4_KIN3c104HalfELb0EEvPKvS3_PT_PKiS7_S7_iiiiiii.kd
    .uniform_work_group_size: 1
    .uses_dynamic_stack: false
    .vgpr_count:     171
    .vgpr_spill_count: 0
    .wavefront_size: 64
  - .agpr_count:     0
    .args:
      - .actual_access:  read_only
        .address_space:  global
        .offset:         0
        .size:           8
        .value_kind:     global_buffer
      - .actual_access:  read_only
        .address_space:  global
        .offset:         8
        .size:           8
        .value_kind:     global_buffer
      - .actual_access:  write_only
        .address_space:  global
        .offset:         16
        .size:           8
        .value_kind:     global_buffer
      - .address_space:  global
        .offset:         24
        .size:           8
        .value_kind:     global_buffer
      - .address_space:  global
        .offset:         32
        .size:           8
        .value_kind:     global_buffer
      - .address_space:  global
        .offset:         40
        .size:           8
        .value_kind:     global_buffer
      - .offset:         48
        .size:           4
        .value_kind:     by_value
      - .offset:         52
        .size:           4
        .value_kind:     by_value
      - .offset:         56
        .size:           4
        .value_kind:     by_value
      - .offset:         60
        .size:           4
        .value_kind:     by_value
      - .offset:         64
        .size:           4
        .value_kind:     by_value
      - .offset:         68
        .size:           4
        .value_kind:     by_value
      - .offset:         72
        .size:           4
        .value_kind:     by_value
    .group_segment_fixed_size: 20688
    .kernarg_segment_align: 8
    .kernarg_segment_size: 76
    .language:       OpenCL C
    .language_version:
      - 2
      - 0
    .max_flat_workgroup_size: 256
    .name:           _ZL8moe_q4_KIN3c104HalfELb1EEvPKvS3_PT_PKiS7_S7_iiiiiii
    .private_segment_fixed_size: 0
    .sgpr_count:     34
    .sgpr_spill_count: 0
    .symbol:         _ZL8moe_q4_KIN3c104HalfELb1EEvPKvS3_PT_PKiS7_S7_iiiiiii.kd
    .uniform_work_group_size: 1
    .uses_dynamic_stack: false
    .vgpr_count:     171
    .vgpr_spill_count: 0
    .wavefront_size: 64
  - .agpr_count:     0
    .args:
      - .actual_access:  read_only
        .address_space:  global
        .offset:         0
        .size:           8
        .value_kind:     global_buffer
      - .actual_access:  read_only
        .address_space:  global
        .offset:         8
        .size:           8
        .value_kind:     global_buffer
      - .actual_access:  write_only
        .address_space:  global
        .offset:         16
        .size:           8
        .value_kind:     global_buffer
      - .address_space:  global
        .offset:         24
        .size:           8
        .value_kind:     global_buffer
      - .address_space:  global
        .offset:         32
        .size:           8
        .value_kind:     global_buffer
      - .address_space:  global
        .offset:         40
        .size:           8
        .value_kind:     global_buffer
      - .offset:         48
        .size:           4
        .value_kind:     by_value
      - .offset:         52
        .size:           4
        .value_kind:     by_value
      - .offset:         56
        .size:           4
        .value_kind:     by_value
      - .offset:         60
        .size:           4
        .value_kind:     by_value
      - .offset:         64
        .size:           4
        .value_kind:     by_value
      - .offset:         68
        .size:           4
        .value_kind:     by_value
      - .offset:         72
        .size:           4
        .value_kind:     by_value
    .group_segment_fixed_size: 37072
    .kernarg_segment_align: 8
    .kernarg_segment_size: 76
    .language:       OpenCL C
    .language_version:
      - 2
      - 0
    .max_flat_workgroup_size: 256
    .name:           _ZL8moe_q5_KIN3c104HalfELb0EEvPKvS3_PT_PKiS7_S7_iiiiiii
    .private_segment_fixed_size: 0
    .sgpr_count:     33
    .sgpr_spill_count: 0
    .symbol:         _ZL8moe_q5_KIN3c104HalfELb0EEvPKvS3_PT_PKiS7_S7_iiiiiii.kd
    .uniform_work_group_size: 1
    .uses_dynamic_stack: false
    .vgpr_count:     189
    .vgpr_spill_count: 0
    .wavefront_size: 64
  - .agpr_count:     0
    .args:
      - .actual_access:  read_only
        .address_space:  global
        .offset:         0
        .size:           8
        .value_kind:     global_buffer
      - .actual_access:  read_only
        .address_space:  global
        .offset:         8
        .size:           8
        .value_kind:     global_buffer
      - .actual_access:  write_only
        .address_space:  global
        .offset:         16
        .size:           8
        .value_kind:     global_buffer
      - .address_space:  global
        .offset:         24
        .size:           8
        .value_kind:     global_buffer
      - .address_space:  global
        .offset:         32
        .size:           8
        .value_kind:     global_buffer
      - .address_space:  global
        .offset:         40
        .size:           8
        .value_kind:     global_buffer
      - .offset:         48
        .size:           4
        .value_kind:     by_value
      - .offset:         52
        .size:           4
        .value_kind:     by_value
      - .offset:         56
        .size:           4
        .value_kind:     by_value
      - .offset:         60
        .size:           4
        .value_kind:     by_value
      - .offset:         64
        .size:           4
        .value_kind:     by_value
      - .offset:         68
        .size:           4
        .value_kind:     by_value
      - .offset:         72
        .size:           4
        .value_kind:     by_value
    .group_segment_fixed_size: 37072
    .kernarg_segment_align: 8
    .kernarg_segment_size: 76
    .language:       OpenCL C
    .language_version:
      - 2
      - 0
    .max_flat_workgroup_size: 256
    .name:           _ZL8moe_q5_KIN3c104HalfELb1EEvPKvS3_PT_PKiS7_S7_iiiiiii
    .private_segment_fixed_size: 0
    .sgpr_count:     32
    .sgpr_spill_count: 0
    .symbol:         _ZL8moe_q5_KIN3c104HalfELb1EEvPKvS3_PT_PKiS7_S7_iiiiiii.kd
    .uniform_work_group_size: 1
    .uses_dynamic_stack: false
    .vgpr_count:     189
    .vgpr_spill_count: 0
    .wavefront_size: 64
  - .agpr_count:     0
    .args:
      - .actual_access:  read_only
        .address_space:  global
        .offset:         0
        .size:           8
        .value_kind:     global_buffer
      - .actual_access:  read_only
        .address_space:  global
        .offset:         8
        .size:           8
        .value_kind:     global_buffer
      - .actual_access:  write_only
        .address_space:  global
        .offset:         16
        .size:           8
        .value_kind:     global_buffer
      - .address_space:  global
        .offset:         24
        .size:           8
        .value_kind:     global_buffer
      - .address_space:  global
        .offset:         32
        .size:           8
        .value_kind:     global_buffer
      - .address_space:  global
        .offset:         40
        .size:           8
        .value_kind:     global_buffer
      - .offset:         48
        .size:           4
        .value_kind:     by_value
      - .offset:         52
        .size:           4
        .value_kind:     by_value
      - .offset:         56
        .size:           4
        .value_kind:     by_value
      - .offset:         60
        .size:           4
        .value_kind:     by_value
      - .offset:         64
        .size:           4
        .value_kind:     by_value
      - .offset:         68
        .size:           4
        .value_kind:     by_value
      - .offset:         72
        .size:           4
        .value_kind:     by_value
    .group_segment_fixed_size: 37072
    .kernarg_segment_align: 8
    .kernarg_segment_size: 76
    .language:       OpenCL C
    .language_version:
      - 2
      - 0
    .max_flat_workgroup_size: 256
    .name:           _ZL8moe_q6_KIN3c104HalfELb0EEvPKvS3_PT_PKiS7_S7_iiiiiii
    .private_segment_fixed_size: 0
    .sgpr_count:     33
    .sgpr_spill_count: 0
    .symbol:         _ZL8moe_q6_KIN3c104HalfELb0EEvPKvS3_PT_PKiS7_S7_iiiiiii.kd
    .uniform_work_group_size: 1
    .uses_dynamic_stack: false
    .vgpr_count:     169
    .vgpr_spill_count: 0
    .wavefront_size: 64
  - .agpr_count:     0
    .args:
      - .actual_access:  read_only
        .address_space:  global
        .offset:         0
        .size:           8
        .value_kind:     global_buffer
      - .actual_access:  read_only
        .address_space:  global
        .offset:         8
        .size:           8
        .value_kind:     global_buffer
      - .actual_access:  write_only
        .address_space:  global
        .offset:         16
        .size:           8
        .value_kind:     global_buffer
      - .address_space:  global
        .offset:         24
        .size:           8
        .value_kind:     global_buffer
      - .address_space:  global
        .offset:         32
        .size:           8
        .value_kind:     global_buffer
      - .address_space:  global
        .offset:         40
        .size:           8
        .value_kind:     global_buffer
      - .offset:         48
        .size:           4
        .value_kind:     by_value
      - .offset:         52
        .size:           4
        .value_kind:     by_value
      - .offset:         56
        .size:           4
        .value_kind:     by_value
      - .offset:         60
        .size:           4
        .value_kind:     by_value
      - .offset:         64
        .size:           4
        .value_kind:     by_value
      - .offset:         68
        .size:           4
        .value_kind:     by_value
      - .offset:         72
        .size:           4
        .value_kind:     by_value
    .group_segment_fixed_size: 37072
    .kernarg_segment_align: 8
    .kernarg_segment_size: 76
    .language:       OpenCL C
    .language_version:
      - 2
      - 0
    .max_flat_workgroup_size: 256
    .name:           _ZL8moe_q6_KIN3c104HalfELb1EEvPKvS3_PT_PKiS7_S7_iiiiiii
    .private_segment_fixed_size: 0
    .sgpr_count:     34
    .sgpr_spill_count: 0
    .symbol:         _ZL8moe_q6_KIN3c104HalfELb1EEvPKvS3_PT_PKiS7_S7_iiiiiii.kd
    .uniform_work_group_size: 1
    .uses_dynamic_stack: false
    .vgpr_count:     177
    .vgpr_spill_count: 0
    .wavefront_size: 64
  - .agpr_count:     0
    .args:
      - .actual_access:  read_only
        .address_space:  global
        .offset:         0
        .size:           8
        .value_kind:     global_buffer
      - .actual_access:  read_only
        .address_space:  global
        .offset:         8
        .size:           8
        .value_kind:     global_buffer
      - .actual_access:  write_only
        .address_space:  global
        .offset:         16
        .size:           8
        .value_kind:     global_buffer
      - .address_space:  global
        .offset:         24
        .size:           8
        .value_kind:     global_buffer
      - .address_space:  global
        .offset:         32
        .size:           8
        .value_kind:     global_buffer
      - .address_space:  global
        .offset:         40
        .size:           8
        .value_kind:     global_buffer
      - .offset:         48
        .size:           4
        .value_kind:     by_value
      - .offset:         52
        .size:           4
        .value_kind:     by_value
      - .offset:         56
        .size:           4
        .value_kind:     by_value
      - .offset:         60
        .size:           4
        .value_kind:     by_value
      - .offset:         64
        .size:           4
        .value_kind:     by_value
      - .offset:         68
        .size:           4
        .value_kind:     by_value
      - .offset:         72
        .size:           4
        .value_kind:     by_value
    .group_segment_fixed_size: 22272
    .kernarg_segment_align: 8
    .kernarg_segment_size: 76
    .language:       OpenCL C
    .language_version:
      - 2
      - 0
    .max_flat_workgroup_size: 256
    .name:           _ZL8moe_q4_0IN3c108BFloat16ELb0EEvPKvS3_PT_PKiS7_S7_iiiiiii
    .private_segment_fixed_size: 0
    .sgpr_count:     30
    .sgpr_spill_count: 0
    .symbol:         _ZL8moe_q4_0IN3c108BFloat16ELb0EEvPKvS3_PT_PKiS7_S7_iiiiiii.kd
    .uniform_work_group_size: 1
    .uses_dynamic_stack: false
    .vgpr_count:     100
    .vgpr_spill_count: 0
    .wavefront_size: 64
  - .agpr_count:     0
    .args:
      - .actual_access:  read_only
        .address_space:  global
        .offset:         0
        .size:           8
        .value_kind:     global_buffer
      - .actual_access:  read_only
        .address_space:  global
        .offset:         8
        .size:           8
        .value_kind:     global_buffer
      - .actual_access:  write_only
        .address_space:  global
        .offset:         16
        .size:           8
        .value_kind:     global_buffer
      - .address_space:  global
        .offset:         24
        .size:           8
        .value_kind:     global_buffer
      - .address_space:  global
        .offset:         32
        .size:           8
        .value_kind:     global_buffer
      - .address_space:  global
        .offset:         40
        .size:           8
        .value_kind:     global_buffer
      - .offset:         48
        .size:           4
        .value_kind:     by_value
      - .offset:         52
        .size:           4
        .value_kind:     by_value
      - .offset:         56
        .size:           4
        .value_kind:     by_value
      - .offset:         60
        .size:           4
        .value_kind:     by_value
      - .offset:         64
        .size:           4
        .value_kind:     by_value
      - .offset:         68
        .size:           4
        .value_kind:     by_value
      - .offset:         72
        .size:           4
        .value_kind:     by_value
    .group_segment_fixed_size: 22272
    .kernarg_segment_align: 8
    .kernarg_segment_size: 76
    .language:       OpenCL C
    .language_version:
      - 2
      - 0
    .max_flat_workgroup_size: 256
    .name:           _ZL8moe_q4_0IN3c108BFloat16ELb1EEvPKvS3_PT_PKiS7_S7_iiiiiii
    .private_segment_fixed_size: 0
    .sgpr_count:     29
    .sgpr_spill_count: 0
    .symbol:         _ZL8moe_q4_0IN3c108BFloat16ELb1EEvPKvS3_PT_PKiS7_S7_iiiiiii.kd
    .uniform_work_group_size: 1
    .uses_dynamic_stack: false
    .vgpr_count:     112
    .vgpr_spill_count: 0
    .wavefront_size: 64
  - .agpr_count:     0
    .args:
      - .actual_access:  read_only
        .address_space:  global
        .offset:         0
        .size:           8
        .value_kind:     global_buffer
      - .actual_access:  read_only
        .address_space:  global
        .offset:         8
        .size:           8
        .value_kind:     global_buffer
      - .actual_access:  write_only
        .address_space:  global
        .offset:         16
        .size:           8
        .value_kind:     global_buffer
      - .address_space:  global
        .offset:         24
        .size:           8
        .value_kind:     global_buffer
      - .address_space:  global
        .offset:         32
        .size:           8
        .value_kind:     global_buffer
      - .address_space:  global
        .offset:         40
        .size:           8
        .value_kind:     global_buffer
      - .offset:         48
        .size:           4
        .value_kind:     by_value
      - .offset:         52
        .size:           4
        .value_kind:     by_value
      - .offset:         56
        .size:           4
        .value_kind:     by_value
      - .offset:         60
        .size:           4
        .value_kind:     by_value
      - .offset:         64
        .size:           4
        .value_kind:     by_value
      - .offset:         68
        .size:           4
        .value_kind:     by_value
      - .offset:         72
        .size:           4
        .value_kind:     by_value
    .group_segment_fixed_size: 22272
    .kernarg_segment_align: 8
    .kernarg_segment_size: 76
    .language:       OpenCL C
    .language_version:
      - 2
      - 0
    .max_flat_workgroup_size: 256
    .name:           _ZL8moe_q4_1IN3c108BFloat16ELb0EEvPKvS3_PT_PKiS7_S7_iiiiiii
    .private_segment_fixed_size: 0
    .sgpr_count:     30
    .sgpr_spill_count: 0
    .symbol:         _ZL8moe_q4_1IN3c108BFloat16ELb0EEvPKvS3_PT_PKiS7_S7_iiiiiii.kd
    .uniform_work_group_size: 1
    .uses_dynamic_stack: false
    .vgpr_count:     98
    .vgpr_spill_count: 0
    .wavefront_size: 64
  - .agpr_count:     0
    .args:
      - .actual_access:  read_only
        .address_space:  global
        .offset:         0
        .size:           8
        .value_kind:     global_buffer
      - .actual_access:  read_only
        .address_space:  global
        .offset:         8
        .size:           8
        .value_kind:     global_buffer
      - .actual_access:  write_only
        .address_space:  global
        .offset:         16
        .size:           8
        .value_kind:     global_buffer
      - .address_space:  global
        .offset:         24
        .size:           8
        .value_kind:     global_buffer
      - .address_space:  global
        .offset:         32
        .size:           8
        .value_kind:     global_buffer
      - .address_space:  global
        .offset:         40
        .size:           8
        .value_kind:     global_buffer
      - .offset:         48
        .size:           4
        .value_kind:     by_value
      - .offset:         52
        .size:           4
        .value_kind:     by_value
      - .offset:         56
        .size:           4
        .value_kind:     by_value
      - .offset:         60
        .size:           4
        .value_kind:     by_value
      - .offset:         64
        .size:           4
        .value_kind:     by_value
      - .offset:         68
        .size:           4
        .value_kind:     by_value
      - .offset:         72
        .size:           4
        .value_kind:     by_value
    .group_segment_fixed_size: 22272
    .kernarg_segment_align: 8
    .kernarg_segment_size: 76
    .language:       OpenCL C
    .language_version:
      - 2
      - 0
    .max_flat_workgroup_size: 256
    .name:           _ZL8moe_q4_1IN3c108BFloat16ELb1EEvPKvS3_PT_PKiS7_S7_iiiiiii
    .private_segment_fixed_size: 0
    .sgpr_count:     29
    .sgpr_spill_count: 0
    .symbol:         _ZL8moe_q4_1IN3c108BFloat16ELb1EEvPKvS3_PT_PKiS7_S7_iiiiiii.kd
    .uniform_work_group_size: 1
    .uses_dynamic_stack: false
    .vgpr_count:     110
    .vgpr_spill_count: 0
    .wavefront_size: 64
  - .agpr_count:     0
    .args:
      - .actual_access:  read_only
        .address_space:  global
        .offset:         0
        .size:           8
        .value_kind:     global_buffer
      - .actual_access:  read_only
        .address_space:  global
        .offset:         8
        .size:           8
        .value_kind:     global_buffer
      - .actual_access:  write_only
        .address_space:  global
        .offset:         16
        .size:           8
        .value_kind:     global_buffer
      - .address_space:  global
        .offset:         24
        .size:           8
        .value_kind:     global_buffer
      - .address_space:  global
        .offset:         32
        .size:           8
        .value_kind:     global_buffer
      - .address_space:  global
        .offset:         40
        .size:           8
        .value_kind:     global_buffer
      - .offset:         48
        .size:           4
        .value_kind:     by_value
      - .offset:         52
        .size:           4
        .value_kind:     by_value
      - .offset:         56
        .size:           4
        .value_kind:     by_value
      - .offset:         60
        .size:           4
        .value_kind:     by_value
      - .offset:         64
        .size:           4
        .value_kind:     by_value
      - .offset:         68
        .size:           4
        .value_kind:     by_value
      - .offset:         72
        .size:           4
        .value_kind:     by_value
    .group_segment_fixed_size: 38656
    .kernarg_segment_align: 8
    .kernarg_segment_size: 76
    .language:       OpenCL C
    .language_version:
      - 2
      - 0
    .max_flat_workgroup_size: 256
    .name:           _ZL8moe_q5_0IN3c108BFloat16ELb0EEvPKvS3_PT_PKiS7_S7_iiiiiii
    .private_segment_fixed_size: 0
    .sgpr_count:     35
    .sgpr_spill_count: 0
    .symbol:         _ZL8moe_q5_0IN3c108BFloat16ELb0EEvPKvS3_PT_PKiS7_S7_iiiiiii.kd
    .uniform_work_group_size: 1
    .uses_dynamic_stack: false
    .vgpr_count:     168
    .vgpr_spill_count: 0
    .wavefront_size: 64
  - .agpr_count:     0
    .args:
      - .actual_access:  read_only
        .address_space:  global
        .offset:         0
        .size:           8
        .value_kind:     global_buffer
      - .actual_access:  read_only
        .address_space:  global
        .offset:         8
        .size:           8
        .value_kind:     global_buffer
      - .actual_access:  write_only
        .address_space:  global
        .offset:         16
        .size:           8
        .value_kind:     global_buffer
      - .address_space:  global
        .offset:         24
        .size:           8
        .value_kind:     global_buffer
      - .address_space:  global
        .offset:         32
        .size:           8
        .value_kind:     global_buffer
      - .address_space:  global
        .offset:         40
        .size:           8
        .value_kind:     global_buffer
      - .offset:         48
        .size:           4
        .value_kind:     by_value
      - .offset:         52
        .size:           4
        .value_kind:     by_value
      - .offset:         56
        .size:           4
        .value_kind:     by_value
      - .offset:         60
        .size:           4
        .value_kind:     by_value
      - .offset:         64
        .size:           4
        .value_kind:     by_value
      - .offset:         68
        .size:           4
        .value_kind:     by_value
      - .offset:         72
        .size:           4
        .value_kind:     by_value
    .group_segment_fixed_size: 38656
    .kernarg_segment_align: 8
    .kernarg_segment_size: 76
    .language:       OpenCL C
    .language_version:
      - 2
      - 0
    .max_flat_workgroup_size: 256
    .name:           _ZL8moe_q5_0IN3c108BFloat16ELb1EEvPKvS3_PT_PKiS7_S7_iiiiiii
    .private_segment_fixed_size: 0
    .sgpr_count:     35
    .sgpr_spill_count: 0
    .symbol:         _ZL8moe_q5_0IN3c108BFloat16ELb1EEvPKvS3_PT_PKiS7_S7_iiiiiii.kd
    .uniform_work_group_size: 1
    .uses_dynamic_stack: false
    .vgpr_count:     168
    .vgpr_spill_count: 0
    .wavefront_size: 64
  - .agpr_count:     0
    .args:
      - .actual_access:  read_only
        .address_space:  global
        .offset:         0
        .size:           8
        .value_kind:     global_buffer
      - .actual_access:  read_only
        .address_space:  global
        .offset:         8
        .size:           8
        .value_kind:     global_buffer
      - .actual_access:  write_only
        .address_space:  global
        .offset:         16
        .size:           8
        .value_kind:     global_buffer
      - .address_space:  global
        .offset:         24
        .size:           8
        .value_kind:     global_buffer
      - .address_space:  global
        .offset:         32
        .size:           8
        .value_kind:     global_buffer
      - .address_space:  global
        .offset:         40
        .size:           8
        .value_kind:     global_buffer
      - .offset:         48
        .size:           4
        .value_kind:     by_value
      - .offset:         52
        .size:           4
        .value_kind:     by_value
      - .offset:         56
        .size:           4
        .value_kind:     by_value
      - .offset:         60
        .size:           4
        .value_kind:     by_value
      - .offset:         64
        .size:           4
        .value_kind:     by_value
      - .offset:         68
        .size:           4
        .value_kind:     by_value
      - .offset:         72
        .size:           4
        .value_kind:     by_value
    .group_segment_fixed_size: 38656
    .kernarg_segment_align: 8
    .kernarg_segment_size: 76
    .language:       OpenCL C
    .language_version:
      - 2
      - 0
    .max_flat_workgroup_size: 256
    .name:           _ZL8moe_q5_1IN3c108BFloat16ELb0EEvPKvS3_PT_PKiS7_S7_iiiiiii
    .private_segment_fixed_size: 0
    .sgpr_count:     30
    .sgpr_spill_count: 0
    .symbol:         _ZL8moe_q5_1IN3c108BFloat16ELb0EEvPKvS3_PT_PKiS7_S7_iiiiiii.kd
    .uniform_work_group_size: 1
    .uses_dynamic_stack: false
    .vgpr_count:     129
    .vgpr_spill_count: 0
    .wavefront_size: 64
  - .agpr_count:     0
    .args:
      - .actual_access:  read_only
        .address_space:  global
        .offset:         0
        .size:           8
        .value_kind:     global_buffer
      - .actual_access:  read_only
        .address_space:  global
        .offset:         8
        .size:           8
        .value_kind:     global_buffer
      - .actual_access:  write_only
        .address_space:  global
        .offset:         16
        .size:           8
        .value_kind:     global_buffer
      - .address_space:  global
        .offset:         24
        .size:           8
        .value_kind:     global_buffer
      - .address_space:  global
        .offset:         32
        .size:           8
        .value_kind:     global_buffer
      - .address_space:  global
        .offset:         40
        .size:           8
        .value_kind:     global_buffer
      - .offset:         48
        .size:           4
        .value_kind:     by_value
      - .offset:         52
        .size:           4
        .value_kind:     by_value
      - .offset:         56
        .size:           4
        .value_kind:     by_value
      - .offset:         60
        .size:           4
        .value_kind:     by_value
      - .offset:         64
        .size:           4
        .value_kind:     by_value
      - .offset:         68
        .size:           4
        .value_kind:     by_value
      - .offset:         72
        .size:           4
        .value_kind:     by_value
    .group_segment_fixed_size: 38656
    .kernarg_segment_align: 8
    .kernarg_segment_size: 76
    .language:       OpenCL C
    .language_version:
      - 2
      - 0
    .max_flat_workgroup_size: 256
    .name:           _ZL8moe_q5_1IN3c108BFloat16ELb1EEvPKvS3_PT_PKiS7_S7_iiiiiii
    .private_segment_fixed_size: 0
    .sgpr_count:     29
    .sgpr_spill_count: 0
    .symbol:         _ZL8moe_q5_1IN3c108BFloat16ELb1EEvPKvS3_PT_PKiS7_S7_iiiiiii.kd
    .uniform_work_group_size: 1
    .uses_dynamic_stack: false
    .vgpr_count:     135
    .vgpr_spill_count: 0
    .wavefront_size: 64
  - .agpr_count:     0
    .args:
      - .actual_access:  read_only
        .address_space:  global
        .offset:         0
        .size:           8
        .value_kind:     global_buffer
      - .actual_access:  read_only
        .address_space:  global
        .offset:         8
        .size:           8
        .value_kind:     global_buffer
      - .actual_access:  write_only
        .address_space:  global
        .offset:         16
        .size:           8
        .value_kind:     global_buffer
      - .address_space:  global
        .offset:         24
        .size:           8
        .value_kind:     global_buffer
      - .address_space:  global
        .offset:         32
        .size:           8
        .value_kind:     global_buffer
      - .address_space:  global
        .offset:         40
        .size:           8
        .value_kind:     global_buffer
      - .offset:         48
        .size:           4
        .value_kind:     by_value
      - .offset:         52
        .size:           4
        .value_kind:     by_value
      - .offset:         56
        .size:           4
        .value_kind:     by_value
      - .offset:         60
        .size:           4
        .value_kind:     by_value
      - .offset:         64
        .size:           4
        .value_kind:     by_value
      - .offset:         68
        .size:           4
        .value_kind:     by_value
      - .offset:         72
        .size:           4
        .value_kind:     by_value
    .group_segment_fixed_size: 20160
    .kernarg_segment_align: 8
    .kernarg_segment_size: 76
    .language:       OpenCL C
    .language_version:
      - 2
      - 0
    .max_flat_workgroup_size: 256
    .name:           _ZL8moe_q8_0IN3c108BFloat16ELb0EEvPKvS3_PT_PKiS7_S7_iiiiiii
    .private_segment_fixed_size: 0
    .sgpr_count:     26
    .sgpr_spill_count: 0
    .symbol:         _ZL8moe_q8_0IN3c108BFloat16ELb0EEvPKvS3_PT_PKiS7_S7_iiiiiii.kd
    .uniform_work_group_size: 1
    .uses_dynamic_stack: false
    .vgpr_count:     115
    .vgpr_spill_count: 0
    .wavefront_size: 64
  - .agpr_count:     0
    .args:
      - .actual_access:  read_only
        .address_space:  global
        .offset:         0
        .size:           8
        .value_kind:     global_buffer
      - .actual_access:  read_only
        .address_space:  global
        .offset:         8
        .size:           8
        .value_kind:     global_buffer
      - .actual_access:  write_only
        .address_space:  global
        .offset:         16
        .size:           8
        .value_kind:     global_buffer
      - .address_space:  global
        .offset:         24
        .size:           8
        .value_kind:     global_buffer
      - .address_space:  global
        .offset:         32
        .size:           8
        .value_kind:     global_buffer
      - .address_space:  global
        .offset:         40
        .size:           8
        .value_kind:     global_buffer
      - .offset:         48
        .size:           4
        .value_kind:     by_value
      - .offset:         52
        .size:           4
        .value_kind:     by_value
      - .offset:         56
        .size:           4
        .value_kind:     by_value
      - .offset:         60
        .size:           4
        .value_kind:     by_value
      - .offset:         64
        .size:           4
        .value_kind:     by_value
      - .offset:         68
        .size:           4
        .value_kind:     by_value
      - .offset:         72
        .size:           4
        .value_kind:     by_value
    .group_segment_fixed_size: 20160
    .kernarg_segment_align: 8
    .kernarg_segment_size: 76
    .language:       OpenCL C
    .language_version:
      - 2
      - 0
    .max_flat_workgroup_size: 256
    .name:           _ZL8moe_q8_0IN3c108BFloat16ELb1EEvPKvS3_PT_PKiS7_S7_iiiiiii
    .private_segment_fixed_size: 0
    .sgpr_count:     28
    .sgpr_spill_count: 0
    .symbol:         _ZL8moe_q8_0IN3c108BFloat16ELb1EEvPKvS3_PT_PKiS7_S7_iiiiiii.kd
    .uniform_work_group_size: 1
    .uses_dynamic_stack: false
    .vgpr_count:     128
    .vgpr_spill_count: 0
    .wavefront_size: 64
  - .agpr_count:     0
    .args:
      - .actual_access:  read_only
        .address_space:  global
        .offset:         0
        .size:           8
        .value_kind:     global_buffer
      - .actual_access:  read_only
        .address_space:  global
        .offset:         8
        .size:           8
        .value_kind:     global_buffer
      - .actual_access:  write_only
        .address_space:  global
        .offset:         16
        .size:           8
        .value_kind:     global_buffer
      - .address_space:  global
        .offset:         24
        .size:           8
        .value_kind:     global_buffer
      - .address_space:  global
        .offset:         32
        .size:           8
        .value_kind:     global_buffer
      - .address_space:  global
        .offset:         40
        .size:           8
        .value_kind:     global_buffer
      - .offset:         48
        .size:           4
        .value_kind:     by_value
      - .offset:         52
        .size:           4
        .value_kind:     by_value
      - .offset:         56
        .size:           4
        .value_kind:     by_value
      - .offset:         60
        .size:           4
        .value_kind:     by_value
      - .offset:         64
        .size:           4
        .value_kind:     by_value
      - .offset:         68
        .size:           4
        .value_kind:     by_value
      - .offset:         72
        .size:           4
        .value_kind:     by_value
    .group_segment_fixed_size: 23328
    .kernarg_segment_align: 8
    .kernarg_segment_size: 76
    .language:       OpenCL C
    .language_version:
      - 2
      - 0
    .max_flat_workgroup_size: 256
    .name:           _ZL8moe_q2_KIN3c108BFloat16ELb0EEvPKvS3_PT_PKiS7_S7_iiiiiii
    .private_segment_fixed_size: 0
    .sgpr_count:     34
    .sgpr_spill_count: 0
    .symbol:         _ZL8moe_q2_KIN3c108BFloat16ELb0EEvPKvS3_PT_PKiS7_S7_iiiiiii.kd
    .uniform_work_group_size: 1
    .uses_dynamic_stack: false
    .vgpr_count:     102
    .vgpr_spill_count: 0
    .wavefront_size: 64
  - .agpr_count:     0
    .args:
      - .actual_access:  read_only
        .address_space:  global
        .offset:         0
        .size:           8
        .value_kind:     global_buffer
      - .actual_access:  read_only
        .address_space:  global
        .offset:         8
        .size:           8
        .value_kind:     global_buffer
      - .actual_access:  write_only
        .address_space:  global
        .offset:         16
        .size:           8
        .value_kind:     global_buffer
      - .address_space:  global
        .offset:         24
        .size:           8
        .value_kind:     global_buffer
      - .address_space:  global
        .offset:         32
        .size:           8
        .value_kind:     global_buffer
      - .address_space:  global
        .offset:         40
        .size:           8
        .value_kind:     global_buffer
      - .offset:         48
        .size:           4
        .value_kind:     by_value
      - .offset:         52
        .size:           4
        .value_kind:     by_value
      - .offset:         56
        .size:           4
        .value_kind:     by_value
      - .offset:         60
        .size:           4
        .value_kind:     by_value
      - .offset:         64
        .size:           4
        .value_kind:     by_value
      - .offset:         68
        .size:           4
        .value_kind:     by_value
      - .offset:         72
        .size:           4
        .value_kind:     by_value
    .group_segment_fixed_size: 23328
    .kernarg_segment_align: 8
    .kernarg_segment_size: 76
    .language:       OpenCL C
    .language_version:
      - 2
      - 0
    .max_flat_workgroup_size: 256
    .name:           _ZL8moe_q2_KIN3c108BFloat16ELb1EEvPKvS3_PT_PKiS7_S7_iiiiiii
    .private_segment_fixed_size: 0
    .sgpr_count:     34
    .sgpr_spill_count: 0
    .symbol:         _ZL8moe_q2_KIN3c108BFloat16ELb1EEvPKvS3_PT_PKiS7_S7_iiiiiii.kd
    .uniform_work_group_size: 1
    .uses_dynamic_stack: false
    .vgpr_count:     121
    .vgpr_spill_count: 0
    .wavefront_size: 64
  - .agpr_count:     0
    .args:
      - .actual_access:  read_only
        .address_space:  global
        .offset:         0
        .size:           8
        .value_kind:     global_buffer
      - .actual_access:  read_only
        .address_space:  global
        .offset:         8
        .size:           8
        .value_kind:     global_buffer
      - .actual_access:  write_only
        .address_space:  global
        .offset:         16
        .size:           8
        .value_kind:     global_buffer
      - .address_space:  global
        .offset:         24
        .size:           8
        .value_kind:     global_buffer
      - .address_space:  global
        .offset:         32
        .size:           8
        .value_kind:     global_buffer
      - .address_space:  global
        .offset:         40
        .size:           8
        .value_kind:     global_buffer
      - .offset:         48
        .size:           4
        .value_kind:     by_value
      - .offset:         52
        .size:           4
        .value_kind:     by_value
      - .offset:         56
        .size:           4
        .value_kind:     by_value
      - .offset:         60
        .size:           4
        .value_kind:     by_value
      - .offset:         64
        .size:           4
        .value_kind:     by_value
      - .offset:         68
        .size:           4
        .value_kind:     by_value
      - .offset:         72
        .size:           4
        .value_kind:     by_value
    .group_segment_fixed_size: 31776
    .kernarg_segment_align: 8
    .kernarg_segment_size: 76
    .language:       OpenCL C
    .language_version:
      - 2
      - 0
    .max_flat_workgroup_size: 256
    .name:           _ZL8moe_q3_KIN3c108BFloat16ELb0EEvPKvS3_PT_PKiS7_S7_iiiiiii
    .private_segment_fixed_size: 0
    .sgpr_count:     42
    .sgpr_spill_count: 0
    .symbol:         _ZL8moe_q3_KIN3c108BFloat16ELb0EEvPKvS3_PT_PKiS7_S7_iiiiiii.kd
    .uniform_work_group_size: 1
    .uses_dynamic_stack: false
    .vgpr_count:     153
    .vgpr_spill_count: 0
    .wavefront_size: 64
  - .agpr_count:     0
    .args:
      - .actual_access:  read_only
        .address_space:  global
        .offset:         0
        .size:           8
        .value_kind:     global_buffer
      - .actual_access:  read_only
        .address_space:  global
        .offset:         8
        .size:           8
        .value_kind:     global_buffer
      - .actual_access:  write_only
        .address_space:  global
        .offset:         16
        .size:           8
        .value_kind:     global_buffer
      - .address_space:  global
        .offset:         24
        .size:           8
        .value_kind:     global_buffer
      - .address_space:  global
        .offset:         32
        .size:           8
        .value_kind:     global_buffer
      - .address_space:  global
        .offset:         40
        .size:           8
        .value_kind:     global_buffer
      - .offset:         48
        .size:           4
        .value_kind:     by_value
      - .offset:         52
        .size:           4
        .value_kind:     by_value
      - .offset:         56
        .size:           4
        .value_kind:     by_value
      - .offset:         60
        .size:           4
        .value_kind:     by_value
      - .offset:         64
        .size:           4
        .value_kind:     by_value
      - .offset:         68
        .size:           4
        .value_kind:     by_value
      - .offset:         72
        .size:           4
        .value_kind:     by_value
    .group_segment_fixed_size: 31776
    .kernarg_segment_align: 8
    .kernarg_segment_size: 76
    .language:       OpenCL C
    .language_version:
      - 2
      - 0
    .max_flat_workgroup_size: 256
    .name:           _ZL8moe_q3_KIN3c108BFloat16ELb1EEvPKvS3_PT_PKiS7_S7_iiiiiii
    .private_segment_fixed_size: 0
    .sgpr_count:     42
    .sgpr_spill_count: 0
    .symbol:         _ZL8moe_q3_KIN3c108BFloat16ELb1EEvPKvS3_PT_PKiS7_S7_iiiiiii.kd
    .uniform_work_group_size: 1
    .uses_dynamic_stack: false
    .vgpr_count:     152
    .vgpr_spill_count: 0
    .wavefront_size: 64
  - .agpr_count:     0
    .args:
      - .actual_access:  read_only
        .address_space:  global
        .offset:         0
        .size:           8
        .value_kind:     global_buffer
      - .actual_access:  read_only
        .address_space:  global
        .offset:         8
        .size:           8
        .value_kind:     global_buffer
      - .actual_access:  write_only
        .address_space:  global
        .offset:         16
        .size:           8
        .value_kind:     global_buffer
      - .address_space:  global
        .offset:         24
        .size:           8
        .value_kind:     global_buffer
      - .address_space:  global
        .offset:         32
        .size:           8
        .value_kind:     global_buffer
      - .address_space:  global
        .offset:         40
        .size:           8
        .value_kind:     global_buffer
      - .offset:         48
        .size:           4
        .value_kind:     by_value
      - .offset:         52
        .size:           4
        .value_kind:     by_value
      - .offset:         56
        .size:           4
        .value_kind:     by_value
      - .offset:         60
        .size:           4
        .value_kind:     by_value
      - .offset:         64
        .size:           4
        .value_kind:     by_value
      - .offset:         68
        .size:           4
        .value_kind:     by_value
      - .offset:         72
        .size:           4
        .value_kind:     by_value
    .group_segment_fixed_size: 20688
    .kernarg_segment_align: 8
    .kernarg_segment_size: 76
    .language:       OpenCL C
    .language_version:
      - 2
      - 0
    .max_flat_workgroup_size: 256
    .name:           _ZL8moe_q4_KIN3c108BFloat16ELb0EEvPKvS3_PT_PKiS7_S7_iiiiiii
    .private_segment_fixed_size: 0
    .sgpr_count:     33
    .sgpr_spill_count: 0
    .symbol:         _ZL8moe_q4_KIN3c108BFloat16ELb0EEvPKvS3_PT_PKiS7_S7_iiiiiii.kd
    .uniform_work_group_size: 1
    .uses_dynamic_stack: false
    .vgpr_count:     171
    .vgpr_spill_count: 0
    .wavefront_size: 64
  - .agpr_count:     0
    .args:
      - .actual_access:  read_only
        .address_space:  global
        .offset:         0
        .size:           8
        .value_kind:     global_buffer
      - .actual_access:  read_only
        .address_space:  global
        .offset:         8
        .size:           8
        .value_kind:     global_buffer
      - .actual_access:  write_only
        .address_space:  global
        .offset:         16
        .size:           8
        .value_kind:     global_buffer
      - .address_space:  global
        .offset:         24
        .size:           8
        .value_kind:     global_buffer
      - .address_space:  global
        .offset:         32
        .size:           8
        .value_kind:     global_buffer
      - .address_space:  global
        .offset:         40
        .size:           8
        .value_kind:     global_buffer
      - .offset:         48
        .size:           4
        .value_kind:     by_value
      - .offset:         52
        .size:           4
        .value_kind:     by_value
      - .offset:         56
        .size:           4
        .value_kind:     by_value
      - .offset:         60
        .size:           4
        .value_kind:     by_value
      - .offset:         64
        .size:           4
        .value_kind:     by_value
      - .offset:         68
        .size:           4
        .value_kind:     by_value
      - .offset:         72
        .size:           4
        .value_kind:     by_value
    .group_segment_fixed_size: 20688
    .kernarg_segment_align: 8
    .kernarg_segment_size: 76
    .language:       OpenCL C
    .language_version:
      - 2
      - 0
    .max_flat_workgroup_size: 256
    .name:           _ZL8moe_q4_KIN3c108BFloat16ELb1EEvPKvS3_PT_PKiS7_S7_iiiiiii
    .private_segment_fixed_size: 0
    .sgpr_count:     34
    .sgpr_spill_count: 0
    .symbol:         _ZL8moe_q4_KIN3c108BFloat16ELb1EEvPKvS3_PT_PKiS7_S7_iiiiiii.kd
    .uniform_work_group_size: 1
    .uses_dynamic_stack: false
    .vgpr_count:     171
    .vgpr_spill_count: 0
    .wavefront_size: 64
  - .agpr_count:     0
    .args:
      - .actual_access:  read_only
        .address_space:  global
        .offset:         0
        .size:           8
        .value_kind:     global_buffer
      - .actual_access:  read_only
        .address_space:  global
        .offset:         8
        .size:           8
        .value_kind:     global_buffer
      - .actual_access:  write_only
        .address_space:  global
        .offset:         16
        .size:           8
        .value_kind:     global_buffer
      - .address_space:  global
        .offset:         24
        .size:           8
        .value_kind:     global_buffer
      - .address_space:  global
        .offset:         32
        .size:           8
        .value_kind:     global_buffer
      - .address_space:  global
        .offset:         40
        .size:           8
        .value_kind:     global_buffer
      - .offset:         48
        .size:           4
        .value_kind:     by_value
      - .offset:         52
        .size:           4
        .value_kind:     by_value
      - .offset:         56
        .size:           4
        .value_kind:     by_value
      - .offset:         60
        .size:           4
        .value_kind:     by_value
      - .offset:         64
        .size:           4
        .value_kind:     by_value
      - .offset:         68
        .size:           4
        .value_kind:     by_value
      - .offset:         72
        .size:           4
        .value_kind:     by_value
    .group_segment_fixed_size: 37072
    .kernarg_segment_align: 8
    .kernarg_segment_size: 76
    .language:       OpenCL C
    .language_version:
      - 2
      - 0
    .max_flat_workgroup_size: 256
    .name:           _ZL8moe_q5_KIN3c108BFloat16ELb0EEvPKvS3_PT_PKiS7_S7_iiiiiii
    .private_segment_fixed_size: 0
    .sgpr_count:     33
    .sgpr_spill_count: 0
    .symbol:         _ZL8moe_q5_KIN3c108BFloat16ELb0EEvPKvS3_PT_PKiS7_S7_iiiiiii.kd
    .uniform_work_group_size: 1
    .uses_dynamic_stack: false
    .vgpr_count:     189
    .vgpr_spill_count: 0
    .wavefront_size: 64
  - .agpr_count:     0
    .args:
      - .actual_access:  read_only
        .address_space:  global
        .offset:         0
        .size:           8
        .value_kind:     global_buffer
      - .actual_access:  read_only
        .address_space:  global
        .offset:         8
        .size:           8
        .value_kind:     global_buffer
      - .actual_access:  write_only
        .address_space:  global
        .offset:         16
        .size:           8
        .value_kind:     global_buffer
      - .address_space:  global
        .offset:         24
        .size:           8
        .value_kind:     global_buffer
      - .address_space:  global
        .offset:         32
        .size:           8
        .value_kind:     global_buffer
      - .address_space:  global
        .offset:         40
        .size:           8
        .value_kind:     global_buffer
      - .offset:         48
        .size:           4
        .value_kind:     by_value
      - .offset:         52
        .size:           4
        .value_kind:     by_value
      - .offset:         56
        .size:           4
        .value_kind:     by_value
      - .offset:         60
        .size:           4
        .value_kind:     by_value
      - .offset:         64
        .size:           4
        .value_kind:     by_value
      - .offset:         68
        .size:           4
        .value_kind:     by_value
      - .offset:         72
        .size:           4
        .value_kind:     by_value
    .group_segment_fixed_size: 37072
    .kernarg_segment_align: 8
    .kernarg_segment_size: 76
    .language:       OpenCL C
    .language_version:
      - 2
      - 0
    .max_flat_workgroup_size: 256
    .name:           _ZL8moe_q5_KIN3c108BFloat16ELb1EEvPKvS3_PT_PKiS7_S7_iiiiiii
    .private_segment_fixed_size: 0
    .sgpr_count:     32
    .sgpr_spill_count: 0
    .symbol:         _ZL8moe_q5_KIN3c108BFloat16ELb1EEvPKvS3_PT_PKiS7_S7_iiiiiii.kd
    .uniform_work_group_size: 1
    .uses_dynamic_stack: false
    .vgpr_count:     189
    .vgpr_spill_count: 0
    .wavefront_size: 64
  - .agpr_count:     0
    .args:
      - .actual_access:  read_only
        .address_space:  global
        .offset:         0
        .size:           8
        .value_kind:     global_buffer
      - .actual_access:  read_only
        .address_space:  global
        .offset:         8
        .size:           8
        .value_kind:     global_buffer
      - .actual_access:  write_only
        .address_space:  global
        .offset:         16
        .size:           8
        .value_kind:     global_buffer
      - .address_space:  global
        .offset:         24
        .size:           8
        .value_kind:     global_buffer
      - .address_space:  global
        .offset:         32
        .size:           8
        .value_kind:     global_buffer
      - .address_space:  global
        .offset:         40
        .size:           8
        .value_kind:     global_buffer
      - .offset:         48
        .size:           4
        .value_kind:     by_value
      - .offset:         52
        .size:           4
        .value_kind:     by_value
      - .offset:         56
        .size:           4
        .value_kind:     by_value
      - .offset:         60
        .size:           4
        .value_kind:     by_value
      - .offset:         64
        .size:           4
        .value_kind:     by_value
      - .offset:         68
        .size:           4
        .value_kind:     by_value
      - .offset:         72
        .size:           4
        .value_kind:     by_value
    .group_segment_fixed_size: 37072
    .kernarg_segment_align: 8
    .kernarg_segment_size: 76
    .language:       OpenCL C
    .language_version:
      - 2
      - 0
    .max_flat_workgroup_size: 256
    .name:           _ZL8moe_q6_KIN3c108BFloat16ELb0EEvPKvS3_PT_PKiS7_S7_iiiiiii
    .private_segment_fixed_size: 0
    .sgpr_count:     33
    .sgpr_spill_count: 0
    .symbol:         _ZL8moe_q6_KIN3c108BFloat16ELb0EEvPKvS3_PT_PKiS7_S7_iiiiiii.kd
    .uniform_work_group_size: 1
    .uses_dynamic_stack: false
    .vgpr_count:     169
    .vgpr_spill_count: 0
    .wavefront_size: 64
  - .agpr_count:     0
    .args:
      - .actual_access:  read_only
        .address_space:  global
        .offset:         0
        .size:           8
        .value_kind:     global_buffer
      - .actual_access:  read_only
        .address_space:  global
        .offset:         8
        .size:           8
        .value_kind:     global_buffer
      - .actual_access:  write_only
        .address_space:  global
        .offset:         16
        .size:           8
        .value_kind:     global_buffer
      - .address_space:  global
        .offset:         24
        .size:           8
        .value_kind:     global_buffer
      - .address_space:  global
        .offset:         32
        .size:           8
        .value_kind:     global_buffer
      - .address_space:  global
        .offset:         40
        .size:           8
        .value_kind:     global_buffer
      - .offset:         48
        .size:           4
        .value_kind:     by_value
      - .offset:         52
        .size:           4
        .value_kind:     by_value
      - .offset:         56
        .size:           4
        .value_kind:     by_value
      - .offset:         60
        .size:           4
        .value_kind:     by_value
      - .offset:         64
        .size:           4
        .value_kind:     by_value
      - .offset:         68
        .size:           4
        .value_kind:     by_value
      - .offset:         72
        .size:           4
        .value_kind:     by_value
    .group_segment_fixed_size: 37072
    .kernarg_segment_align: 8
    .kernarg_segment_size: 76
    .language:       OpenCL C
    .language_version:
      - 2
      - 0
    .max_flat_workgroup_size: 256
    .name:           _ZL8moe_q6_KIN3c108BFloat16ELb1EEvPKvS3_PT_PKiS7_S7_iiiiiii
    .private_segment_fixed_size: 0
    .sgpr_count:     34
    .sgpr_spill_count: 0
    .symbol:         _ZL8moe_q6_KIN3c108BFloat16ELb1EEvPKvS3_PT_PKiS7_S7_iiiiiii.kd
    .uniform_work_group_size: 1
    .uses_dynamic_stack: false
    .vgpr_count:     177
    .vgpr_spill_count: 0
    .wavefront_size: 64
  - .agpr_count:     0
    .args:
      - .actual_access:  read_only
        .address_space:  global
        .offset:         0
        .size:           8
        .value_kind:     global_buffer
      - .actual_access:  read_only
        .address_space:  global
        .offset:         8
        .size:           8
        .value_kind:     global_buffer
      - .actual_access:  write_only
        .address_space:  global
        .offset:         16
        .size:           8
        .value_kind:     global_buffer
      - .address_space:  global
        .offset:         24
        .size:           8
        .value_kind:     global_buffer
      - .offset:         32
        .size:           4
        .value_kind:     by_value
      - .offset:         36
        .size:           4
        .value_kind:     by_value
      - .offset:         40
        .size:           4
        .value_kind:     by_value
      - .offset:         44
        .size:           4
        .value_kind:     by_value
      - .offset:         48
        .size:           4
        .value_kind:     hidden_block_count_x
      - .offset:         52
        .size:           4
        .value_kind:     hidden_block_count_y
      - .offset:         56
        .size:           4
        .value_kind:     hidden_block_count_z
      - .offset:         60
        .size:           2
        .value_kind:     hidden_group_size_x
      - .offset:         62
        .size:           2
        .value_kind:     hidden_group_size_y
      - .offset:         64
        .size:           2
        .value_kind:     hidden_group_size_z
      - .offset:         66
        .size:           2
        .value_kind:     hidden_remainder_x
      - .offset:         68
        .size:           2
        .value_kind:     hidden_remainder_y
      - .offset:         70
        .size:           2
        .value_kind:     hidden_remainder_z
      - .offset:         88
        .size:           8
        .value_kind:     hidden_global_offset_x
      - .offset:         96
        .size:           8
        .value_kind:     hidden_global_offset_y
      - .offset:         104
        .size:           8
        .value_kind:     hidden_global_offset_z
      - .offset:         112
        .size:           2
        .value_kind:     hidden_grid_dims
    .group_segment_fixed_size: 0
    .kernarg_segment_align: 8
    .kernarg_segment_size: 304
    .language:       OpenCL C
    .language_version:
      - 2
      - 0
    .max_flat_workgroup_size: 1024
    .name:           _ZL9moe_vec_qIfLi32ELi4E10block_q4_0Li2EXadL_ZL17vec_dot_q4_0_q8_1PKvPK10block_q8_1RKiEEEvS2_S2_PT_PS6_iiii
    .private_segment_fixed_size: 0
    .sgpr_count:     26
    .sgpr_spill_count: 0
    .symbol:         _ZL9moe_vec_qIfLi32ELi4E10block_q4_0Li2EXadL_ZL17vec_dot_q4_0_q8_1PKvPK10block_q8_1RKiEEEvS2_S2_PT_PS6_iiii.kd
    .uniform_work_group_size: 1
    .uses_dynamic_stack: false
    .vgpr_count:     24
    .vgpr_spill_count: 0
    .wavefront_size: 64
  - .agpr_count:     0
    .args:
      - .actual_access:  read_only
        .address_space:  global
        .offset:         0
        .size:           8
        .value_kind:     global_buffer
      - .actual_access:  read_only
        .address_space:  global
        .offset:         8
        .size:           8
        .value_kind:     global_buffer
      - .actual_access:  write_only
        .address_space:  global
        .offset:         16
        .size:           8
        .value_kind:     global_buffer
      - .address_space:  global
        .offset:         24
        .size:           8
        .value_kind:     global_buffer
      - .offset:         32
        .size:           4
        .value_kind:     by_value
      - .offset:         36
        .size:           4
        .value_kind:     by_value
      - .offset:         40
        .size:           4
        .value_kind:     by_value
      - .offset:         44
        .size:           4
        .value_kind:     by_value
      - .offset:         48
        .size:           4
        .value_kind:     hidden_block_count_x
      - .offset:         52
        .size:           4
        .value_kind:     hidden_block_count_y
      - .offset:         56
        .size:           4
        .value_kind:     hidden_block_count_z
      - .offset:         60
        .size:           2
        .value_kind:     hidden_group_size_x
      - .offset:         62
        .size:           2
        .value_kind:     hidden_group_size_y
      - .offset:         64
        .size:           2
        .value_kind:     hidden_group_size_z
      - .offset:         66
        .size:           2
        .value_kind:     hidden_remainder_x
      - .offset:         68
        .size:           2
        .value_kind:     hidden_remainder_y
      - .offset:         70
        .size:           2
        .value_kind:     hidden_remainder_z
      - .offset:         88
        .size:           8
        .value_kind:     hidden_global_offset_x
      - .offset:         96
        .size:           8
        .value_kind:     hidden_global_offset_y
      - .offset:         104
        .size:           8
        .value_kind:     hidden_global_offset_z
      - .offset:         112
        .size:           2
        .value_kind:     hidden_grid_dims
    .group_segment_fixed_size: 0
    .kernarg_segment_align: 8
    .kernarg_segment_size: 304
    .language:       OpenCL C
    .language_version:
      - 2
      - 0
    .max_flat_workgroup_size: 1024
    .name:           _ZL9moe_vec_qIfLi32ELi4E10block_q4_1Li2EXadL_ZL17vec_dot_q4_1_q8_1PKvPK10block_q8_1RKiEEEvS2_S2_PT_PS6_iiii
    .private_segment_fixed_size: 0
    .sgpr_count:     26
    .sgpr_spill_count: 0
    .symbol:         _ZL9moe_vec_qIfLi32ELi4E10block_q4_1Li2EXadL_ZL17vec_dot_q4_1_q8_1PKvPK10block_q8_1RKiEEEvS2_S2_PT_PS6_iiii.kd
    .uniform_work_group_size: 1
    .uses_dynamic_stack: false
    .vgpr_count:     22
    .vgpr_spill_count: 0
    .wavefront_size: 64
  - .agpr_count:     0
    .args:
      - .actual_access:  read_only
        .address_space:  global
        .offset:         0
        .size:           8
        .value_kind:     global_buffer
      - .actual_access:  read_only
        .address_space:  global
        .offset:         8
        .size:           8
        .value_kind:     global_buffer
      - .actual_access:  write_only
        .address_space:  global
        .offset:         16
        .size:           8
        .value_kind:     global_buffer
      - .address_space:  global
        .offset:         24
        .size:           8
        .value_kind:     global_buffer
      - .offset:         32
        .size:           4
        .value_kind:     by_value
      - .offset:         36
        .size:           4
        .value_kind:     by_value
      - .offset:         40
        .size:           4
        .value_kind:     by_value
      - .offset:         44
        .size:           4
        .value_kind:     by_value
      - .offset:         48
        .size:           4
        .value_kind:     hidden_block_count_x
      - .offset:         52
        .size:           4
        .value_kind:     hidden_block_count_y
      - .offset:         56
        .size:           4
        .value_kind:     hidden_block_count_z
      - .offset:         60
        .size:           2
        .value_kind:     hidden_group_size_x
      - .offset:         62
        .size:           2
        .value_kind:     hidden_group_size_y
      - .offset:         64
        .size:           2
        .value_kind:     hidden_group_size_z
      - .offset:         66
        .size:           2
        .value_kind:     hidden_remainder_x
      - .offset:         68
        .size:           2
        .value_kind:     hidden_remainder_y
      - .offset:         70
        .size:           2
        .value_kind:     hidden_remainder_z
      - .offset:         88
        .size:           8
        .value_kind:     hidden_global_offset_x
      - .offset:         96
        .size:           8
        .value_kind:     hidden_global_offset_y
      - .offset:         104
        .size:           8
        .value_kind:     hidden_global_offset_z
      - .offset:         112
        .size:           2
        .value_kind:     hidden_grid_dims
    .group_segment_fixed_size: 0
    .kernarg_segment_align: 8
    .kernarg_segment_size: 304
    .language:       OpenCL C
    .language_version:
      - 2
      - 0
    .max_flat_workgroup_size: 1024
    .name:           _ZL9moe_vec_qIfLi32ELi4E10block_q5_0Li2EXadL_ZL17vec_dot_q5_0_q8_1PKvPK10block_q8_1RKiEEEvS2_S2_PT_PS6_iiii
    .private_segment_fixed_size: 0
    .sgpr_count:     26
    .sgpr_spill_count: 0
    .symbol:         _ZL9moe_vec_qIfLi32ELi4E10block_q5_0Li2EXadL_ZL17vec_dot_q5_0_q8_1PKvPK10block_q8_1RKiEEEvS2_S2_PT_PS6_iiii.kd
    .uniform_work_group_size: 1
    .uses_dynamic_stack: false
    .vgpr_count:     37
    .vgpr_spill_count: 0
    .wavefront_size: 64
  - .agpr_count:     0
    .args:
      - .actual_access:  read_only
        .address_space:  global
        .offset:         0
        .size:           8
        .value_kind:     global_buffer
      - .actual_access:  read_only
        .address_space:  global
        .offset:         8
        .size:           8
        .value_kind:     global_buffer
      - .actual_access:  write_only
        .address_space:  global
        .offset:         16
        .size:           8
        .value_kind:     global_buffer
      - .address_space:  global
        .offset:         24
        .size:           8
        .value_kind:     global_buffer
      - .offset:         32
        .size:           4
        .value_kind:     by_value
      - .offset:         36
        .size:           4
        .value_kind:     by_value
      - .offset:         40
        .size:           4
        .value_kind:     by_value
      - .offset:         44
        .size:           4
        .value_kind:     by_value
      - .offset:         48
        .size:           4
        .value_kind:     hidden_block_count_x
      - .offset:         52
        .size:           4
        .value_kind:     hidden_block_count_y
      - .offset:         56
        .size:           4
        .value_kind:     hidden_block_count_z
      - .offset:         60
        .size:           2
        .value_kind:     hidden_group_size_x
      - .offset:         62
        .size:           2
        .value_kind:     hidden_group_size_y
      - .offset:         64
        .size:           2
        .value_kind:     hidden_group_size_z
      - .offset:         66
        .size:           2
        .value_kind:     hidden_remainder_x
      - .offset:         68
        .size:           2
        .value_kind:     hidden_remainder_y
      - .offset:         70
        .size:           2
        .value_kind:     hidden_remainder_z
      - .offset:         88
        .size:           8
        .value_kind:     hidden_global_offset_x
      - .offset:         96
        .size:           8
        .value_kind:     hidden_global_offset_y
      - .offset:         104
        .size:           8
        .value_kind:     hidden_global_offset_z
      - .offset:         112
        .size:           2
        .value_kind:     hidden_grid_dims
    .group_segment_fixed_size: 0
    .kernarg_segment_align: 8
    .kernarg_segment_size: 304
    .language:       OpenCL C
    .language_version:
      - 2
      - 0
    .max_flat_workgroup_size: 1024
    .name:           _ZL9moe_vec_qIfLi32ELi4E10block_q5_1Li2EXadL_ZL17vec_dot_q5_1_q8_1PKvPK10block_q8_1RKiEEEvS2_S2_PT_PS6_iiii
    .private_segment_fixed_size: 0
    .sgpr_count:     26
    .sgpr_spill_count: 0
    .symbol:         _ZL9moe_vec_qIfLi32ELi4E10block_q5_1Li2EXadL_ZL17vec_dot_q5_1_q8_1PKvPK10block_q8_1RKiEEEvS2_S2_PT_PS6_iiii.kd
    .uniform_work_group_size: 1
    .uses_dynamic_stack: false
    .vgpr_count:     37
    .vgpr_spill_count: 0
    .wavefront_size: 64
  - .agpr_count:     0
    .args:
      - .actual_access:  read_only
        .address_space:  global
        .offset:         0
        .size:           8
        .value_kind:     global_buffer
      - .actual_access:  read_only
        .address_space:  global
        .offset:         8
        .size:           8
        .value_kind:     global_buffer
      - .actual_access:  write_only
        .address_space:  global
        .offset:         16
        .size:           8
        .value_kind:     global_buffer
      - .address_space:  global
        .offset:         24
        .size:           8
        .value_kind:     global_buffer
      - .offset:         32
        .size:           4
        .value_kind:     by_value
      - .offset:         36
        .size:           4
        .value_kind:     by_value
      - .offset:         40
        .size:           4
        .value_kind:     by_value
      - .offset:         44
        .size:           4
        .value_kind:     by_value
      - .offset:         48
        .size:           4
        .value_kind:     hidden_block_count_x
      - .offset:         52
        .size:           4
        .value_kind:     hidden_block_count_y
      - .offset:         56
        .size:           4
        .value_kind:     hidden_block_count_z
      - .offset:         60
        .size:           2
        .value_kind:     hidden_group_size_x
      - .offset:         62
        .size:           2
        .value_kind:     hidden_group_size_y
      - .offset:         64
        .size:           2
        .value_kind:     hidden_group_size_z
      - .offset:         66
        .size:           2
        .value_kind:     hidden_remainder_x
      - .offset:         68
        .size:           2
        .value_kind:     hidden_remainder_y
      - .offset:         70
        .size:           2
        .value_kind:     hidden_remainder_z
      - .offset:         88
        .size:           8
        .value_kind:     hidden_global_offset_x
      - .offset:         96
        .size:           8
        .value_kind:     hidden_global_offset_y
      - .offset:         104
        .size:           8
        .value_kind:     hidden_global_offset_z
      - .offset:         112
        .size:           2
        .value_kind:     hidden_grid_dims
    .group_segment_fixed_size: 0
    .kernarg_segment_align: 8
    .kernarg_segment_size: 304
    .language:       OpenCL C
    .language_version:
      - 2
      - 0
    .max_flat_workgroup_size: 1024
    .name:           _ZL9moe_vec_qIfLi32ELi8E10block_q8_0Li2EXadL_ZL17vec_dot_q8_0_q8_1PKvPK10block_q8_1RKiEEEvS2_S2_PT_PS6_iiii
    .private_segment_fixed_size: 0
    .sgpr_count:     26
    .sgpr_spill_count: 0
    .symbol:         _ZL9moe_vec_qIfLi32ELi8E10block_q8_0Li2EXadL_ZL17vec_dot_q8_0_q8_1PKvPK10block_q8_1RKiEEEvS2_S2_PT_PS6_iiii.kd
    .uniform_work_group_size: 1
    .uses_dynamic_stack: false
    .vgpr_count:     19
    .vgpr_spill_count: 0
    .wavefront_size: 64
  - .agpr_count:     0
    .args:
      - .actual_access:  read_only
        .address_space:  global
        .offset:         0
        .size:           8
        .value_kind:     global_buffer
      - .actual_access:  read_only
        .address_space:  global
        .offset:         8
        .size:           8
        .value_kind:     global_buffer
      - .actual_access:  write_only
        .address_space:  global
        .offset:         16
        .size:           8
        .value_kind:     global_buffer
      - .address_space:  global
        .offset:         24
        .size:           8
        .value_kind:     global_buffer
      - .offset:         32
        .size:           4
        .value_kind:     by_value
      - .offset:         36
        .size:           4
        .value_kind:     by_value
      - .offset:         40
        .size:           4
        .value_kind:     by_value
      - .offset:         44
        .size:           4
        .value_kind:     by_value
      - .offset:         48
        .size:           4
        .value_kind:     hidden_block_count_x
      - .offset:         52
        .size:           4
        .value_kind:     hidden_block_count_y
      - .offset:         56
        .size:           4
        .value_kind:     hidden_block_count_z
      - .offset:         60
        .size:           2
        .value_kind:     hidden_group_size_x
      - .offset:         62
        .size:           2
        .value_kind:     hidden_group_size_y
      - .offset:         64
        .size:           2
        .value_kind:     hidden_group_size_z
      - .offset:         66
        .size:           2
        .value_kind:     hidden_remainder_x
      - .offset:         68
        .size:           2
        .value_kind:     hidden_remainder_y
      - .offset:         70
        .size:           2
        .value_kind:     hidden_remainder_z
      - .offset:         88
        .size:           8
        .value_kind:     hidden_global_offset_x
      - .offset:         96
        .size:           8
        .value_kind:     hidden_global_offset_y
      - .offset:         104
        .size:           8
        .value_kind:     hidden_global_offset_z
      - .offset:         112
        .size:           2
        .value_kind:     hidden_grid_dims
    .group_segment_fixed_size: 0
    .kernarg_segment_align: 8
    .kernarg_segment_size: 304
    .language:       OpenCL C
    .language_version:
      - 2
      - 0
    .max_flat_workgroup_size: 1024
    .name:           _ZL9moe_vec_qIfLi256ELi16E10block_q2_KLi1EXadL_ZL17vec_dot_q2_K_q8_1PKvPK10block_q8_1RKiEEEvS2_S2_PT_PS6_iiii
    .private_segment_fixed_size: 0
    .sgpr_count:     26
    .sgpr_spill_count: 0
    .symbol:         _ZL9moe_vec_qIfLi256ELi16E10block_q2_KLi1EXadL_ZL17vec_dot_q2_K_q8_1PKvPK10block_q8_1RKiEEEvS2_S2_PT_PS6_iiii.kd
    .uniform_work_group_size: 1
    .uses_dynamic_stack: false
    .vgpr_count:     47
    .vgpr_spill_count: 0
    .wavefront_size: 64
  - .agpr_count:     0
    .args:
      - .actual_access:  read_only
        .address_space:  global
        .offset:         0
        .size:           8
        .value_kind:     global_buffer
      - .actual_access:  read_only
        .address_space:  global
        .offset:         8
        .size:           8
        .value_kind:     global_buffer
      - .actual_access:  write_only
        .address_space:  global
        .offset:         16
        .size:           8
        .value_kind:     global_buffer
      - .address_space:  global
        .offset:         24
        .size:           8
        .value_kind:     global_buffer
      - .offset:         32
        .size:           4
        .value_kind:     by_value
      - .offset:         36
        .size:           4
        .value_kind:     by_value
      - .offset:         40
        .size:           4
        .value_kind:     by_value
      - .offset:         44
        .size:           4
        .value_kind:     by_value
      - .offset:         48
        .size:           4
        .value_kind:     hidden_block_count_x
      - .offset:         52
        .size:           4
        .value_kind:     hidden_block_count_y
      - .offset:         56
        .size:           4
        .value_kind:     hidden_block_count_z
      - .offset:         60
        .size:           2
        .value_kind:     hidden_group_size_x
      - .offset:         62
        .size:           2
        .value_kind:     hidden_group_size_y
      - .offset:         64
        .size:           2
        .value_kind:     hidden_group_size_z
      - .offset:         66
        .size:           2
        .value_kind:     hidden_remainder_x
      - .offset:         68
        .size:           2
        .value_kind:     hidden_remainder_y
      - .offset:         70
        .size:           2
        .value_kind:     hidden_remainder_z
      - .offset:         88
        .size:           8
        .value_kind:     hidden_global_offset_x
      - .offset:         96
        .size:           8
        .value_kind:     hidden_global_offset_y
      - .offset:         104
        .size:           8
        .value_kind:     hidden_global_offset_z
      - .offset:         112
        .size:           2
        .value_kind:     hidden_grid_dims
    .group_segment_fixed_size: 0
    .kernarg_segment_align: 8
    .kernarg_segment_size: 304
    .language:       OpenCL C
    .language_version:
      - 2
      - 0
    .max_flat_workgroup_size: 1024
    .name:           _ZL9moe_vec_qIfLi256ELi16E10block_q3_KLi1EXadL_ZL17vec_dot_q3_K_q8_1PKvPK10block_q8_1RKiEEEvS2_S2_PT_PS6_iiii
    .private_segment_fixed_size: 0
    .sgpr_count:     26
    .sgpr_spill_count: 0
    .symbol:         _ZL9moe_vec_qIfLi256ELi16E10block_q3_KLi1EXadL_ZL17vec_dot_q3_K_q8_1PKvPK10block_q8_1RKiEEEvS2_S2_PT_PS6_iiii.kd
    .uniform_work_group_size: 1
    .uses_dynamic_stack: false
    .vgpr_count:     65
    .vgpr_spill_count: 0
    .wavefront_size: 64
  - .agpr_count:     0
    .args:
      - .actual_access:  read_only
        .address_space:  global
        .offset:         0
        .size:           8
        .value_kind:     global_buffer
      - .actual_access:  read_only
        .address_space:  global
        .offset:         8
        .size:           8
        .value_kind:     global_buffer
      - .actual_access:  write_only
        .address_space:  global
        .offset:         16
        .size:           8
        .value_kind:     global_buffer
      - .address_space:  global
        .offset:         24
        .size:           8
        .value_kind:     global_buffer
      - .offset:         32
        .size:           4
        .value_kind:     by_value
      - .offset:         36
        .size:           4
        .value_kind:     by_value
      - .offset:         40
        .size:           4
        .value_kind:     by_value
      - .offset:         44
        .size:           4
        .value_kind:     by_value
      - .offset:         48
        .size:           4
        .value_kind:     hidden_block_count_x
      - .offset:         52
        .size:           4
        .value_kind:     hidden_block_count_y
      - .offset:         56
        .size:           4
        .value_kind:     hidden_block_count_z
      - .offset:         60
        .size:           2
        .value_kind:     hidden_group_size_x
      - .offset:         62
        .size:           2
        .value_kind:     hidden_group_size_y
      - .offset:         64
        .size:           2
        .value_kind:     hidden_group_size_z
      - .offset:         66
        .size:           2
        .value_kind:     hidden_remainder_x
      - .offset:         68
        .size:           2
        .value_kind:     hidden_remainder_y
      - .offset:         70
        .size:           2
        .value_kind:     hidden_remainder_z
      - .offset:         88
        .size:           8
        .value_kind:     hidden_global_offset_x
      - .offset:         96
        .size:           8
        .value_kind:     hidden_global_offset_y
      - .offset:         104
        .size:           8
        .value_kind:     hidden_global_offset_z
      - .offset:         112
        .size:           2
        .value_kind:     hidden_grid_dims
    .group_segment_fixed_size: 0
    .kernarg_segment_align: 8
    .kernarg_segment_size: 304
    .language:       OpenCL C
    .language_version:
      - 2
      - 0
    .max_flat_workgroup_size: 1024
    .name:           _ZL9moe_vec_qIfLi256ELi32E10block_q4_KLi2EXadL_ZL17vec_dot_q4_K_q8_1PKvPK10block_q8_1RKiEEEvS2_S2_PT_PS6_iiii
    .private_segment_fixed_size: 0
    .sgpr_count:     26
    .sgpr_spill_count: 0
    .symbol:         _ZL9moe_vec_qIfLi256ELi32E10block_q4_KLi2EXadL_ZL17vec_dot_q4_K_q8_1PKvPK10block_q8_1RKiEEEvS2_S2_PT_PS6_iiii.kd
    .uniform_work_group_size: 1
    .uses_dynamic_stack: false
    .vgpr_count:     41
    .vgpr_spill_count: 0
    .wavefront_size: 64
  - .agpr_count:     0
    .args:
      - .actual_access:  read_only
        .address_space:  global
        .offset:         0
        .size:           8
        .value_kind:     global_buffer
      - .actual_access:  read_only
        .address_space:  global
        .offset:         8
        .size:           8
        .value_kind:     global_buffer
      - .actual_access:  write_only
        .address_space:  global
        .offset:         16
        .size:           8
        .value_kind:     global_buffer
      - .address_space:  global
        .offset:         24
        .size:           8
        .value_kind:     global_buffer
      - .offset:         32
        .size:           4
        .value_kind:     by_value
      - .offset:         36
        .size:           4
        .value_kind:     by_value
      - .offset:         40
        .size:           4
        .value_kind:     by_value
      - .offset:         44
        .size:           4
        .value_kind:     by_value
      - .offset:         48
        .size:           4
        .value_kind:     hidden_block_count_x
      - .offset:         52
        .size:           4
        .value_kind:     hidden_block_count_y
      - .offset:         56
        .size:           4
        .value_kind:     hidden_block_count_z
      - .offset:         60
        .size:           2
        .value_kind:     hidden_group_size_x
      - .offset:         62
        .size:           2
        .value_kind:     hidden_group_size_y
      - .offset:         64
        .size:           2
        .value_kind:     hidden_group_size_z
      - .offset:         66
        .size:           2
        .value_kind:     hidden_remainder_x
      - .offset:         68
        .size:           2
        .value_kind:     hidden_remainder_y
      - .offset:         70
        .size:           2
        .value_kind:     hidden_remainder_z
      - .offset:         88
        .size:           8
        .value_kind:     hidden_global_offset_x
      - .offset:         96
        .size:           8
        .value_kind:     hidden_global_offset_y
      - .offset:         104
        .size:           8
        .value_kind:     hidden_global_offset_z
      - .offset:         112
        .size:           2
        .value_kind:     hidden_grid_dims
    .group_segment_fixed_size: 0
    .kernarg_segment_align: 8
    .kernarg_segment_size: 304
    .language:       OpenCL C
    .language_version:
      - 2
      - 0
    .max_flat_workgroup_size: 1024
    .name:           _ZL9moe_vec_qIfLi256ELi32E10block_q5_KLi2EXadL_ZL17vec_dot_q5_K_q8_1PKvPK10block_q8_1RKiEEEvS2_S2_PT_PS6_iiii
    .private_segment_fixed_size: 0
    .sgpr_count:     26
    .sgpr_spill_count: 0
    .symbol:         _ZL9moe_vec_qIfLi256ELi32E10block_q5_KLi2EXadL_ZL17vec_dot_q5_K_q8_1PKvPK10block_q8_1RKiEEEvS2_S2_PT_PS6_iiii.kd
    .uniform_work_group_size: 1
    .uses_dynamic_stack: false
    .vgpr_count:     43
    .vgpr_spill_count: 0
    .wavefront_size: 64
  - .agpr_count:     0
    .args:
      - .actual_access:  read_only
        .address_space:  global
        .offset:         0
        .size:           8
        .value_kind:     global_buffer
      - .actual_access:  read_only
        .address_space:  global
        .offset:         8
        .size:           8
        .value_kind:     global_buffer
      - .actual_access:  write_only
        .address_space:  global
        .offset:         16
        .size:           8
        .value_kind:     global_buffer
      - .address_space:  global
        .offset:         24
        .size:           8
        .value_kind:     global_buffer
      - .offset:         32
        .size:           4
        .value_kind:     by_value
      - .offset:         36
        .size:           4
        .value_kind:     by_value
      - .offset:         40
        .size:           4
        .value_kind:     by_value
      - .offset:         44
        .size:           4
        .value_kind:     by_value
      - .offset:         48
        .size:           4
        .value_kind:     hidden_block_count_x
      - .offset:         52
        .size:           4
        .value_kind:     hidden_block_count_y
      - .offset:         56
        .size:           4
        .value_kind:     hidden_block_count_z
      - .offset:         60
        .size:           2
        .value_kind:     hidden_group_size_x
      - .offset:         62
        .size:           2
        .value_kind:     hidden_group_size_y
      - .offset:         64
        .size:           2
        .value_kind:     hidden_group_size_z
      - .offset:         66
        .size:           2
        .value_kind:     hidden_remainder_x
      - .offset:         68
        .size:           2
        .value_kind:     hidden_remainder_y
      - .offset:         70
        .size:           2
        .value_kind:     hidden_remainder_z
      - .offset:         88
        .size:           8
        .value_kind:     hidden_global_offset_x
      - .offset:         96
        .size:           8
        .value_kind:     hidden_global_offset_y
      - .offset:         104
        .size:           8
        .value_kind:     hidden_global_offset_z
      - .offset:         112
        .size:           2
        .value_kind:     hidden_grid_dims
    .group_segment_fixed_size: 0
    .kernarg_segment_align: 8
    .kernarg_segment_size: 304
    .language:       OpenCL C
    .language_version:
      - 2
      - 0
    .max_flat_workgroup_size: 1024
    .name:           _ZL9moe_vec_qIfLi256ELi32E10block_q6_KLi1EXadL_ZL17vec_dot_q6_K_q8_1PKvPK10block_q8_1RKiEEEvS2_S2_PT_PS6_iiii
    .private_segment_fixed_size: 0
    .sgpr_count:     26
    .sgpr_spill_count: 0
    .symbol:         _ZL9moe_vec_qIfLi256ELi32E10block_q6_KLi1EXadL_ZL17vec_dot_q6_K_q8_1PKvPK10block_q8_1RKiEEEvS2_S2_PT_PS6_iiii.kd
    .uniform_work_group_size: 1
    .uses_dynamic_stack: false
    .vgpr_count:     36
    .vgpr_spill_count: 0
    .wavefront_size: 64
  - .agpr_count:     0
    .args:
      - .actual_access:  read_only
        .address_space:  global
        .offset:         0
        .size:           8
        .value_kind:     global_buffer
      - .actual_access:  read_only
        .address_space:  global
        .offset:         8
        .size:           8
        .value_kind:     global_buffer
      - .actual_access:  write_only
        .address_space:  global
        .offset:         16
        .size:           8
        .value_kind:     global_buffer
      - .address_space:  global
        .offset:         24
        .size:           8
        .value_kind:     global_buffer
      - .offset:         32
        .size:           4
        .value_kind:     by_value
      - .offset:         36
        .size:           4
        .value_kind:     by_value
      - .offset:         40
        .size:           4
        .value_kind:     by_value
      - .offset:         44
        .size:           4
        .value_kind:     by_value
      - .offset:         48
        .size:           4
        .value_kind:     hidden_block_count_x
      - .offset:         52
        .size:           4
        .value_kind:     hidden_block_count_y
      - .offset:         56
        .size:           4
        .value_kind:     hidden_block_count_z
      - .offset:         60
        .size:           2
        .value_kind:     hidden_group_size_x
      - .offset:         62
        .size:           2
        .value_kind:     hidden_group_size_y
      - .offset:         64
        .size:           2
        .value_kind:     hidden_group_size_z
      - .offset:         66
        .size:           2
        .value_kind:     hidden_remainder_x
      - .offset:         68
        .size:           2
        .value_kind:     hidden_remainder_y
      - .offset:         70
        .size:           2
        .value_kind:     hidden_remainder_z
      - .offset:         88
        .size:           8
        .value_kind:     hidden_global_offset_x
      - .offset:         96
        .size:           8
        .value_kind:     hidden_global_offset_y
      - .offset:         104
        .size:           8
        .value_kind:     hidden_global_offset_z
      - .offset:         112
        .size:           2
        .value_kind:     hidden_grid_dims
    .group_segment_fixed_size: 0
    .kernarg_segment_align: 8
    .kernarg_segment_size: 304
    .language:       OpenCL C
    .language_version:
      - 2
      - 0
    .max_flat_workgroup_size: 1024
    .name:           _ZL9moe_vec_qIfLi256ELi8E13block_iq2_xxsLi1EXadL_ZL20vec_dot_iq2_xxs_q8_1PKvPK10block_q8_1RKiEEEvS2_S2_PT_PS6_iiii
    .private_segment_fixed_size: 0
    .sgpr_count:     81
    .sgpr_spill_count: 0
    .symbol:         _ZL9moe_vec_qIfLi256ELi8E13block_iq2_xxsLi1EXadL_ZL20vec_dot_iq2_xxs_q8_1PKvPK10block_q8_1RKiEEEvS2_S2_PT_PS6_iiii.kd
    .uniform_work_group_size: 1
    .uses_dynamic_stack: false
    .vgpr_count:     80
    .vgpr_spill_count: 0
    .wavefront_size: 64
  - .agpr_count:     0
    .args:
      - .actual_access:  read_only
        .address_space:  global
        .offset:         0
        .size:           8
        .value_kind:     global_buffer
      - .actual_access:  read_only
        .address_space:  global
        .offset:         8
        .size:           8
        .value_kind:     global_buffer
      - .actual_access:  write_only
        .address_space:  global
        .offset:         16
        .size:           8
        .value_kind:     global_buffer
      - .address_space:  global
        .offset:         24
        .size:           8
        .value_kind:     global_buffer
      - .offset:         32
        .size:           4
        .value_kind:     by_value
      - .offset:         36
        .size:           4
        .value_kind:     by_value
      - .offset:         40
        .size:           4
        .value_kind:     by_value
      - .offset:         44
        .size:           4
        .value_kind:     by_value
      - .offset:         48
        .size:           4
        .value_kind:     hidden_block_count_x
      - .offset:         52
        .size:           4
        .value_kind:     hidden_block_count_y
      - .offset:         56
        .size:           4
        .value_kind:     hidden_block_count_z
      - .offset:         60
        .size:           2
        .value_kind:     hidden_group_size_x
      - .offset:         62
        .size:           2
        .value_kind:     hidden_group_size_y
      - .offset:         64
        .size:           2
        .value_kind:     hidden_group_size_z
      - .offset:         66
        .size:           2
        .value_kind:     hidden_remainder_x
      - .offset:         68
        .size:           2
        .value_kind:     hidden_remainder_y
      - .offset:         70
        .size:           2
        .value_kind:     hidden_remainder_z
      - .offset:         88
        .size:           8
        .value_kind:     hidden_global_offset_x
      - .offset:         96
        .size:           8
        .value_kind:     hidden_global_offset_y
      - .offset:         104
        .size:           8
        .value_kind:     hidden_global_offset_z
      - .offset:         112
        .size:           2
        .value_kind:     hidden_grid_dims
    .group_segment_fixed_size: 0
    .kernarg_segment_align: 8
    .kernarg_segment_size: 304
    .language:       OpenCL C
    .language_version:
      - 2
      - 0
    .max_flat_workgroup_size: 1024
    .name:           _ZL9moe_vec_qIfLi256ELi8E12block_iq2_xsLi1EXadL_ZL19vec_dot_iq2_xs_q8_1PKvPK10block_q8_1RKiEEEvS2_S2_PT_PS6_iiii
    .private_segment_fixed_size: 0
    .sgpr_count:     81
    .sgpr_spill_count: 0
    .symbol:         _ZL9moe_vec_qIfLi256ELi8E12block_iq2_xsLi1EXadL_ZL19vec_dot_iq2_xs_q8_1PKvPK10block_q8_1RKiEEEvS2_S2_PT_PS6_iiii.kd
    .uniform_work_group_size: 1
    .uses_dynamic_stack: false
    .vgpr_count:     82
    .vgpr_spill_count: 0
    .wavefront_size: 64
  - .agpr_count:     0
    .args:
      - .actual_access:  read_only
        .address_space:  global
        .offset:         0
        .size:           8
        .value_kind:     global_buffer
      - .actual_access:  read_only
        .address_space:  global
        .offset:         8
        .size:           8
        .value_kind:     global_buffer
      - .actual_access:  write_only
        .address_space:  global
        .offset:         16
        .size:           8
        .value_kind:     global_buffer
      - .address_space:  global
        .offset:         24
        .size:           8
        .value_kind:     global_buffer
      - .offset:         32
        .size:           4
        .value_kind:     by_value
      - .offset:         36
        .size:           4
        .value_kind:     by_value
      - .offset:         40
        .size:           4
        .value_kind:     by_value
      - .offset:         44
        .size:           4
        .value_kind:     by_value
      - .offset:         48
        .size:           4
        .value_kind:     hidden_block_count_x
      - .offset:         52
        .size:           4
        .value_kind:     hidden_block_count_y
      - .offset:         56
        .size:           4
        .value_kind:     hidden_block_count_z
      - .offset:         60
        .size:           2
        .value_kind:     hidden_group_size_x
      - .offset:         62
        .size:           2
        .value_kind:     hidden_group_size_y
      - .offset:         64
        .size:           2
        .value_kind:     hidden_group_size_z
      - .offset:         66
        .size:           2
        .value_kind:     hidden_remainder_x
      - .offset:         68
        .size:           2
        .value_kind:     hidden_remainder_y
      - .offset:         70
        .size:           2
        .value_kind:     hidden_remainder_z
      - .offset:         88
        .size:           8
        .value_kind:     hidden_global_offset_x
      - .offset:         96
        .size:           8
        .value_kind:     hidden_global_offset_y
      - .offset:         104
        .size:           8
        .value_kind:     hidden_global_offset_z
      - .offset:         112
        .size:           2
        .value_kind:     hidden_grid_dims
    .group_segment_fixed_size: 0
    .kernarg_segment_align: 8
    .kernarg_segment_size: 304
    .language:       OpenCL C
    .language_version:
      - 2
      - 0
    .max_flat_workgroup_size: 1024
    .name:           _ZL9moe_vec_qIfLi256ELi8E13block_iq3_xxsLi1EXadL_ZL20vec_dot_iq3_xxs_q8_1PKvPK10block_q8_1RKiEEEvS2_S2_PT_PS6_iiii
    .private_segment_fixed_size: 0
    .sgpr_count:     26
    .sgpr_spill_count: 0
    .symbol:         _ZL9moe_vec_qIfLi256ELi8E13block_iq3_xxsLi1EXadL_ZL20vec_dot_iq3_xxs_q8_1PKvPK10block_q8_1RKiEEEvS2_S2_PT_PS6_iiii.kd
    .uniform_work_group_size: 1
    .uses_dynamic_stack: false
    .vgpr_count:     61
    .vgpr_spill_count: 0
    .wavefront_size: 64
  - .agpr_count:     0
    .args:
      - .actual_access:  read_only
        .address_space:  global
        .offset:         0
        .size:           8
        .value_kind:     global_buffer
      - .actual_access:  read_only
        .address_space:  global
        .offset:         8
        .size:           8
        .value_kind:     global_buffer
      - .actual_access:  write_only
        .address_space:  global
        .offset:         16
        .size:           8
        .value_kind:     global_buffer
      - .address_space:  global
        .offset:         24
        .size:           8
        .value_kind:     global_buffer
      - .offset:         32
        .size:           4
        .value_kind:     by_value
      - .offset:         36
        .size:           4
        .value_kind:     by_value
      - .offset:         40
        .size:           4
        .value_kind:     by_value
      - .offset:         44
        .size:           4
        .value_kind:     by_value
      - .offset:         48
        .size:           4
        .value_kind:     hidden_block_count_x
      - .offset:         52
        .size:           4
        .value_kind:     hidden_block_count_y
      - .offset:         56
        .size:           4
        .value_kind:     hidden_block_count_z
      - .offset:         60
        .size:           2
        .value_kind:     hidden_group_size_x
      - .offset:         62
        .size:           2
        .value_kind:     hidden_group_size_y
      - .offset:         64
        .size:           2
        .value_kind:     hidden_group_size_z
      - .offset:         66
        .size:           2
        .value_kind:     hidden_remainder_x
      - .offset:         68
        .size:           2
        .value_kind:     hidden_remainder_y
      - .offset:         70
        .size:           2
        .value_kind:     hidden_remainder_z
      - .offset:         88
        .size:           8
        .value_kind:     hidden_global_offset_x
      - .offset:         96
        .size:           8
        .value_kind:     hidden_global_offset_y
      - .offset:         104
        .size:           8
        .value_kind:     hidden_global_offset_z
      - .offset:         112
        .size:           2
        .value_kind:     hidden_grid_dims
    .group_segment_fixed_size: 0
    .kernarg_segment_align: 8
    .kernarg_segment_size: 304
    .language:       OpenCL C
    .language_version:
      - 2
      - 0
    .max_flat_workgroup_size: 1024
    .name:           _ZL9moe_vec_qIfLi256ELi8E11block_iq1_sLi1EXadL_ZL18vec_dot_iq1_s_q8_1PKvPK10block_q8_1RKiEEEvS2_S2_PT_PS6_iiii
    .private_segment_fixed_size: 0
    .sgpr_count:     26
    .sgpr_spill_count: 0
    .symbol:         _ZL9moe_vec_qIfLi256ELi8E11block_iq1_sLi1EXadL_ZL18vec_dot_iq1_s_q8_1PKvPK10block_q8_1RKiEEEvS2_S2_PT_PS6_iiii.kd
    .uniform_work_group_size: 1
    .uses_dynamic_stack: false
    .vgpr_count:     35
    .vgpr_spill_count: 0
    .wavefront_size: 64
  - .agpr_count:     0
    .args:
      - .actual_access:  read_only
        .address_space:  global
        .offset:         0
        .size:           8
        .value_kind:     global_buffer
      - .actual_access:  read_only
        .address_space:  global
        .offset:         8
        .size:           8
        .value_kind:     global_buffer
      - .actual_access:  write_only
        .address_space:  global
        .offset:         16
        .size:           8
        .value_kind:     global_buffer
      - .address_space:  global
        .offset:         24
        .size:           8
        .value_kind:     global_buffer
      - .offset:         32
        .size:           4
        .value_kind:     by_value
      - .offset:         36
        .size:           4
        .value_kind:     by_value
      - .offset:         40
        .size:           4
        .value_kind:     by_value
      - .offset:         44
        .size:           4
        .value_kind:     by_value
      - .offset:         48
        .size:           4
        .value_kind:     hidden_block_count_x
      - .offset:         52
        .size:           4
        .value_kind:     hidden_block_count_y
      - .offset:         56
        .size:           4
        .value_kind:     hidden_block_count_z
      - .offset:         60
        .size:           2
        .value_kind:     hidden_group_size_x
      - .offset:         62
        .size:           2
        .value_kind:     hidden_group_size_y
      - .offset:         64
        .size:           2
        .value_kind:     hidden_group_size_z
      - .offset:         66
        .size:           2
        .value_kind:     hidden_remainder_x
      - .offset:         68
        .size:           2
        .value_kind:     hidden_remainder_y
      - .offset:         70
        .size:           2
        .value_kind:     hidden_remainder_z
      - .offset:         88
        .size:           8
        .value_kind:     hidden_global_offset_x
      - .offset:         96
        .size:           8
        .value_kind:     hidden_global_offset_y
      - .offset:         104
        .size:           8
        .value_kind:     hidden_global_offset_z
      - .offset:         112
        .size:           2
        .value_kind:     hidden_grid_dims
    .group_segment_fixed_size: 0
    .kernarg_segment_align: 8
    .kernarg_segment_size: 304
    .language:       OpenCL C
    .language_version:
      - 2
      - 0
    .max_flat_workgroup_size: 1024
    .name:           _ZL9moe_vec_qIfLi32ELi4E12block_iq4_nlLi2EXadL_ZL19vec_dot_iq4_nl_q8_1PKvPK10block_q8_1RKiEEEvS2_S2_PT_PS6_iiii
    .private_segment_fixed_size: 0
    .sgpr_count:     26
    .sgpr_spill_count: 0
    .symbol:         _ZL9moe_vec_qIfLi32ELi4E12block_iq4_nlLi2EXadL_ZL19vec_dot_iq4_nl_q8_1PKvPK10block_q8_1RKiEEEvS2_S2_PT_PS6_iiii.kd
    .uniform_work_group_size: 1
    .uses_dynamic_stack: false
    .vgpr_count:     47
    .vgpr_spill_count: 0
    .wavefront_size: 64
  - .agpr_count:     0
    .args:
      - .actual_access:  read_only
        .address_space:  global
        .offset:         0
        .size:           8
        .value_kind:     global_buffer
      - .actual_access:  read_only
        .address_space:  global
        .offset:         8
        .size:           8
        .value_kind:     global_buffer
      - .actual_access:  write_only
        .address_space:  global
        .offset:         16
        .size:           8
        .value_kind:     global_buffer
      - .address_space:  global
        .offset:         24
        .size:           8
        .value_kind:     global_buffer
      - .offset:         32
        .size:           4
        .value_kind:     by_value
      - .offset:         36
        .size:           4
        .value_kind:     by_value
      - .offset:         40
        .size:           4
        .value_kind:     by_value
      - .offset:         44
        .size:           4
        .value_kind:     by_value
      - .offset:         48
        .size:           4
        .value_kind:     hidden_block_count_x
      - .offset:         52
        .size:           4
        .value_kind:     hidden_block_count_y
      - .offset:         56
        .size:           4
        .value_kind:     hidden_block_count_z
      - .offset:         60
        .size:           2
        .value_kind:     hidden_group_size_x
      - .offset:         62
        .size:           2
        .value_kind:     hidden_group_size_y
      - .offset:         64
        .size:           2
        .value_kind:     hidden_group_size_z
      - .offset:         66
        .size:           2
        .value_kind:     hidden_remainder_x
      - .offset:         68
        .size:           2
        .value_kind:     hidden_remainder_y
      - .offset:         70
        .size:           2
        .value_kind:     hidden_remainder_z
      - .offset:         88
        .size:           8
        .value_kind:     hidden_global_offset_x
      - .offset:         96
        .size:           8
        .value_kind:     hidden_global_offset_y
      - .offset:         104
        .size:           8
        .value_kind:     hidden_global_offset_z
      - .offset:         112
        .size:           2
        .value_kind:     hidden_grid_dims
    .group_segment_fixed_size: 0
    .kernarg_segment_align: 8
    .kernarg_segment_size: 304
    .language:       OpenCL C
    .language_version:
      - 2
      - 0
    .max_flat_workgroup_size: 1024
    .name:           _ZL9moe_vec_qIfLi256ELi8E11block_iq3_sLi1EXadL_ZL18vec_dot_iq3_s_q8_1PKvPK10block_q8_1RKiEEEvS2_S2_PT_PS6_iiii
    .private_segment_fixed_size: 0
    .sgpr_count:     27
    .sgpr_spill_count: 0
    .symbol:         _ZL9moe_vec_qIfLi256ELi8E11block_iq3_sLi1EXadL_ZL18vec_dot_iq3_s_q8_1PKvPK10block_q8_1RKiEEEvS2_S2_PT_PS6_iiii.kd
    .uniform_work_group_size: 1
    .uses_dynamic_stack: false
    .vgpr_count:     48
    .vgpr_spill_count: 0
    .wavefront_size: 64
  - .agpr_count:     0
    .args:
      - .actual_access:  read_only
        .address_space:  global
        .offset:         0
        .size:           8
        .value_kind:     global_buffer
      - .actual_access:  read_only
        .address_space:  global
        .offset:         8
        .size:           8
        .value_kind:     global_buffer
      - .actual_access:  write_only
        .address_space:  global
        .offset:         16
        .size:           8
        .value_kind:     global_buffer
      - .address_space:  global
        .offset:         24
        .size:           8
        .value_kind:     global_buffer
      - .offset:         32
        .size:           4
        .value_kind:     by_value
      - .offset:         36
        .size:           4
        .value_kind:     by_value
      - .offset:         40
        .size:           4
        .value_kind:     by_value
      - .offset:         44
        .size:           4
        .value_kind:     by_value
      - .offset:         48
        .size:           4
        .value_kind:     hidden_block_count_x
      - .offset:         52
        .size:           4
        .value_kind:     hidden_block_count_y
      - .offset:         56
        .size:           4
        .value_kind:     hidden_block_count_z
      - .offset:         60
        .size:           2
        .value_kind:     hidden_group_size_x
      - .offset:         62
        .size:           2
        .value_kind:     hidden_group_size_y
      - .offset:         64
        .size:           2
        .value_kind:     hidden_group_size_z
      - .offset:         66
        .size:           2
        .value_kind:     hidden_remainder_x
      - .offset:         68
        .size:           2
        .value_kind:     hidden_remainder_y
      - .offset:         70
        .size:           2
        .value_kind:     hidden_remainder_z
      - .offset:         88
        .size:           8
        .value_kind:     hidden_global_offset_x
      - .offset:         96
        .size:           8
        .value_kind:     hidden_global_offset_y
      - .offset:         104
        .size:           8
        .value_kind:     hidden_global_offset_z
      - .offset:         112
        .size:           2
        .value_kind:     hidden_grid_dims
    .group_segment_fixed_size: 0
    .kernarg_segment_align: 8
    .kernarg_segment_size: 304
    .language:       OpenCL C
    .language_version:
      - 2
      - 0
    .max_flat_workgroup_size: 1024
    .name:           _ZL9moe_vec_qIfLi256ELi8E11block_iq2_sLi1EXadL_ZL18vec_dot_iq2_s_q8_1PKvPK10block_q8_1RKiEEEvS2_S2_PT_PS6_iiii
    .private_segment_fixed_size: 0
    .sgpr_count:     28
    .sgpr_spill_count: 0
    .symbol:         _ZL9moe_vec_qIfLi256ELi8E11block_iq2_sLi1EXadL_ZL18vec_dot_iq2_s_q8_1PKvPK10block_q8_1RKiEEEvS2_S2_PT_PS6_iiii.kd
    .uniform_work_group_size: 1
    .uses_dynamic_stack: false
    .vgpr_count:     64
    .vgpr_spill_count: 0
    .wavefront_size: 64
  - .agpr_count:     0
    .args:
      - .actual_access:  read_only
        .address_space:  global
        .offset:         0
        .size:           8
        .value_kind:     global_buffer
      - .actual_access:  read_only
        .address_space:  global
        .offset:         8
        .size:           8
        .value_kind:     global_buffer
      - .actual_access:  write_only
        .address_space:  global
        .offset:         16
        .size:           8
        .value_kind:     global_buffer
      - .address_space:  global
        .offset:         24
        .size:           8
        .value_kind:     global_buffer
      - .offset:         32
        .size:           4
        .value_kind:     by_value
      - .offset:         36
        .size:           4
        .value_kind:     by_value
      - .offset:         40
        .size:           4
        .value_kind:     by_value
      - .offset:         44
        .size:           4
        .value_kind:     by_value
      - .offset:         48
        .size:           4
        .value_kind:     hidden_block_count_x
      - .offset:         52
        .size:           4
        .value_kind:     hidden_block_count_y
      - .offset:         56
        .size:           4
        .value_kind:     hidden_block_count_z
      - .offset:         60
        .size:           2
        .value_kind:     hidden_group_size_x
      - .offset:         62
        .size:           2
        .value_kind:     hidden_group_size_y
      - .offset:         64
        .size:           2
        .value_kind:     hidden_group_size_z
      - .offset:         66
        .size:           2
        .value_kind:     hidden_remainder_x
      - .offset:         68
        .size:           2
        .value_kind:     hidden_remainder_y
      - .offset:         70
        .size:           2
        .value_kind:     hidden_remainder_z
      - .offset:         88
        .size:           8
        .value_kind:     hidden_global_offset_x
      - .offset:         96
        .size:           8
        .value_kind:     hidden_global_offset_y
      - .offset:         104
        .size:           8
        .value_kind:     hidden_global_offset_z
      - .offset:         112
        .size:           2
        .value_kind:     hidden_grid_dims
    .group_segment_fixed_size: 0
    .kernarg_segment_align: 8
    .kernarg_segment_size: 304
    .language:       OpenCL C
    .language_version:
      - 2
      - 0
    .max_flat_workgroup_size: 1024
    .name:           _ZL9moe_vec_qIfLi256ELi8E12block_iq4_xsLi1EXadL_ZL19vec_dot_iq4_xs_q8_1PKvPK10block_q8_1RKiEEEvS2_S2_PT_PS6_iiii
    .private_segment_fixed_size: 0
    .sgpr_count:     26
    .sgpr_spill_count: 0
    .symbol:         _ZL9moe_vec_qIfLi256ELi8E12block_iq4_xsLi1EXadL_ZL19vec_dot_iq4_xs_q8_1PKvPK10block_q8_1RKiEEEvS2_S2_PT_PS6_iiii.kd
    .uniform_work_group_size: 1
    .uses_dynamic_stack: false
    .vgpr_count:     64
    .vgpr_spill_count: 0
    .wavefront_size: 64
  - .agpr_count:     0
    .args:
      - .actual_access:  read_only
        .address_space:  global
        .offset:         0
        .size:           8
        .value_kind:     global_buffer
      - .actual_access:  read_only
        .address_space:  global
        .offset:         8
        .size:           8
        .value_kind:     global_buffer
      - .actual_access:  write_only
        .address_space:  global
        .offset:         16
        .size:           8
        .value_kind:     global_buffer
      - .address_space:  global
        .offset:         24
        .size:           8
        .value_kind:     global_buffer
      - .offset:         32
        .size:           4
        .value_kind:     by_value
      - .offset:         36
        .size:           4
        .value_kind:     by_value
      - .offset:         40
        .size:           4
        .value_kind:     by_value
      - .offset:         44
        .size:           4
        .value_kind:     by_value
      - .offset:         48
        .size:           4
        .value_kind:     hidden_block_count_x
      - .offset:         52
        .size:           4
        .value_kind:     hidden_block_count_y
      - .offset:         56
        .size:           4
        .value_kind:     hidden_block_count_z
      - .offset:         60
        .size:           2
        .value_kind:     hidden_group_size_x
      - .offset:         62
        .size:           2
        .value_kind:     hidden_group_size_y
      - .offset:         64
        .size:           2
        .value_kind:     hidden_group_size_z
      - .offset:         66
        .size:           2
        .value_kind:     hidden_remainder_x
      - .offset:         68
        .size:           2
        .value_kind:     hidden_remainder_y
      - .offset:         70
        .size:           2
        .value_kind:     hidden_remainder_z
      - .offset:         88
        .size:           8
        .value_kind:     hidden_global_offset_x
      - .offset:         96
        .size:           8
        .value_kind:     hidden_global_offset_y
      - .offset:         104
        .size:           8
        .value_kind:     hidden_global_offset_z
      - .offset:         112
        .size:           2
        .value_kind:     hidden_grid_dims
    .group_segment_fixed_size: 0
    .kernarg_segment_align: 8
    .kernarg_segment_size: 304
    .language:       OpenCL C
    .language_version:
      - 2
      - 0
    .max_flat_workgroup_size: 1024
    .name:           _ZL9moe_vec_qIfLi256ELi8E11block_iq1_mLi1EXadL_ZL18vec_dot_iq1_m_q8_1PKvPK10block_q8_1RKiEEEvS2_S2_PT_PS6_iiii
    .private_segment_fixed_size: 0
    .sgpr_count:     26
    .sgpr_spill_count: 0
    .symbol:         _ZL9moe_vec_qIfLi256ELi8E11block_iq1_mLi1EXadL_ZL18vec_dot_iq1_m_q8_1PKvPK10block_q8_1RKiEEEvS2_S2_PT_PS6_iiii.kd
    .uniform_work_group_size: 1
    .uses_dynamic_stack: false
    .vgpr_count:     49
    .vgpr_spill_count: 0
    .wavefront_size: 64
  - .agpr_count:     0
    .args:
      - .actual_access:  read_only
        .address_space:  global
        .offset:         0
        .size:           8
        .value_kind:     global_buffer
      - .actual_access:  read_only
        .address_space:  global
        .offset:         8
        .size:           8
        .value_kind:     global_buffer
      - .actual_access:  write_only
        .address_space:  global
        .offset:         16
        .size:           8
        .value_kind:     global_buffer
      - .address_space:  global
        .offset:         24
        .size:           8
        .value_kind:     global_buffer
      - .offset:         32
        .size:           4
        .value_kind:     by_value
      - .offset:         36
        .size:           4
        .value_kind:     by_value
      - .offset:         40
        .size:           4
        .value_kind:     by_value
      - .offset:         44
        .size:           4
        .value_kind:     by_value
      - .offset:         48
        .size:           4
        .value_kind:     hidden_block_count_x
      - .offset:         52
        .size:           4
        .value_kind:     hidden_block_count_y
      - .offset:         56
        .size:           4
        .value_kind:     hidden_block_count_z
      - .offset:         60
        .size:           2
        .value_kind:     hidden_group_size_x
      - .offset:         62
        .size:           2
        .value_kind:     hidden_group_size_y
      - .offset:         64
        .size:           2
        .value_kind:     hidden_group_size_z
      - .offset:         66
        .size:           2
        .value_kind:     hidden_remainder_x
      - .offset:         68
        .size:           2
        .value_kind:     hidden_remainder_y
      - .offset:         70
        .size:           2
        .value_kind:     hidden_remainder_z
      - .offset:         88
        .size:           8
        .value_kind:     hidden_global_offset_x
      - .offset:         96
        .size:           8
        .value_kind:     hidden_global_offset_y
      - .offset:         104
        .size:           8
        .value_kind:     hidden_global_offset_z
      - .offset:         112
        .size:           2
        .value_kind:     hidden_grid_dims
    .group_segment_fixed_size: 0
    .kernarg_segment_align: 8
    .kernarg_segment_size: 304
    .language:       OpenCL C
    .language_version:
      - 2
      - 0
    .max_flat_workgroup_size: 1024
    .name:           _ZL9moe_vec_qIN3c104HalfELi32ELi4E10block_q4_0Li2EXadL_ZL17vec_dot_q4_0_q8_1PKvPK10block_q8_1RKiEEEvS4_S4_PT_PS8_iiii
    .private_segment_fixed_size: 0
    .sgpr_count:     26
    .sgpr_spill_count: 0
    .symbol:         _ZL9moe_vec_qIN3c104HalfELi32ELi4E10block_q4_0Li2EXadL_ZL17vec_dot_q4_0_q8_1PKvPK10block_q8_1RKiEEEvS4_S4_PT_PS8_iiii.kd
    .uniform_work_group_size: 1
    .uses_dynamic_stack: false
    .vgpr_count:     24
    .vgpr_spill_count: 0
    .wavefront_size: 64
  - .agpr_count:     0
    .args:
      - .actual_access:  read_only
        .address_space:  global
        .offset:         0
        .size:           8
        .value_kind:     global_buffer
      - .actual_access:  read_only
        .address_space:  global
        .offset:         8
        .size:           8
        .value_kind:     global_buffer
      - .actual_access:  write_only
        .address_space:  global
        .offset:         16
        .size:           8
        .value_kind:     global_buffer
      - .address_space:  global
        .offset:         24
        .size:           8
        .value_kind:     global_buffer
      - .offset:         32
        .size:           4
        .value_kind:     by_value
      - .offset:         36
        .size:           4
        .value_kind:     by_value
      - .offset:         40
        .size:           4
        .value_kind:     by_value
      - .offset:         44
        .size:           4
        .value_kind:     by_value
      - .offset:         48
        .size:           4
        .value_kind:     hidden_block_count_x
      - .offset:         52
        .size:           4
        .value_kind:     hidden_block_count_y
      - .offset:         56
        .size:           4
        .value_kind:     hidden_block_count_z
      - .offset:         60
        .size:           2
        .value_kind:     hidden_group_size_x
      - .offset:         62
        .size:           2
        .value_kind:     hidden_group_size_y
      - .offset:         64
        .size:           2
        .value_kind:     hidden_group_size_z
      - .offset:         66
        .size:           2
        .value_kind:     hidden_remainder_x
      - .offset:         68
        .size:           2
        .value_kind:     hidden_remainder_y
      - .offset:         70
        .size:           2
        .value_kind:     hidden_remainder_z
      - .offset:         88
        .size:           8
        .value_kind:     hidden_global_offset_x
      - .offset:         96
        .size:           8
        .value_kind:     hidden_global_offset_y
      - .offset:         104
        .size:           8
        .value_kind:     hidden_global_offset_z
      - .offset:         112
        .size:           2
        .value_kind:     hidden_grid_dims
    .group_segment_fixed_size: 0
    .kernarg_segment_align: 8
    .kernarg_segment_size: 304
    .language:       OpenCL C
    .language_version:
      - 2
      - 0
    .max_flat_workgroup_size: 1024
    .name:           _ZL9moe_vec_qIN3c104HalfELi32ELi4E10block_q4_1Li2EXadL_ZL17vec_dot_q4_1_q8_1PKvPK10block_q8_1RKiEEEvS4_S4_PT_PS8_iiii
    .private_segment_fixed_size: 0
    .sgpr_count:     26
    .sgpr_spill_count: 0
    .symbol:         _ZL9moe_vec_qIN3c104HalfELi32ELi4E10block_q4_1Li2EXadL_ZL17vec_dot_q4_1_q8_1PKvPK10block_q8_1RKiEEEvS4_S4_PT_PS8_iiii.kd
    .uniform_work_group_size: 1
    .uses_dynamic_stack: false
    .vgpr_count:     22
    .vgpr_spill_count: 0
    .wavefront_size: 64
  - .agpr_count:     0
    .args:
      - .actual_access:  read_only
        .address_space:  global
        .offset:         0
        .size:           8
        .value_kind:     global_buffer
      - .actual_access:  read_only
        .address_space:  global
        .offset:         8
        .size:           8
        .value_kind:     global_buffer
      - .actual_access:  write_only
        .address_space:  global
        .offset:         16
        .size:           8
        .value_kind:     global_buffer
      - .address_space:  global
        .offset:         24
        .size:           8
        .value_kind:     global_buffer
      - .offset:         32
        .size:           4
        .value_kind:     by_value
      - .offset:         36
        .size:           4
        .value_kind:     by_value
      - .offset:         40
        .size:           4
        .value_kind:     by_value
      - .offset:         44
        .size:           4
        .value_kind:     by_value
      - .offset:         48
        .size:           4
        .value_kind:     hidden_block_count_x
      - .offset:         52
        .size:           4
        .value_kind:     hidden_block_count_y
      - .offset:         56
        .size:           4
        .value_kind:     hidden_block_count_z
      - .offset:         60
        .size:           2
        .value_kind:     hidden_group_size_x
      - .offset:         62
        .size:           2
        .value_kind:     hidden_group_size_y
      - .offset:         64
        .size:           2
        .value_kind:     hidden_group_size_z
      - .offset:         66
        .size:           2
        .value_kind:     hidden_remainder_x
      - .offset:         68
        .size:           2
        .value_kind:     hidden_remainder_y
      - .offset:         70
        .size:           2
        .value_kind:     hidden_remainder_z
      - .offset:         88
        .size:           8
        .value_kind:     hidden_global_offset_x
      - .offset:         96
        .size:           8
        .value_kind:     hidden_global_offset_y
      - .offset:         104
        .size:           8
        .value_kind:     hidden_global_offset_z
      - .offset:         112
        .size:           2
        .value_kind:     hidden_grid_dims
    .group_segment_fixed_size: 0
    .kernarg_segment_align: 8
    .kernarg_segment_size: 304
    .language:       OpenCL C
    .language_version:
      - 2
      - 0
    .max_flat_workgroup_size: 1024
    .name:           _ZL9moe_vec_qIN3c104HalfELi32ELi4E10block_q5_0Li2EXadL_ZL17vec_dot_q5_0_q8_1PKvPK10block_q8_1RKiEEEvS4_S4_PT_PS8_iiii
    .private_segment_fixed_size: 0
    .sgpr_count:     26
    .sgpr_spill_count: 0
    .symbol:         _ZL9moe_vec_qIN3c104HalfELi32ELi4E10block_q5_0Li2EXadL_ZL17vec_dot_q5_0_q8_1PKvPK10block_q8_1RKiEEEvS4_S4_PT_PS8_iiii.kd
    .uniform_work_group_size: 1
    .uses_dynamic_stack: false
    .vgpr_count:     37
    .vgpr_spill_count: 0
    .wavefront_size: 64
  - .agpr_count:     0
    .args:
      - .actual_access:  read_only
        .address_space:  global
        .offset:         0
        .size:           8
        .value_kind:     global_buffer
      - .actual_access:  read_only
        .address_space:  global
        .offset:         8
        .size:           8
        .value_kind:     global_buffer
      - .actual_access:  write_only
        .address_space:  global
        .offset:         16
        .size:           8
        .value_kind:     global_buffer
      - .address_space:  global
        .offset:         24
        .size:           8
        .value_kind:     global_buffer
      - .offset:         32
        .size:           4
        .value_kind:     by_value
      - .offset:         36
        .size:           4
        .value_kind:     by_value
      - .offset:         40
        .size:           4
        .value_kind:     by_value
      - .offset:         44
        .size:           4
        .value_kind:     by_value
      - .offset:         48
        .size:           4
        .value_kind:     hidden_block_count_x
      - .offset:         52
        .size:           4
        .value_kind:     hidden_block_count_y
      - .offset:         56
        .size:           4
        .value_kind:     hidden_block_count_z
      - .offset:         60
        .size:           2
        .value_kind:     hidden_group_size_x
      - .offset:         62
        .size:           2
        .value_kind:     hidden_group_size_y
      - .offset:         64
        .size:           2
        .value_kind:     hidden_group_size_z
      - .offset:         66
        .size:           2
        .value_kind:     hidden_remainder_x
      - .offset:         68
        .size:           2
        .value_kind:     hidden_remainder_y
      - .offset:         70
        .size:           2
        .value_kind:     hidden_remainder_z
      - .offset:         88
        .size:           8
        .value_kind:     hidden_global_offset_x
      - .offset:         96
        .size:           8
        .value_kind:     hidden_global_offset_y
      - .offset:         104
        .size:           8
        .value_kind:     hidden_global_offset_z
      - .offset:         112
        .size:           2
        .value_kind:     hidden_grid_dims
    .group_segment_fixed_size: 0
    .kernarg_segment_align: 8
    .kernarg_segment_size: 304
    .language:       OpenCL C
    .language_version:
      - 2
      - 0
    .max_flat_workgroup_size: 1024
    .name:           _ZL9moe_vec_qIN3c104HalfELi32ELi4E10block_q5_1Li2EXadL_ZL17vec_dot_q5_1_q8_1PKvPK10block_q8_1RKiEEEvS4_S4_PT_PS8_iiii
    .private_segment_fixed_size: 0
    .sgpr_count:     26
    .sgpr_spill_count: 0
    .symbol:         _ZL9moe_vec_qIN3c104HalfELi32ELi4E10block_q5_1Li2EXadL_ZL17vec_dot_q5_1_q8_1PKvPK10block_q8_1RKiEEEvS4_S4_PT_PS8_iiii.kd
    .uniform_work_group_size: 1
    .uses_dynamic_stack: false
    .vgpr_count:     37
    .vgpr_spill_count: 0
    .wavefront_size: 64
  - .agpr_count:     0
    .args:
      - .actual_access:  read_only
        .address_space:  global
        .offset:         0
        .size:           8
        .value_kind:     global_buffer
      - .actual_access:  read_only
        .address_space:  global
        .offset:         8
        .size:           8
        .value_kind:     global_buffer
      - .actual_access:  write_only
        .address_space:  global
        .offset:         16
        .size:           8
        .value_kind:     global_buffer
      - .address_space:  global
        .offset:         24
        .size:           8
        .value_kind:     global_buffer
      - .offset:         32
        .size:           4
        .value_kind:     by_value
      - .offset:         36
        .size:           4
        .value_kind:     by_value
      - .offset:         40
        .size:           4
        .value_kind:     by_value
      - .offset:         44
        .size:           4
        .value_kind:     by_value
      - .offset:         48
        .size:           4
        .value_kind:     hidden_block_count_x
      - .offset:         52
        .size:           4
        .value_kind:     hidden_block_count_y
      - .offset:         56
        .size:           4
        .value_kind:     hidden_block_count_z
      - .offset:         60
        .size:           2
        .value_kind:     hidden_group_size_x
      - .offset:         62
        .size:           2
        .value_kind:     hidden_group_size_y
      - .offset:         64
        .size:           2
        .value_kind:     hidden_group_size_z
      - .offset:         66
        .size:           2
        .value_kind:     hidden_remainder_x
      - .offset:         68
        .size:           2
        .value_kind:     hidden_remainder_y
      - .offset:         70
        .size:           2
        .value_kind:     hidden_remainder_z
      - .offset:         88
        .size:           8
        .value_kind:     hidden_global_offset_x
      - .offset:         96
        .size:           8
        .value_kind:     hidden_global_offset_y
      - .offset:         104
        .size:           8
        .value_kind:     hidden_global_offset_z
      - .offset:         112
        .size:           2
        .value_kind:     hidden_grid_dims
    .group_segment_fixed_size: 0
    .kernarg_segment_align: 8
    .kernarg_segment_size: 304
    .language:       OpenCL C
    .language_version:
      - 2
      - 0
    .max_flat_workgroup_size: 1024
    .name:           _ZL9moe_vec_qIN3c104HalfELi32ELi8E10block_q8_0Li2EXadL_ZL17vec_dot_q8_0_q8_1PKvPK10block_q8_1RKiEEEvS4_S4_PT_PS8_iiii
    .private_segment_fixed_size: 0
    .sgpr_count:     26
    .sgpr_spill_count: 0
    .symbol:         _ZL9moe_vec_qIN3c104HalfELi32ELi8E10block_q8_0Li2EXadL_ZL17vec_dot_q8_0_q8_1PKvPK10block_q8_1RKiEEEvS4_S4_PT_PS8_iiii.kd
    .uniform_work_group_size: 1
    .uses_dynamic_stack: false
    .vgpr_count:     19
    .vgpr_spill_count: 0
    .wavefront_size: 64
  - .agpr_count:     0
    .args:
      - .actual_access:  read_only
        .address_space:  global
        .offset:         0
        .size:           8
        .value_kind:     global_buffer
      - .actual_access:  read_only
        .address_space:  global
        .offset:         8
        .size:           8
        .value_kind:     global_buffer
      - .actual_access:  write_only
        .address_space:  global
        .offset:         16
        .size:           8
        .value_kind:     global_buffer
      - .address_space:  global
        .offset:         24
        .size:           8
        .value_kind:     global_buffer
      - .offset:         32
        .size:           4
        .value_kind:     by_value
      - .offset:         36
        .size:           4
        .value_kind:     by_value
      - .offset:         40
        .size:           4
        .value_kind:     by_value
      - .offset:         44
        .size:           4
        .value_kind:     by_value
      - .offset:         48
        .size:           4
        .value_kind:     hidden_block_count_x
      - .offset:         52
        .size:           4
        .value_kind:     hidden_block_count_y
      - .offset:         56
        .size:           4
        .value_kind:     hidden_block_count_z
      - .offset:         60
        .size:           2
        .value_kind:     hidden_group_size_x
      - .offset:         62
        .size:           2
        .value_kind:     hidden_group_size_y
      - .offset:         64
        .size:           2
        .value_kind:     hidden_group_size_z
      - .offset:         66
        .size:           2
        .value_kind:     hidden_remainder_x
      - .offset:         68
        .size:           2
        .value_kind:     hidden_remainder_y
      - .offset:         70
        .size:           2
        .value_kind:     hidden_remainder_z
      - .offset:         88
        .size:           8
        .value_kind:     hidden_global_offset_x
      - .offset:         96
        .size:           8
        .value_kind:     hidden_global_offset_y
      - .offset:         104
        .size:           8
        .value_kind:     hidden_global_offset_z
      - .offset:         112
        .size:           2
        .value_kind:     hidden_grid_dims
    .group_segment_fixed_size: 0
    .kernarg_segment_align: 8
    .kernarg_segment_size: 304
    .language:       OpenCL C
    .language_version:
      - 2
      - 0
    .max_flat_workgroup_size: 1024
    .name:           _ZL9moe_vec_qIN3c104HalfELi256ELi16E10block_q2_KLi1EXadL_ZL17vec_dot_q2_K_q8_1PKvPK10block_q8_1RKiEEEvS4_S4_PT_PS8_iiii
    .private_segment_fixed_size: 0
    .sgpr_count:     26
    .sgpr_spill_count: 0
    .symbol:         _ZL9moe_vec_qIN3c104HalfELi256ELi16E10block_q2_KLi1EXadL_ZL17vec_dot_q2_K_q8_1PKvPK10block_q8_1RKiEEEvS4_S4_PT_PS8_iiii.kd
    .uniform_work_group_size: 1
    .uses_dynamic_stack: false
    .vgpr_count:     47
    .vgpr_spill_count: 0
    .wavefront_size: 64
  - .agpr_count:     0
    .args:
      - .actual_access:  read_only
        .address_space:  global
        .offset:         0
        .size:           8
        .value_kind:     global_buffer
      - .actual_access:  read_only
        .address_space:  global
        .offset:         8
        .size:           8
        .value_kind:     global_buffer
      - .actual_access:  write_only
        .address_space:  global
        .offset:         16
        .size:           8
        .value_kind:     global_buffer
      - .address_space:  global
        .offset:         24
        .size:           8
        .value_kind:     global_buffer
      - .offset:         32
        .size:           4
        .value_kind:     by_value
      - .offset:         36
        .size:           4
        .value_kind:     by_value
      - .offset:         40
        .size:           4
        .value_kind:     by_value
      - .offset:         44
        .size:           4
        .value_kind:     by_value
      - .offset:         48
        .size:           4
        .value_kind:     hidden_block_count_x
      - .offset:         52
        .size:           4
        .value_kind:     hidden_block_count_y
      - .offset:         56
        .size:           4
        .value_kind:     hidden_block_count_z
      - .offset:         60
        .size:           2
        .value_kind:     hidden_group_size_x
      - .offset:         62
        .size:           2
        .value_kind:     hidden_group_size_y
      - .offset:         64
        .size:           2
        .value_kind:     hidden_group_size_z
      - .offset:         66
        .size:           2
        .value_kind:     hidden_remainder_x
      - .offset:         68
        .size:           2
        .value_kind:     hidden_remainder_y
      - .offset:         70
        .size:           2
        .value_kind:     hidden_remainder_z
      - .offset:         88
        .size:           8
        .value_kind:     hidden_global_offset_x
      - .offset:         96
        .size:           8
        .value_kind:     hidden_global_offset_y
      - .offset:         104
        .size:           8
        .value_kind:     hidden_global_offset_z
      - .offset:         112
        .size:           2
        .value_kind:     hidden_grid_dims
    .group_segment_fixed_size: 0
    .kernarg_segment_align: 8
    .kernarg_segment_size: 304
    .language:       OpenCL C
    .language_version:
      - 2
      - 0
    .max_flat_workgroup_size: 1024
    .name:           _ZL9moe_vec_qIN3c104HalfELi256ELi16E10block_q3_KLi1EXadL_ZL17vec_dot_q3_K_q8_1PKvPK10block_q8_1RKiEEEvS4_S4_PT_PS8_iiii
    .private_segment_fixed_size: 0
    .sgpr_count:     26
    .sgpr_spill_count: 0
    .symbol:         _ZL9moe_vec_qIN3c104HalfELi256ELi16E10block_q3_KLi1EXadL_ZL17vec_dot_q3_K_q8_1PKvPK10block_q8_1RKiEEEvS4_S4_PT_PS8_iiii.kd
    .uniform_work_group_size: 1
    .uses_dynamic_stack: false
    .vgpr_count:     65
    .vgpr_spill_count: 0
    .wavefront_size: 64
  - .agpr_count:     0
    .args:
      - .actual_access:  read_only
        .address_space:  global
        .offset:         0
        .size:           8
        .value_kind:     global_buffer
      - .actual_access:  read_only
        .address_space:  global
        .offset:         8
        .size:           8
        .value_kind:     global_buffer
      - .actual_access:  write_only
        .address_space:  global
        .offset:         16
        .size:           8
        .value_kind:     global_buffer
      - .address_space:  global
        .offset:         24
        .size:           8
        .value_kind:     global_buffer
      - .offset:         32
        .size:           4
        .value_kind:     by_value
      - .offset:         36
        .size:           4
        .value_kind:     by_value
      - .offset:         40
        .size:           4
        .value_kind:     by_value
      - .offset:         44
        .size:           4
        .value_kind:     by_value
      - .offset:         48
        .size:           4
        .value_kind:     hidden_block_count_x
      - .offset:         52
        .size:           4
        .value_kind:     hidden_block_count_y
      - .offset:         56
        .size:           4
        .value_kind:     hidden_block_count_z
      - .offset:         60
        .size:           2
        .value_kind:     hidden_group_size_x
      - .offset:         62
        .size:           2
        .value_kind:     hidden_group_size_y
      - .offset:         64
        .size:           2
        .value_kind:     hidden_group_size_z
      - .offset:         66
        .size:           2
        .value_kind:     hidden_remainder_x
      - .offset:         68
        .size:           2
        .value_kind:     hidden_remainder_y
      - .offset:         70
        .size:           2
        .value_kind:     hidden_remainder_z
      - .offset:         88
        .size:           8
        .value_kind:     hidden_global_offset_x
      - .offset:         96
        .size:           8
        .value_kind:     hidden_global_offset_y
      - .offset:         104
        .size:           8
        .value_kind:     hidden_global_offset_z
      - .offset:         112
        .size:           2
        .value_kind:     hidden_grid_dims
    .group_segment_fixed_size: 0
    .kernarg_segment_align: 8
    .kernarg_segment_size: 304
    .language:       OpenCL C
    .language_version:
      - 2
      - 0
    .max_flat_workgroup_size: 1024
    .name:           _ZL9moe_vec_qIN3c104HalfELi256ELi32E10block_q4_KLi2EXadL_ZL17vec_dot_q4_K_q8_1PKvPK10block_q8_1RKiEEEvS4_S4_PT_PS8_iiii
    .private_segment_fixed_size: 0
    .sgpr_count:     26
    .sgpr_spill_count: 0
    .symbol:         _ZL9moe_vec_qIN3c104HalfELi256ELi32E10block_q4_KLi2EXadL_ZL17vec_dot_q4_K_q8_1PKvPK10block_q8_1RKiEEEvS4_S4_PT_PS8_iiii.kd
    .uniform_work_group_size: 1
    .uses_dynamic_stack: false
    .vgpr_count:     41
    .vgpr_spill_count: 0
    .wavefront_size: 64
  - .agpr_count:     0
    .args:
      - .actual_access:  read_only
        .address_space:  global
        .offset:         0
        .size:           8
        .value_kind:     global_buffer
      - .actual_access:  read_only
        .address_space:  global
        .offset:         8
        .size:           8
        .value_kind:     global_buffer
      - .actual_access:  write_only
        .address_space:  global
        .offset:         16
        .size:           8
        .value_kind:     global_buffer
      - .address_space:  global
        .offset:         24
        .size:           8
        .value_kind:     global_buffer
      - .offset:         32
        .size:           4
        .value_kind:     by_value
      - .offset:         36
        .size:           4
        .value_kind:     by_value
      - .offset:         40
        .size:           4
        .value_kind:     by_value
      - .offset:         44
        .size:           4
        .value_kind:     by_value
      - .offset:         48
        .size:           4
        .value_kind:     hidden_block_count_x
      - .offset:         52
        .size:           4
        .value_kind:     hidden_block_count_y
      - .offset:         56
        .size:           4
        .value_kind:     hidden_block_count_z
      - .offset:         60
        .size:           2
        .value_kind:     hidden_group_size_x
      - .offset:         62
        .size:           2
        .value_kind:     hidden_group_size_y
      - .offset:         64
        .size:           2
        .value_kind:     hidden_group_size_z
      - .offset:         66
        .size:           2
        .value_kind:     hidden_remainder_x
      - .offset:         68
        .size:           2
        .value_kind:     hidden_remainder_y
      - .offset:         70
        .size:           2
        .value_kind:     hidden_remainder_z
      - .offset:         88
        .size:           8
        .value_kind:     hidden_global_offset_x
      - .offset:         96
        .size:           8
        .value_kind:     hidden_global_offset_y
      - .offset:         104
        .size:           8
        .value_kind:     hidden_global_offset_z
      - .offset:         112
        .size:           2
        .value_kind:     hidden_grid_dims
    .group_segment_fixed_size: 0
    .kernarg_segment_align: 8
    .kernarg_segment_size: 304
    .language:       OpenCL C
    .language_version:
      - 2
      - 0
    .max_flat_workgroup_size: 1024
    .name:           _ZL9moe_vec_qIN3c104HalfELi256ELi32E10block_q5_KLi2EXadL_ZL17vec_dot_q5_K_q8_1PKvPK10block_q8_1RKiEEEvS4_S4_PT_PS8_iiii
    .private_segment_fixed_size: 0
    .sgpr_count:     26
    .sgpr_spill_count: 0
    .symbol:         _ZL9moe_vec_qIN3c104HalfELi256ELi32E10block_q5_KLi2EXadL_ZL17vec_dot_q5_K_q8_1PKvPK10block_q8_1RKiEEEvS4_S4_PT_PS8_iiii.kd
    .uniform_work_group_size: 1
    .uses_dynamic_stack: false
    .vgpr_count:     43
    .vgpr_spill_count: 0
    .wavefront_size: 64
  - .agpr_count:     0
    .args:
      - .actual_access:  read_only
        .address_space:  global
        .offset:         0
        .size:           8
        .value_kind:     global_buffer
      - .actual_access:  read_only
        .address_space:  global
        .offset:         8
        .size:           8
        .value_kind:     global_buffer
      - .actual_access:  write_only
        .address_space:  global
        .offset:         16
        .size:           8
        .value_kind:     global_buffer
      - .address_space:  global
        .offset:         24
        .size:           8
        .value_kind:     global_buffer
      - .offset:         32
        .size:           4
        .value_kind:     by_value
      - .offset:         36
        .size:           4
        .value_kind:     by_value
      - .offset:         40
        .size:           4
        .value_kind:     by_value
      - .offset:         44
        .size:           4
        .value_kind:     by_value
      - .offset:         48
        .size:           4
        .value_kind:     hidden_block_count_x
      - .offset:         52
        .size:           4
        .value_kind:     hidden_block_count_y
      - .offset:         56
        .size:           4
        .value_kind:     hidden_block_count_z
      - .offset:         60
        .size:           2
        .value_kind:     hidden_group_size_x
      - .offset:         62
        .size:           2
        .value_kind:     hidden_group_size_y
      - .offset:         64
        .size:           2
        .value_kind:     hidden_group_size_z
      - .offset:         66
        .size:           2
        .value_kind:     hidden_remainder_x
      - .offset:         68
        .size:           2
        .value_kind:     hidden_remainder_y
      - .offset:         70
        .size:           2
        .value_kind:     hidden_remainder_z
      - .offset:         88
        .size:           8
        .value_kind:     hidden_global_offset_x
      - .offset:         96
        .size:           8
        .value_kind:     hidden_global_offset_y
      - .offset:         104
        .size:           8
        .value_kind:     hidden_global_offset_z
      - .offset:         112
        .size:           2
        .value_kind:     hidden_grid_dims
    .group_segment_fixed_size: 0
    .kernarg_segment_align: 8
    .kernarg_segment_size: 304
    .language:       OpenCL C
    .language_version:
      - 2
      - 0
    .max_flat_workgroup_size: 1024
    .name:           _ZL9moe_vec_qIN3c104HalfELi256ELi32E10block_q6_KLi1EXadL_ZL17vec_dot_q6_K_q8_1PKvPK10block_q8_1RKiEEEvS4_S4_PT_PS8_iiii
    .private_segment_fixed_size: 0
    .sgpr_count:     26
    .sgpr_spill_count: 0
    .symbol:         _ZL9moe_vec_qIN3c104HalfELi256ELi32E10block_q6_KLi1EXadL_ZL17vec_dot_q6_K_q8_1PKvPK10block_q8_1RKiEEEvS4_S4_PT_PS8_iiii.kd
    .uniform_work_group_size: 1
    .uses_dynamic_stack: false
    .vgpr_count:     36
    .vgpr_spill_count: 0
    .wavefront_size: 64
  - .agpr_count:     0
    .args:
      - .actual_access:  read_only
        .address_space:  global
        .offset:         0
        .size:           8
        .value_kind:     global_buffer
      - .actual_access:  read_only
        .address_space:  global
        .offset:         8
        .size:           8
        .value_kind:     global_buffer
      - .actual_access:  write_only
        .address_space:  global
        .offset:         16
        .size:           8
        .value_kind:     global_buffer
      - .address_space:  global
        .offset:         24
        .size:           8
        .value_kind:     global_buffer
      - .offset:         32
        .size:           4
        .value_kind:     by_value
      - .offset:         36
        .size:           4
        .value_kind:     by_value
      - .offset:         40
        .size:           4
        .value_kind:     by_value
      - .offset:         44
        .size:           4
        .value_kind:     by_value
      - .offset:         48
        .size:           4
        .value_kind:     hidden_block_count_x
      - .offset:         52
        .size:           4
        .value_kind:     hidden_block_count_y
      - .offset:         56
        .size:           4
        .value_kind:     hidden_block_count_z
      - .offset:         60
        .size:           2
        .value_kind:     hidden_group_size_x
      - .offset:         62
        .size:           2
        .value_kind:     hidden_group_size_y
      - .offset:         64
        .size:           2
        .value_kind:     hidden_group_size_z
      - .offset:         66
        .size:           2
        .value_kind:     hidden_remainder_x
      - .offset:         68
        .size:           2
        .value_kind:     hidden_remainder_y
      - .offset:         70
        .size:           2
        .value_kind:     hidden_remainder_z
      - .offset:         88
        .size:           8
        .value_kind:     hidden_global_offset_x
      - .offset:         96
        .size:           8
        .value_kind:     hidden_global_offset_y
      - .offset:         104
        .size:           8
        .value_kind:     hidden_global_offset_z
      - .offset:         112
        .size:           2
        .value_kind:     hidden_grid_dims
    .group_segment_fixed_size: 0
    .kernarg_segment_align: 8
    .kernarg_segment_size: 304
    .language:       OpenCL C
    .language_version:
      - 2
      - 0
    .max_flat_workgroup_size: 1024
    .name:           _ZL9moe_vec_qIN3c104HalfELi256ELi8E13block_iq2_xxsLi1EXadL_ZL20vec_dot_iq2_xxs_q8_1PKvPK10block_q8_1RKiEEEvS4_S4_PT_PS8_iiii
    .private_segment_fixed_size: 0
    .sgpr_count:     81
    .sgpr_spill_count: 0
    .symbol:         _ZL9moe_vec_qIN3c104HalfELi256ELi8E13block_iq2_xxsLi1EXadL_ZL20vec_dot_iq2_xxs_q8_1PKvPK10block_q8_1RKiEEEvS4_S4_PT_PS8_iiii.kd
    .uniform_work_group_size: 1
    .uses_dynamic_stack: false
    .vgpr_count:     80
    .vgpr_spill_count: 0
    .wavefront_size: 64
  - .agpr_count:     0
    .args:
      - .actual_access:  read_only
        .address_space:  global
        .offset:         0
        .size:           8
        .value_kind:     global_buffer
      - .actual_access:  read_only
        .address_space:  global
        .offset:         8
        .size:           8
        .value_kind:     global_buffer
      - .actual_access:  write_only
        .address_space:  global
        .offset:         16
        .size:           8
        .value_kind:     global_buffer
      - .address_space:  global
        .offset:         24
        .size:           8
        .value_kind:     global_buffer
      - .offset:         32
        .size:           4
        .value_kind:     by_value
      - .offset:         36
        .size:           4
        .value_kind:     by_value
      - .offset:         40
        .size:           4
        .value_kind:     by_value
      - .offset:         44
        .size:           4
        .value_kind:     by_value
      - .offset:         48
        .size:           4
        .value_kind:     hidden_block_count_x
      - .offset:         52
        .size:           4
        .value_kind:     hidden_block_count_y
      - .offset:         56
        .size:           4
        .value_kind:     hidden_block_count_z
      - .offset:         60
        .size:           2
        .value_kind:     hidden_group_size_x
      - .offset:         62
        .size:           2
        .value_kind:     hidden_group_size_y
      - .offset:         64
        .size:           2
        .value_kind:     hidden_group_size_z
      - .offset:         66
        .size:           2
        .value_kind:     hidden_remainder_x
      - .offset:         68
        .size:           2
        .value_kind:     hidden_remainder_y
      - .offset:         70
        .size:           2
        .value_kind:     hidden_remainder_z
      - .offset:         88
        .size:           8
        .value_kind:     hidden_global_offset_x
      - .offset:         96
        .size:           8
        .value_kind:     hidden_global_offset_y
      - .offset:         104
        .size:           8
        .value_kind:     hidden_global_offset_z
      - .offset:         112
        .size:           2
        .value_kind:     hidden_grid_dims
    .group_segment_fixed_size: 0
    .kernarg_segment_align: 8
    .kernarg_segment_size: 304
    .language:       OpenCL C
    .language_version:
      - 2
      - 0
    .max_flat_workgroup_size: 1024
    .name:           _ZL9moe_vec_qIN3c104HalfELi256ELi8E12block_iq2_xsLi1EXadL_ZL19vec_dot_iq2_xs_q8_1PKvPK10block_q8_1RKiEEEvS4_S4_PT_PS8_iiii
    .private_segment_fixed_size: 0
    .sgpr_count:     81
    .sgpr_spill_count: 0
    .symbol:         _ZL9moe_vec_qIN3c104HalfELi256ELi8E12block_iq2_xsLi1EXadL_ZL19vec_dot_iq2_xs_q8_1PKvPK10block_q8_1RKiEEEvS4_S4_PT_PS8_iiii.kd
    .uniform_work_group_size: 1
    .uses_dynamic_stack: false
    .vgpr_count:     82
    .vgpr_spill_count: 0
    .wavefront_size: 64
  - .agpr_count:     0
    .args:
      - .actual_access:  read_only
        .address_space:  global
        .offset:         0
        .size:           8
        .value_kind:     global_buffer
      - .actual_access:  read_only
        .address_space:  global
        .offset:         8
        .size:           8
        .value_kind:     global_buffer
      - .actual_access:  write_only
        .address_space:  global
        .offset:         16
        .size:           8
        .value_kind:     global_buffer
      - .address_space:  global
        .offset:         24
        .size:           8
        .value_kind:     global_buffer
      - .offset:         32
        .size:           4
        .value_kind:     by_value
      - .offset:         36
        .size:           4
        .value_kind:     by_value
      - .offset:         40
        .size:           4
        .value_kind:     by_value
      - .offset:         44
        .size:           4
        .value_kind:     by_value
      - .offset:         48
        .size:           4
        .value_kind:     hidden_block_count_x
      - .offset:         52
        .size:           4
        .value_kind:     hidden_block_count_y
      - .offset:         56
        .size:           4
        .value_kind:     hidden_block_count_z
      - .offset:         60
        .size:           2
        .value_kind:     hidden_group_size_x
      - .offset:         62
        .size:           2
        .value_kind:     hidden_group_size_y
      - .offset:         64
        .size:           2
        .value_kind:     hidden_group_size_z
      - .offset:         66
        .size:           2
        .value_kind:     hidden_remainder_x
      - .offset:         68
        .size:           2
        .value_kind:     hidden_remainder_y
      - .offset:         70
        .size:           2
        .value_kind:     hidden_remainder_z
      - .offset:         88
        .size:           8
        .value_kind:     hidden_global_offset_x
      - .offset:         96
        .size:           8
        .value_kind:     hidden_global_offset_y
      - .offset:         104
        .size:           8
        .value_kind:     hidden_global_offset_z
      - .offset:         112
        .size:           2
        .value_kind:     hidden_grid_dims
    .group_segment_fixed_size: 0
    .kernarg_segment_align: 8
    .kernarg_segment_size: 304
    .language:       OpenCL C
    .language_version:
      - 2
      - 0
    .max_flat_workgroup_size: 1024
    .name:           _ZL9moe_vec_qIN3c104HalfELi256ELi8E13block_iq3_xxsLi1EXadL_ZL20vec_dot_iq3_xxs_q8_1PKvPK10block_q8_1RKiEEEvS4_S4_PT_PS8_iiii
    .private_segment_fixed_size: 0
    .sgpr_count:     26
    .sgpr_spill_count: 0
    .symbol:         _ZL9moe_vec_qIN3c104HalfELi256ELi8E13block_iq3_xxsLi1EXadL_ZL20vec_dot_iq3_xxs_q8_1PKvPK10block_q8_1RKiEEEvS4_S4_PT_PS8_iiii.kd
    .uniform_work_group_size: 1
    .uses_dynamic_stack: false
    .vgpr_count:     61
    .vgpr_spill_count: 0
    .wavefront_size: 64
  - .agpr_count:     0
    .args:
      - .actual_access:  read_only
        .address_space:  global
        .offset:         0
        .size:           8
        .value_kind:     global_buffer
      - .actual_access:  read_only
        .address_space:  global
        .offset:         8
        .size:           8
        .value_kind:     global_buffer
      - .actual_access:  write_only
        .address_space:  global
        .offset:         16
        .size:           8
        .value_kind:     global_buffer
      - .address_space:  global
        .offset:         24
        .size:           8
        .value_kind:     global_buffer
      - .offset:         32
        .size:           4
        .value_kind:     by_value
      - .offset:         36
        .size:           4
        .value_kind:     by_value
      - .offset:         40
        .size:           4
        .value_kind:     by_value
      - .offset:         44
        .size:           4
        .value_kind:     by_value
      - .offset:         48
        .size:           4
        .value_kind:     hidden_block_count_x
      - .offset:         52
        .size:           4
        .value_kind:     hidden_block_count_y
      - .offset:         56
        .size:           4
        .value_kind:     hidden_block_count_z
      - .offset:         60
        .size:           2
        .value_kind:     hidden_group_size_x
      - .offset:         62
        .size:           2
        .value_kind:     hidden_group_size_y
      - .offset:         64
        .size:           2
        .value_kind:     hidden_group_size_z
      - .offset:         66
        .size:           2
        .value_kind:     hidden_remainder_x
      - .offset:         68
        .size:           2
        .value_kind:     hidden_remainder_y
      - .offset:         70
        .size:           2
        .value_kind:     hidden_remainder_z
      - .offset:         88
        .size:           8
        .value_kind:     hidden_global_offset_x
      - .offset:         96
        .size:           8
        .value_kind:     hidden_global_offset_y
      - .offset:         104
        .size:           8
        .value_kind:     hidden_global_offset_z
      - .offset:         112
        .size:           2
        .value_kind:     hidden_grid_dims
    .group_segment_fixed_size: 0
    .kernarg_segment_align: 8
    .kernarg_segment_size: 304
    .language:       OpenCL C
    .language_version:
      - 2
      - 0
    .max_flat_workgroup_size: 1024
    .name:           _ZL9moe_vec_qIN3c104HalfELi256ELi8E11block_iq1_sLi1EXadL_ZL18vec_dot_iq1_s_q8_1PKvPK10block_q8_1RKiEEEvS4_S4_PT_PS8_iiii
    .private_segment_fixed_size: 0
    .sgpr_count:     26
    .sgpr_spill_count: 0
    .symbol:         _ZL9moe_vec_qIN3c104HalfELi256ELi8E11block_iq1_sLi1EXadL_ZL18vec_dot_iq1_s_q8_1PKvPK10block_q8_1RKiEEEvS4_S4_PT_PS8_iiii.kd
    .uniform_work_group_size: 1
    .uses_dynamic_stack: false
    .vgpr_count:     35
    .vgpr_spill_count: 0
    .wavefront_size: 64
  - .agpr_count:     0
    .args:
      - .actual_access:  read_only
        .address_space:  global
        .offset:         0
        .size:           8
        .value_kind:     global_buffer
      - .actual_access:  read_only
        .address_space:  global
        .offset:         8
        .size:           8
        .value_kind:     global_buffer
      - .actual_access:  write_only
        .address_space:  global
        .offset:         16
        .size:           8
        .value_kind:     global_buffer
      - .address_space:  global
        .offset:         24
        .size:           8
        .value_kind:     global_buffer
      - .offset:         32
        .size:           4
        .value_kind:     by_value
      - .offset:         36
        .size:           4
        .value_kind:     by_value
      - .offset:         40
        .size:           4
        .value_kind:     by_value
      - .offset:         44
        .size:           4
        .value_kind:     by_value
      - .offset:         48
        .size:           4
        .value_kind:     hidden_block_count_x
      - .offset:         52
        .size:           4
        .value_kind:     hidden_block_count_y
      - .offset:         56
        .size:           4
        .value_kind:     hidden_block_count_z
      - .offset:         60
        .size:           2
        .value_kind:     hidden_group_size_x
      - .offset:         62
        .size:           2
        .value_kind:     hidden_group_size_y
      - .offset:         64
        .size:           2
        .value_kind:     hidden_group_size_z
      - .offset:         66
        .size:           2
        .value_kind:     hidden_remainder_x
      - .offset:         68
        .size:           2
        .value_kind:     hidden_remainder_y
      - .offset:         70
        .size:           2
        .value_kind:     hidden_remainder_z
      - .offset:         88
        .size:           8
        .value_kind:     hidden_global_offset_x
      - .offset:         96
        .size:           8
        .value_kind:     hidden_global_offset_y
      - .offset:         104
        .size:           8
        .value_kind:     hidden_global_offset_z
      - .offset:         112
        .size:           2
        .value_kind:     hidden_grid_dims
    .group_segment_fixed_size: 0
    .kernarg_segment_align: 8
    .kernarg_segment_size: 304
    .language:       OpenCL C
    .language_version:
      - 2
      - 0
    .max_flat_workgroup_size: 1024
    .name:           _ZL9moe_vec_qIN3c104HalfELi32ELi4E12block_iq4_nlLi2EXadL_ZL19vec_dot_iq4_nl_q8_1PKvPK10block_q8_1RKiEEEvS4_S4_PT_PS8_iiii
    .private_segment_fixed_size: 0
    .sgpr_count:     26
    .sgpr_spill_count: 0
    .symbol:         _ZL9moe_vec_qIN3c104HalfELi32ELi4E12block_iq4_nlLi2EXadL_ZL19vec_dot_iq4_nl_q8_1PKvPK10block_q8_1RKiEEEvS4_S4_PT_PS8_iiii.kd
    .uniform_work_group_size: 1
    .uses_dynamic_stack: false
    .vgpr_count:     47
    .vgpr_spill_count: 0
    .wavefront_size: 64
  - .agpr_count:     0
    .args:
      - .actual_access:  read_only
        .address_space:  global
        .offset:         0
        .size:           8
        .value_kind:     global_buffer
      - .actual_access:  read_only
        .address_space:  global
        .offset:         8
        .size:           8
        .value_kind:     global_buffer
      - .actual_access:  write_only
        .address_space:  global
        .offset:         16
        .size:           8
        .value_kind:     global_buffer
      - .address_space:  global
        .offset:         24
        .size:           8
        .value_kind:     global_buffer
      - .offset:         32
        .size:           4
        .value_kind:     by_value
      - .offset:         36
        .size:           4
        .value_kind:     by_value
      - .offset:         40
        .size:           4
        .value_kind:     by_value
      - .offset:         44
        .size:           4
        .value_kind:     by_value
      - .offset:         48
        .size:           4
        .value_kind:     hidden_block_count_x
      - .offset:         52
        .size:           4
        .value_kind:     hidden_block_count_y
      - .offset:         56
        .size:           4
        .value_kind:     hidden_block_count_z
      - .offset:         60
        .size:           2
        .value_kind:     hidden_group_size_x
      - .offset:         62
        .size:           2
        .value_kind:     hidden_group_size_y
      - .offset:         64
        .size:           2
        .value_kind:     hidden_group_size_z
      - .offset:         66
        .size:           2
        .value_kind:     hidden_remainder_x
      - .offset:         68
        .size:           2
        .value_kind:     hidden_remainder_y
      - .offset:         70
        .size:           2
        .value_kind:     hidden_remainder_z
      - .offset:         88
        .size:           8
        .value_kind:     hidden_global_offset_x
      - .offset:         96
        .size:           8
        .value_kind:     hidden_global_offset_y
      - .offset:         104
        .size:           8
        .value_kind:     hidden_global_offset_z
      - .offset:         112
        .size:           2
        .value_kind:     hidden_grid_dims
    .group_segment_fixed_size: 0
    .kernarg_segment_align: 8
    .kernarg_segment_size: 304
    .language:       OpenCL C
    .language_version:
      - 2
      - 0
    .max_flat_workgroup_size: 1024
    .name:           _ZL9moe_vec_qIN3c104HalfELi256ELi8E11block_iq3_sLi1EXadL_ZL18vec_dot_iq3_s_q8_1PKvPK10block_q8_1RKiEEEvS4_S4_PT_PS8_iiii
    .private_segment_fixed_size: 0
    .sgpr_count:     27
    .sgpr_spill_count: 0
    .symbol:         _ZL9moe_vec_qIN3c104HalfELi256ELi8E11block_iq3_sLi1EXadL_ZL18vec_dot_iq3_s_q8_1PKvPK10block_q8_1RKiEEEvS4_S4_PT_PS8_iiii.kd
    .uniform_work_group_size: 1
    .uses_dynamic_stack: false
    .vgpr_count:     48
    .vgpr_spill_count: 0
    .wavefront_size: 64
  - .agpr_count:     0
    .args:
      - .actual_access:  read_only
        .address_space:  global
        .offset:         0
        .size:           8
        .value_kind:     global_buffer
      - .actual_access:  read_only
        .address_space:  global
        .offset:         8
        .size:           8
        .value_kind:     global_buffer
      - .actual_access:  write_only
        .address_space:  global
        .offset:         16
        .size:           8
        .value_kind:     global_buffer
      - .address_space:  global
        .offset:         24
        .size:           8
        .value_kind:     global_buffer
      - .offset:         32
        .size:           4
        .value_kind:     by_value
      - .offset:         36
        .size:           4
        .value_kind:     by_value
      - .offset:         40
        .size:           4
        .value_kind:     by_value
      - .offset:         44
        .size:           4
        .value_kind:     by_value
      - .offset:         48
        .size:           4
        .value_kind:     hidden_block_count_x
      - .offset:         52
        .size:           4
        .value_kind:     hidden_block_count_y
      - .offset:         56
        .size:           4
        .value_kind:     hidden_block_count_z
      - .offset:         60
        .size:           2
        .value_kind:     hidden_group_size_x
      - .offset:         62
        .size:           2
        .value_kind:     hidden_group_size_y
      - .offset:         64
        .size:           2
        .value_kind:     hidden_group_size_z
      - .offset:         66
        .size:           2
        .value_kind:     hidden_remainder_x
      - .offset:         68
        .size:           2
        .value_kind:     hidden_remainder_y
      - .offset:         70
        .size:           2
        .value_kind:     hidden_remainder_z
      - .offset:         88
        .size:           8
        .value_kind:     hidden_global_offset_x
      - .offset:         96
        .size:           8
        .value_kind:     hidden_global_offset_y
      - .offset:         104
        .size:           8
        .value_kind:     hidden_global_offset_z
      - .offset:         112
        .size:           2
        .value_kind:     hidden_grid_dims
    .group_segment_fixed_size: 0
    .kernarg_segment_align: 8
    .kernarg_segment_size: 304
    .language:       OpenCL C
    .language_version:
      - 2
      - 0
    .max_flat_workgroup_size: 1024
    .name:           _ZL9moe_vec_qIN3c104HalfELi256ELi8E11block_iq2_sLi1EXadL_ZL18vec_dot_iq2_s_q8_1PKvPK10block_q8_1RKiEEEvS4_S4_PT_PS8_iiii
    .private_segment_fixed_size: 0
    .sgpr_count:     28
    .sgpr_spill_count: 0
    .symbol:         _ZL9moe_vec_qIN3c104HalfELi256ELi8E11block_iq2_sLi1EXadL_ZL18vec_dot_iq2_s_q8_1PKvPK10block_q8_1RKiEEEvS4_S4_PT_PS8_iiii.kd
    .uniform_work_group_size: 1
    .uses_dynamic_stack: false
    .vgpr_count:     64
    .vgpr_spill_count: 0
    .wavefront_size: 64
  - .agpr_count:     0
    .args:
      - .actual_access:  read_only
        .address_space:  global
        .offset:         0
        .size:           8
        .value_kind:     global_buffer
      - .actual_access:  read_only
        .address_space:  global
        .offset:         8
        .size:           8
        .value_kind:     global_buffer
      - .actual_access:  write_only
        .address_space:  global
        .offset:         16
        .size:           8
        .value_kind:     global_buffer
      - .address_space:  global
        .offset:         24
        .size:           8
        .value_kind:     global_buffer
      - .offset:         32
        .size:           4
        .value_kind:     by_value
      - .offset:         36
        .size:           4
        .value_kind:     by_value
      - .offset:         40
        .size:           4
        .value_kind:     by_value
      - .offset:         44
        .size:           4
        .value_kind:     by_value
      - .offset:         48
        .size:           4
        .value_kind:     hidden_block_count_x
      - .offset:         52
        .size:           4
        .value_kind:     hidden_block_count_y
      - .offset:         56
        .size:           4
        .value_kind:     hidden_block_count_z
      - .offset:         60
        .size:           2
        .value_kind:     hidden_group_size_x
      - .offset:         62
        .size:           2
        .value_kind:     hidden_group_size_y
      - .offset:         64
        .size:           2
        .value_kind:     hidden_group_size_z
      - .offset:         66
        .size:           2
        .value_kind:     hidden_remainder_x
      - .offset:         68
        .size:           2
        .value_kind:     hidden_remainder_y
      - .offset:         70
        .size:           2
        .value_kind:     hidden_remainder_z
      - .offset:         88
        .size:           8
        .value_kind:     hidden_global_offset_x
      - .offset:         96
        .size:           8
        .value_kind:     hidden_global_offset_y
      - .offset:         104
        .size:           8
        .value_kind:     hidden_global_offset_z
      - .offset:         112
        .size:           2
        .value_kind:     hidden_grid_dims
    .group_segment_fixed_size: 0
    .kernarg_segment_align: 8
    .kernarg_segment_size: 304
    .language:       OpenCL C
    .language_version:
      - 2
      - 0
    .max_flat_workgroup_size: 1024
    .name:           _ZL9moe_vec_qIN3c104HalfELi256ELi8E12block_iq4_xsLi1EXadL_ZL19vec_dot_iq4_xs_q8_1PKvPK10block_q8_1RKiEEEvS4_S4_PT_PS8_iiii
    .private_segment_fixed_size: 0
    .sgpr_count:     26
    .sgpr_spill_count: 0
    .symbol:         _ZL9moe_vec_qIN3c104HalfELi256ELi8E12block_iq4_xsLi1EXadL_ZL19vec_dot_iq4_xs_q8_1PKvPK10block_q8_1RKiEEEvS4_S4_PT_PS8_iiii.kd
    .uniform_work_group_size: 1
    .uses_dynamic_stack: false
    .vgpr_count:     64
    .vgpr_spill_count: 0
    .wavefront_size: 64
  - .agpr_count:     0
    .args:
      - .actual_access:  read_only
        .address_space:  global
        .offset:         0
        .size:           8
        .value_kind:     global_buffer
      - .actual_access:  read_only
        .address_space:  global
        .offset:         8
        .size:           8
        .value_kind:     global_buffer
      - .actual_access:  write_only
        .address_space:  global
        .offset:         16
        .size:           8
        .value_kind:     global_buffer
      - .address_space:  global
        .offset:         24
        .size:           8
        .value_kind:     global_buffer
      - .offset:         32
        .size:           4
        .value_kind:     by_value
      - .offset:         36
        .size:           4
        .value_kind:     by_value
      - .offset:         40
        .size:           4
        .value_kind:     by_value
      - .offset:         44
        .size:           4
        .value_kind:     by_value
      - .offset:         48
        .size:           4
        .value_kind:     hidden_block_count_x
      - .offset:         52
        .size:           4
        .value_kind:     hidden_block_count_y
      - .offset:         56
        .size:           4
        .value_kind:     hidden_block_count_z
      - .offset:         60
        .size:           2
        .value_kind:     hidden_group_size_x
      - .offset:         62
        .size:           2
        .value_kind:     hidden_group_size_y
      - .offset:         64
        .size:           2
        .value_kind:     hidden_group_size_z
      - .offset:         66
        .size:           2
        .value_kind:     hidden_remainder_x
      - .offset:         68
        .size:           2
        .value_kind:     hidden_remainder_y
      - .offset:         70
        .size:           2
        .value_kind:     hidden_remainder_z
      - .offset:         88
        .size:           8
        .value_kind:     hidden_global_offset_x
      - .offset:         96
        .size:           8
        .value_kind:     hidden_global_offset_y
      - .offset:         104
        .size:           8
        .value_kind:     hidden_global_offset_z
      - .offset:         112
        .size:           2
        .value_kind:     hidden_grid_dims
    .group_segment_fixed_size: 0
    .kernarg_segment_align: 8
    .kernarg_segment_size: 304
    .language:       OpenCL C
    .language_version:
      - 2
      - 0
    .max_flat_workgroup_size: 1024
    .name:           _ZL9moe_vec_qIN3c104HalfELi256ELi8E11block_iq1_mLi1EXadL_ZL18vec_dot_iq1_m_q8_1PKvPK10block_q8_1RKiEEEvS4_S4_PT_PS8_iiii
    .private_segment_fixed_size: 0
    .sgpr_count:     26
    .sgpr_spill_count: 0
    .symbol:         _ZL9moe_vec_qIN3c104HalfELi256ELi8E11block_iq1_mLi1EXadL_ZL18vec_dot_iq1_m_q8_1PKvPK10block_q8_1RKiEEEvS4_S4_PT_PS8_iiii.kd
    .uniform_work_group_size: 1
    .uses_dynamic_stack: false
    .vgpr_count:     49
    .vgpr_spill_count: 0
    .wavefront_size: 64
  - .agpr_count:     0
    .args:
      - .actual_access:  read_only
        .address_space:  global
        .offset:         0
        .size:           8
        .value_kind:     global_buffer
      - .actual_access:  read_only
        .address_space:  global
        .offset:         8
        .size:           8
        .value_kind:     global_buffer
      - .actual_access:  write_only
        .address_space:  global
        .offset:         16
        .size:           8
        .value_kind:     global_buffer
      - .address_space:  global
        .offset:         24
        .size:           8
        .value_kind:     global_buffer
      - .offset:         32
        .size:           4
        .value_kind:     by_value
      - .offset:         36
        .size:           4
        .value_kind:     by_value
      - .offset:         40
        .size:           4
        .value_kind:     by_value
      - .offset:         44
        .size:           4
        .value_kind:     by_value
      - .offset:         48
        .size:           4
        .value_kind:     hidden_block_count_x
      - .offset:         52
        .size:           4
        .value_kind:     hidden_block_count_y
      - .offset:         56
        .size:           4
        .value_kind:     hidden_block_count_z
      - .offset:         60
        .size:           2
        .value_kind:     hidden_group_size_x
      - .offset:         62
        .size:           2
        .value_kind:     hidden_group_size_y
      - .offset:         64
        .size:           2
        .value_kind:     hidden_group_size_z
      - .offset:         66
        .size:           2
        .value_kind:     hidden_remainder_x
      - .offset:         68
        .size:           2
        .value_kind:     hidden_remainder_y
      - .offset:         70
        .size:           2
        .value_kind:     hidden_remainder_z
      - .offset:         88
        .size:           8
        .value_kind:     hidden_global_offset_x
      - .offset:         96
        .size:           8
        .value_kind:     hidden_global_offset_y
      - .offset:         104
        .size:           8
        .value_kind:     hidden_global_offset_z
      - .offset:         112
        .size:           2
        .value_kind:     hidden_grid_dims
    .group_segment_fixed_size: 0
    .kernarg_segment_align: 8
    .kernarg_segment_size: 304
    .language:       OpenCL C
    .language_version:
      - 2
      - 0
    .max_flat_workgroup_size: 1024
    .name:           _ZL9moe_vec_qIN3c108BFloat16ELi32ELi4E10block_q4_0Li2EXadL_ZL17vec_dot_q4_0_q8_1PKvPK10block_q8_1RKiEEEvS4_S4_PT_PS8_iiii
    .private_segment_fixed_size: 0
    .sgpr_count:     26
    .sgpr_spill_count: 0
    .symbol:         _ZL9moe_vec_qIN3c108BFloat16ELi32ELi4E10block_q4_0Li2EXadL_ZL17vec_dot_q4_0_q8_1PKvPK10block_q8_1RKiEEEvS4_S4_PT_PS8_iiii.kd
    .uniform_work_group_size: 1
    .uses_dynamic_stack: false
    .vgpr_count:     24
    .vgpr_spill_count: 0
    .wavefront_size: 64
  - .agpr_count:     0
    .args:
      - .actual_access:  read_only
        .address_space:  global
        .offset:         0
        .size:           8
        .value_kind:     global_buffer
      - .actual_access:  read_only
        .address_space:  global
        .offset:         8
        .size:           8
        .value_kind:     global_buffer
      - .actual_access:  write_only
        .address_space:  global
        .offset:         16
        .size:           8
        .value_kind:     global_buffer
      - .address_space:  global
        .offset:         24
        .size:           8
        .value_kind:     global_buffer
      - .offset:         32
        .size:           4
        .value_kind:     by_value
      - .offset:         36
        .size:           4
        .value_kind:     by_value
      - .offset:         40
        .size:           4
        .value_kind:     by_value
      - .offset:         44
        .size:           4
        .value_kind:     by_value
      - .offset:         48
        .size:           4
        .value_kind:     hidden_block_count_x
      - .offset:         52
        .size:           4
        .value_kind:     hidden_block_count_y
      - .offset:         56
        .size:           4
        .value_kind:     hidden_block_count_z
      - .offset:         60
        .size:           2
        .value_kind:     hidden_group_size_x
      - .offset:         62
        .size:           2
        .value_kind:     hidden_group_size_y
      - .offset:         64
        .size:           2
        .value_kind:     hidden_group_size_z
      - .offset:         66
        .size:           2
        .value_kind:     hidden_remainder_x
      - .offset:         68
        .size:           2
        .value_kind:     hidden_remainder_y
      - .offset:         70
        .size:           2
        .value_kind:     hidden_remainder_z
      - .offset:         88
        .size:           8
        .value_kind:     hidden_global_offset_x
      - .offset:         96
        .size:           8
        .value_kind:     hidden_global_offset_y
      - .offset:         104
        .size:           8
        .value_kind:     hidden_global_offset_z
      - .offset:         112
        .size:           2
        .value_kind:     hidden_grid_dims
    .group_segment_fixed_size: 0
    .kernarg_segment_align: 8
    .kernarg_segment_size: 304
    .language:       OpenCL C
    .language_version:
      - 2
      - 0
    .max_flat_workgroup_size: 1024
    .name:           _ZL9moe_vec_qIN3c108BFloat16ELi32ELi4E10block_q4_1Li2EXadL_ZL17vec_dot_q4_1_q8_1PKvPK10block_q8_1RKiEEEvS4_S4_PT_PS8_iiii
    .private_segment_fixed_size: 0
    .sgpr_count:     26
    .sgpr_spill_count: 0
    .symbol:         _ZL9moe_vec_qIN3c108BFloat16ELi32ELi4E10block_q4_1Li2EXadL_ZL17vec_dot_q4_1_q8_1PKvPK10block_q8_1RKiEEEvS4_S4_PT_PS8_iiii.kd
    .uniform_work_group_size: 1
    .uses_dynamic_stack: false
    .vgpr_count:     22
    .vgpr_spill_count: 0
    .wavefront_size: 64
  - .agpr_count:     0
    .args:
      - .actual_access:  read_only
        .address_space:  global
        .offset:         0
        .size:           8
        .value_kind:     global_buffer
      - .actual_access:  read_only
        .address_space:  global
        .offset:         8
        .size:           8
        .value_kind:     global_buffer
      - .actual_access:  write_only
        .address_space:  global
        .offset:         16
        .size:           8
        .value_kind:     global_buffer
      - .address_space:  global
        .offset:         24
        .size:           8
        .value_kind:     global_buffer
      - .offset:         32
        .size:           4
        .value_kind:     by_value
      - .offset:         36
        .size:           4
        .value_kind:     by_value
      - .offset:         40
        .size:           4
        .value_kind:     by_value
      - .offset:         44
        .size:           4
        .value_kind:     by_value
      - .offset:         48
        .size:           4
        .value_kind:     hidden_block_count_x
      - .offset:         52
        .size:           4
        .value_kind:     hidden_block_count_y
      - .offset:         56
        .size:           4
        .value_kind:     hidden_block_count_z
      - .offset:         60
        .size:           2
        .value_kind:     hidden_group_size_x
      - .offset:         62
        .size:           2
        .value_kind:     hidden_group_size_y
      - .offset:         64
        .size:           2
        .value_kind:     hidden_group_size_z
      - .offset:         66
        .size:           2
        .value_kind:     hidden_remainder_x
      - .offset:         68
        .size:           2
        .value_kind:     hidden_remainder_y
      - .offset:         70
        .size:           2
        .value_kind:     hidden_remainder_z
      - .offset:         88
        .size:           8
        .value_kind:     hidden_global_offset_x
      - .offset:         96
        .size:           8
        .value_kind:     hidden_global_offset_y
      - .offset:         104
        .size:           8
        .value_kind:     hidden_global_offset_z
      - .offset:         112
        .size:           2
        .value_kind:     hidden_grid_dims
    .group_segment_fixed_size: 0
    .kernarg_segment_align: 8
    .kernarg_segment_size: 304
    .language:       OpenCL C
    .language_version:
      - 2
      - 0
    .max_flat_workgroup_size: 1024
    .name:           _ZL9moe_vec_qIN3c108BFloat16ELi32ELi4E10block_q5_0Li2EXadL_ZL17vec_dot_q5_0_q8_1PKvPK10block_q8_1RKiEEEvS4_S4_PT_PS8_iiii
    .private_segment_fixed_size: 0
    .sgpr_count:     26
    .sgpr_spill_count: 0
    .symbol:         _ZL9moe_vec_qIN3c108BFloat16ELi32ELi4E10block_q5_0Li2EXadL_ZL17vec_dot_q5_0_q8_1PKvPK10block_q8_1RKiEEEvS4_S4_PT_PS8_iiii.kd
    .uniform_work_group_size: 1
    .uses_dynamic_stack: false
    .vgpr_count:     37
    .vgpr_spill_count: 0
    .wavefront_size: 64
  - .agpr_count:     0
    .args:
      - .actual_access:  read_only
        .address_space:  global
        .offset:         0
        .size:           8
        .value_kind:     global_buffer
      - .actual_access:  read_only
        .address_space:  global
        .offset:         8
        .size:           8
        .value_kind:     global_buffer
      - .actual_access:  write_only
        .address_space:  global
        .offset:         16
        .size:           8
        .value_kind:     global_buffer
      - .address_space:  global
        .offset:         24
        .size:           8
        .value_kind:     global_buffer
      - .offset:         32
        .size:           4
        .value_kind:     by_value
      - .offset:         36
        .size:           4
        .value_kind:     by_value
      - .offset:         40
        .size:           4
        .value_kind:     by_value
      - .offset:         44
        .size:           4
        .value_kind:     by_value
      - .offset:         48
        .size:           4
        .value_kind:     hidden_block_count_x
      - .offset:         52
        .size:           4
        .value_kind:     hidden_block_count_y
      - .offset:         56
        .size:           4
        .value_kind:     hidden_block_count_z
      - .offset:         60
        .size:           2
        .value_kind:     hidden_group_size_x
      - .offset:         62
        .size:           2
        .value_kind:     hidden_group_size_y
      - .offset:         64
        .size:           2
        .value_kind:     hidden_group_size_z
      - .offset:         66
        .size:           2
        .value_kind:     hidden_remainder_x
      - .offset:         68
        .size:           2
        .value_kind:     hidden_remainder_y
      - .offset:         70
        .size:           2
        .value_kind:     hidden_remainder_z
      - .offset:         88
        .size:           8
        .value_kind:     hidden_global_offset_x
      - .offset:         96
        .size:           8
        .value_kind:     hidden_global_offset_y
      - .offset:         104
        .size:           8
        .value_kind:     hidden_global_offset_z
      - .offset:         112
        .size:           2
        .value_kind:     hidden_grid_dims
    .group_segment_fixed_size: 0
    .kernarg_segment_align: 8
    .kernarg_segment_size: 304
    .language:       OpenCL C
    .language_version:
      - 2
      - 0
    .max_flat_workgroup_size: 1024
    .name:           _ZL9moe_vec_qIN3c108BFloat16ELi32ELi4E10block_q5_1Li2EXadL_ZL17vec_dot_q5_1_q8_1PKvPK10block_q8_1RKiEEEvS4_S4_PT_PS8_iiii
    .private_segment_fixed_size: 0
    .sgpr_count:     26
    .sgpr_spill_count: 0
    .symbol:         _ZL9moe_vec_qIN3c108BFloat16ELi32ELi4E10block_q5_1Li2EXadL_ZL17vec_dot_q5_1_q8_1PKvPK10block_q8_1RKiEEEvS4_S4_PT_PS8_iiii.kd
    .uniform_work_group_size: 1
    .uses_dynamic_stack: false
    .vgpr_count:     37
    .vgpr_spill_count: 0
    .wavefront_size: 64
  - .agpr_count:     0
    .args:
      - .actual_access:  read_only
        .address_space:  global
        .offset:         0
        .size:           8
        .value_kind:     global_buffer
      - .actual_access:  read_only
        .address_space:  global
        .offset:         8
        .size:           8
        .value_kind:     global_buffer
      - .actual_access:  write_only
        .address_space:  global
        .offset:         16
        .size:           8
        .value_kind:     global_buffer
      - .address_space:  global
        .offset:         24
        .size:           8
        .value_kind:     global_buffer
      - .offset:         32
        .size:           4
        .value_kind:     by_value
      - .offset:         36
        .size:           4
        .value_kind:     by_value
      - .offset:         40
        .size:           4
        .value_kind:     by_value
      - .offset:         44
        .size:           4
        .value_kind:     by_value
      - .offset:         48
        .size:           4
        .value_kind:     hidden_block_count_x
      - .offset:         52
        .size:           4
        .value_kind:     hidden_block_count_y
      - .offset:         56
        .size:           4
        .value_kind:     hidden_block_count_z
      - .offset:         60
        .size:           2
        .value_kind:     hidden_group_size_x
      - .offset:         62
        .size:           2
        .value_kind:     hidden_group_size_y
      - .offset:         64
        .size:           2
        .value_kind:     hidden_group_size_z
      - .offset:         66
        .size:           2
        .value_kind:     hidden_remainder_x
      - .offset:         68
        .size:           2
        .value_kind:     hidden_remainder_y
      - .offset:         70
        .size:           2
        .value_kind:     hidden_remainder_z
      - .offset:         88
        .size:           8
        .value_kind:     hidden_global_offset_x
      - .offset:         96
        .size:           8
        .value_kind:     hidden_global_offset_y
      - .offset:         104
        .size:           8
        .value_kind:     hidden_global_offset_z
      - .offset:         112
        .size:           2
        .value_kind:     hidden_grid_dims
    .group_segment_fixed_size: 0
    .kernarg_segment_align: 8
    .kernarg_segment_size: 304
    .language:       OpenCL C
    .language_version:
      - 2
      - 0
    .max_flat_workgroup_size: 1024
    .name:           _ZL9moe_vec_qIN3c108BFloat16ELi32ELi8E10block_q8_0Li2EXadL_ZL17vec_dot_q8_0_q8_1PKvPK10block_q8_1RKiEEEvS4_S4_PT_PS8_iiii
    .private_segment_fixed_size: 0
    .sgpr_count:     26
    .sgpr_spill_count: 0
    .symbol:         _ZL9moe_vec_qIN3c108BFloat16ELi32ELi8E10block_q8_0Li2EXadL_ZL17vec_dot_q8_0_q8_1PKvPK10block_q8_1RKiEEEvS4_S4_PT_PS8_iiii.kd
    .uniform_work_group_size: 1
    .uses_dynamic_stack: false
    .vgpr_count:     19
    .vgpr_spill_count: 0
    .wavefront_size: 64
  - .agpr_count:     0
    .args:
      - .actual_access:  read_only
        .address_space:  global
        .offset:         0
        .size:           8
        .value_kind:     global_buffer
      - .actual_access:  read_only
        .address_space:  global
        .offset:         8
        .size:           8
        .value_kind:     global_buffer
      - .actual_access:  write_only
        .address_space:  global
        .offset:         16
        .size:           8
        .value_kind:     global_buffer
      - .address_space:  global
        .offset:         24
        .size:           8
        .value_kind:     global_buffer
      - .offset:         32
        .size:           4
        .value_kind:     by_value
      - .offset:         36
        .size:           4
        .value_kind:     by_value
      - .offset:         40
        .size:           4
        .value_kind:     by_value
      - .offset:         44
        .size:           4
        .value_kind:     by_value
      - .offset:         48
        .size:           4
        .value_kind:     hidden_block_count_x
      - .offset:         52
        .size:           4
        .value_kind:     hidden_block_count_y
      - .offset:         56
        .size:           4
        .value_kind:     hidden_block_count_z
      - .offset:         60
        .size:           2
        .value_kind:     hidden_group_size_x
      - .offset:         62
        .size:           2
        .value_kind:     hidden_group_size_y
      - .offset:         64
        .size:           2
        .value_kind:     hidden_group_size_z
      - .offset:         66
        .size:           2
        .value_kind:     hidden_remainder_x
      - .offset:         68
        .size:           2
        .value_kind:     hidden_remainder_y
      - .offset:         70
        .size:           2
        .value_kind:     hidden_remainder_z
      - .offset:         88
        .size:           8
        .value_kind:     hidden_global_offset_x
      - .offset:         96
        .size:           8
        .value_kind:     hidden_global_offset_y
      - .offset:         104
        .size:           8
        .value_kind:     hidden_global_offset_z
      - .offset:         112
        .size:           2
        .value_kind:     hidden_grid_dims
    .group_segment_fixed_size: 0
    .kernarg_segment_align: 8
    .kernarg_segment_size: 304
    .language:       OpenCL C
    .language_version:
      - 2
      - 0
    .max_flat_workgroup_size: 1024
    .name:           _ZL9moe_vec_qIN3c108BFloat16ELi256ELi16E10block_q2_KLi1EXadL_ZL17vec_dot_q2_K_q8_1PKvPK10block_q8_1RKiEEEvS4_S4_PT_PS8_iiii
    .private_segment_fixed_size: 0
    .sgpr_count:     26
    .sgpr_spill_count: 0
    .symbol:         _ZL9moe_vec_qIN3c108BFloat16ELi256ELi16E10block_q2_KLi1EXadL_ZL17vec_dot_q2_K_q8_1PKvPK10block_q8_1RKiEEEvS4_S4_PT_PS8_iiii.kd
    .uniform_work_group_size: 1
    .uses_dynamic_stack: false
    .vgpr_count:     47
    .vgpr_spill_count: 0
    .wavefront_size: 64
  - .agpr_count:     0
    .args:
      - .actual_access:  read_only
        .address_space:  global
        .offset:         0
        .size:           8
        .value_kind:     global_buffer
      - .actual_access:  read_only
        .address_space:  global
        .offset:         8
        .size:           8
        .value_kind:     global_buffer
      - .actual_access:  write_only
        .address_space:  global
        .offset:         16
        .size:           8
        .value_kind:     global_buffer
      - .address_space:  global
        .offset:         24
        .size:           8
        .value_kind:     global_buffer
      - .offset:         32
        .size:           4
        .value_kind:     by_value
      - .offset:         36
        .size:           4
        .value_kind:     by_value
      - .offset:         40
        .size:           4
        .value_kind:     by_value
      - .offset:         44
        .size:           4
        .value_kind:     by_value
      - .offset:         48
        .size:           4
        .value_kind:     hidden_block_count_x
      - .offset:         52
        .size:           4
        .value_kind:     hidden_block_count_y
      - .offset:         56
        .size:           4
        .value_kind:     hidden_block_count_z
      - .offset:         60
        .size:           2
        .value_kind:     hidden_group_size_x
      - .offset:         62
        .size:           2
        .value_kind:     hidden_group_size_y
      - .offset:         64
        .size:           2
        .value_kind:     hidden_group_size_z
      - .offset:         66
        .size:           2
        .value_kind:     hidden_remainder_x
      - .offset:         68
        .size:           2
        .value_kind:     hidden_remainder_y
      - .offset:         70
        .size:           2
        .value_kind:     hidden_remainder_z
      - .offset:         88
        .size:           8
        .value_kind:     hidden_global_offset_x
      - .offset:         96
        .size:           8
        .value_kind:     hidden_global_offset_y
      - .offset:         104
        .size:           8
        .value_kind:     hidden_global_offset_z
      - .offset:         112
        .size:           2
        .value_kind:     hidden_grid_dims
    .group_segment_fixed_size: 0
    .kernarg_segment_align: 8
    .kernarg_segment_size: 304
    .language:       OpenCL C
    .language_version:
      - 2
      - 0
    .max_flat_workgroup_size: 1024
    .name:           _ZL9moe_vec_qIN3c108BFloat16ELi256ELi16E10block_q3_KLi1EXadL_ZL17vec_dot_q3_K_q8_1PKvPK10block_q8_1RKiEEEvS4_S4_PT_PS8_iiii
    .private_segment_fixed_size: 0
    .sgpr_count:     26
    .sgpr_spill_count: 0
    .symbol:         _ZL9moe_vec_qIN3c108BFloat16ELi256ELi16E10block_q3_KLi1EXadL_ZL17vec_dot_q3_K_q8_1PKvPK10block_q8_1RKiEEEvS4_S4_PT_PS8_iiii.kd
    .uniform_work_group_size: 1
    .uses_dynamic_stack: false
    .vgpr_count:     65
    .vgpr_spill_count: 0
    .wavefront_size: 64
  - .agpr_count:     0
    .args:
      - .actual_access:  read_only
        .address_space:  global
        .offset:         0
        .size:           8
        .value_kind:     global_buffer
      - .actual_access:  read_only
        .address_space:  global
        .offset:         8
        .size:           8
        .value_kind:     global_buffer
      - .actual_access:  write_only
        .address_space:  global
        .offset:         16
        .size:           8
        .value_kind:     global_buffer
      - .address_space:  global
        .offset:         24
        .size:           8
        .value_kind:     global_buffer
      - .offset:         32
        .size:           4
        .value_kind:     by_value
      - .offset:         36
        .size:           4
        .value_kind:     by_value
      - .offset:         40
        .size:           4
        .value_kind:     by_value
      - .offset:         44
        .size:           4
        .value_kind:     by_value
      - .offset:         48
        .size:           4
        .value_kind:     hidden_block_count_x
      - .offset:         52
        .size:           4
        .value_kind:     hidden_block_count_y
      - .offset:         56
        .size:           4
        .value_kind:     hidden_block_count_z
      - .offset:         60
        .size:           2
        .value_kind:     hidden_group_size_x
      - .offset:         62
        .size:           2
        .value_kind:     hidden_group_size_y
      - .offset:         64
        .size:           2
        .value_kind:     hidden_group_size_z
      - .offset:         66
        .size:           2
        .value_kind:     hidden_remainder_x
      - .offset:         68
        .size:           2
        .value_kind:     hidden_remainder_y
      - .offset:         70
        .size:           2
        .value_kind:     hidden_remainder_z
      - .offset:         88
        .size:           8
        .value_kind:     hidden_global_offset_x
      - .offset:         96
        .size:           8
        .value_kind:     hidden_global_offset_y
      - .offset:         104
        .size:           8
        .value_kind:     hidden_global_offset_z
      - .offset:         112
        .size:           2
        .value_kind:     hidden_grid_dims
    .group_segment_fixed_size: 0
    .kernarg_segment_align: 8
    .kernarg_segment_size: 304
    .language:       OpenCL C
    .language_version:
      - 2
      - 0
    .max_flat_workgroup_size: 1024
    .name:           _ZL9moe_vec_qIN3c108BFloat16ELi256ELi32E10block_q4_KLi2EXadL_ZL17vec_dot_q4_K_q8_1PKvPK10block_q8_1RKiEEEvS4_S4_PT_PS8_iiii
    .private_segment_fixed_size: 0
    .sgpr_count:     26
    .sgpr_spill_count: 0
    .symbol:         _ZL9moe_vec_qIN3c108BFloat16ELi256ELi32E10block_q4_KLi2EXadL_ZL17vec_dot_q4_K_q8_1PKvPK10block_q8_1RKiEEEvS4_S4_PT_PS8_iiii.kd
    .uniform_work_group_size: 1
    .uses_dynamic_stack: false
    .vgpr_count:     41
    .vgpr_spill_count: 0
    .wavefront_size: 64
  - .agpr_count:     0
    .args:
      - .actual_access:  read_only
        .address_space:  global
        .offset:         0
        .size:           8
        .value_kind:     global_buffer
      - .actual_access:  read_only
        .address_space:  global
        .offset:         8
        .size:           8
        .value_kind:     global_buffer
      - .actual_access:  write_only
        .address_space:  global
        .offset:         16
        .size:           8
        .value_kind:     global_buffer
      - .address_space:  global
        .offset:         24
        .size:           8
        .value_kind:     global_buffer
      - .offset:         32
        .size:           4
        .value_kind:     by_value
      - .offset:         36
        .size:           4
        .value_kind:     by_value
      - .offset:         40
        .size:           4
        .value_kind:     by_value
      - .offset:         44
        .size:           4
        .value_kind:     by_value
      - .offset:         48
        .size:           4
        .value_kind:     hidden_block_count_x
      - .offset:         52
        .size:           4
        .value_kind:     hidden_block_count_y
      - .offset:         56
        .size:           4
        .value_kind:     hidden_block_count_z
      - .offset:         60
        .size:           2
        .value_kind:     hidden_group_size_x
      - .offset:         62
        .size:           2
        .value_kind:     hidden_group_size_y
      - .offset:         64
        .size:           2
        .value_kind:     hidden_group_size_z
      - .offset:         66
        .size:           2
        .value_kind:     hidden_remainder_x
      - .offset:         68
        .size:           2
        .value_kind:     hidden_remainder_y
      - .offset:         70
        .size:           2
        .value_kind:     hidden_remainder_z
      - .offset:         88
        .size:           8
        .value_kind:     hidden_global_offset_x
      - .offset:         96
        .size:           8
        .value_kind:     hidden_global_offset_y
      - .offset:         104
        .size:           8
        .value_kind:     hidden_global_offset_z
      - .offset:         112
        .size:           2
        .value_kind:     hidden_grid_dims
    .group_segment_fixed_size: 0
    .kernarg_segment_align: 8
    .kernarg_segment_size: 304
    .language:       OpenCL C
    .language_version:
      - 2
      - 0
    .max_flat_workgroup_size: 1024
    .name:           _ZL9moe_vec_qIN3c108BFloat16ELi256ELi32E10block_q5_KLi2EXadL_ZL17vec_dot_q5_K_q8_1PKvPK10block_q8_1RKiEEEvS4_S4_PT_PS8_iiii
    .private_segment_fixed_size: 0
    .sgpr_count:     26
    .sgpr_spill_count: 0
    .symbol:         _ZL9moe_vec_qIN3c108BFloat16ELi256ELi32E10block_q5_KLi2EXadL_ZL17vec_dot_q5_K_q8_1PKvPK10block_q8_1RKiEEEvS4_S4_PT_PS8_iiii.kd
    .uniform_work_group_size: 1
    .uses_dynamic_stack: false
    .vgpr_count:     43
    .vgpr_spill_count: 0
    .wavefront_size: 64
  - .agpr_count:     0
    .args:
      - .actual_access:  read_only
        .address_space:  global
        .offset:         0
        .size:           8
        .value_kind:     global_buffer
      - .actual_access:  read_only
        .address_space:  global
        .offset:         8
        .size:           8
        .value_kind:     global_buffer
      - .actual_access:  write_only
        .address_space:  global
        .offset:         16
        .size:           8
        .value_kind:     global_buffer
      - .address_space:  global
        .offset:         24
        .size:           8
        .value_kind:     global_buffer
      - .offset:         32
        .size:           4
        .value_kind:     by_value
      - .offset:         36
        .size:           4
        .value_kind:     by_value
      - .offset:         40
        .size:           4
        .value_kind:     by_value
      - .offset:         44
        .size:           4
        .value_kind:     by_value
      - .offset:         48
        .size:           4
        .value_kind:     hidden_block_count_x
      - .offset:         52
        .size:           4
        .value_kind:     hidden_block_count_y
      - .offset:         56
        .size:           4
        .value_kind:     hidden_block_count_z
      - .offset:         60
        .size:           2
        .value_kind:     hidden_group_size_x
      - .offset:         62
        .size:           2
        .value_kind:     hidden_group_size_y
      - .offset:         64
        .size:           2
        .value_kind:     hidden_group_size_z
      - .offset:         66
        .size:           2
        .value_kind:     hidden_remainder_x
      - .offset:         68
        .size:           2
        .value_kind:     hidden_remainder_y
      - .offset:         70
        .size:           2
        .value_kind:     hidden_remainder_z
      - .offset:         88
        .size:           8
        .value_kind:     hidden_global_offset_x
      - .offset:         96
        .size:           8
        .value_kind:     hidden_global_offset_y
      - .offset:         104
        .size:           8
        .value_kind:     hidden_global_offset_z
      - .offset:         112
        .size:           2
        .value_kind:     hidden_grid_dims
    .group_segment_fixed_size: 0
    .kernarg_segment_align: 8
    .kernarg_segment_size: 304
    .language:       OpenCL C
    .language_version:
      - 2
      - 0
    .max_flat_workgroup_size: 1024
    .name:           _ZL9moe_vec_qIN3c108BFloat16ELi256ELi32E10block_q6_KLi1EXadL_ZL17vec_dot_q6_K_q8_1PKvPK10block_q8_1RKiEEEvS4_S4_PT_PS8_iiii
    .private_segment_fixed_size: 0
    .sgpr_count:     26
    .sgpr_spill_count: 0
    .symbol:         _ZL9moe_vec_qIN3c108BFloat16ELi256ELi32E10block_q6_KLi1EXadL_ZL17vec_dot_q6_K_q8_1PKvPK10block_q8_1RKiEEEvS4_S4_PT_PS8_iiii.kd
    .uniform_work_group_size: 1
    .uses_dynamic_stack: false
    .vgpr_count:     36
    .vgpr_spill_count: 0
    .wavefront_size: 64
  - .agpr_count:     0
    .args:
      - .actual_access:  read_only
        .address_space:  global
        .offset:         0
        .size:           8
        .value_kind:     global_buffer
      - .actual_access:  read_only
        .address_space:  global
        .offset:         8
        .size:           8
        .value_kind:     global_buffer
      - .actual_access:  write_only
        .address_space:  global
        .offset:         16
        .size:           8
        .value_kind:     global_buffer
      - .address_space:  global
        .offset:         24
        .size:           8
        .value_kind:     global_buffer
      - .offset:         32
        .size:           4
        .value_kind:     by_value
      - .offset:         36
        .size:           4
        .value_kind:     by_value
      - .offset:         40
        .size:           4
        .value_kind:     by_value
      - .offset:         44
        .size:           4
        .value_kind:     by_value
      - .offset:         48
        .size:           4
        .value_kind:     hidden_block_count_x
      - .offset:         52
        .size:           4
        .value_kind:     hidden_block_count_y
      - .offset:         56
        .size:           4
        .value_kind:     hidden_block_count_z
      - .offset:         60
        .size:           2
        .value_kind:     hidden_group_size_x
      - .offset:         62
        .size:           2
        .value_kind:     hidden_group_size_y
      - .offset:         64
        .size:           2
        .value_kind:     hidden_group_size_z
      - .offset:         66
        .size:           2
        .value_kind:     hidden_remainder_x
      - .offset:         68
        .size:           2
        .value_kind:     hidden_remainder_y
      - .offset:         70
        .size:           2
        .value_kind:     hidden_remainder_z
      - .offset:         88
        .size:           8
        .value_kind:     hidden_global_offset_x
      - .offset:         96
        .size:           8
        .value_kind:     hidden_global_offset_y
      - .offset:         104
        .size:           8
        .value_kind:     hidden_global_offset_z
      - .offset:         112
        .size:           2
        .value_kind:     hidden_grid_dims
    .group_segment_fixed_size: 0
    .kernarg_segment_align: 8
    .kernarg_segment_size: 304
    .language:       OpenCL C
    .language_version:
      - 2
      - 0
    .max_flat_workgroup_size: 1024
    .name:           _ZL9moe_vec_qIN3c108BFloat16ELi256ELi8E13block_iq2_xxsLi1EXadL_ZL20vec_dot_iq2_xxs_q8_1PKvPK10block_q8_1RKiEEEvS4_S4_PT_PS8_iiii
    .private_segment_fixed_size: 0
    .sgpr_count:     81
    .sgpr_spill_count: 0
    .symbol:         _ZL9moe_vec_qIN3c108BFloat16ELi256ELi8E13block_iq2_xxsLi1EXadL_ZL20vec_dot_iq2_xxs_q8_1PKvPK10block_q8_1RKiEEEvS4_S4_PT_PS8_iiii.kd
    .uniform_work_group_size: 1
    .uses_dynamic_stack: false
    .vgpr_count:     80
    .vgpr_spill_count: 0
    .wavefront_size: 64
  - .agpr_count:     0
    .args:
      - .actual_access:  read_only
        .address_space:  global
        .offset:         0
        .size:           8
        .value_kind:     global_buffer
      - .actual_access:  read_only
        .address_space:  global
        .offset:         8
        .size:           8
        .value_kind:     global_buffer
      - .actual_access:  write_only
        .address_space:  global
        .offset:         16
        .size:           8
        .value_kind:     global_buffer
      - .address_space:  global
        .offset:         24
        .size:           8
        .value_kind:     global_buffer
      - .offset:         32
        .size:           4
        .value_kind:     by_value
      - .offset:         36
        .size:           4
        .value_kind:     by_value
      - .offset:         40
        .size:           4
        .value_kind:     by_value
      - .offset:         44
        .size:           4
        .value_kind:     by_value
      - .offset:         48
        .size:           4
        .value_kind:     hidden_block_count_x
      - .offset:         52
        .size:           4
        .value_kind:     hidden_block_count_y
      - .offset:         56
        .size:           4
        .value_kind:     hidden_block_count_z
      - .offset:         60
        .size:           2
        .value_kind:     hidden_group_size_x
      - .offset:         62
        .size:           2
        .value_kind:     hidden_group_size_y
      - .offset:         64
        .size:           2
        .value_kind:     hidden_group_size_z
      - .offset:         66
        .size:           2
        .value_kind:     hidden_remainder_x
      - .offset:         68
        .size:           2
        .value_kind:     hidden_remainder_y
      - .offset:         70
        .size:           2
        .value_kind:     hidden_remainder_z
      - .offset:         88
        .size:           8
        .value_kind:     hidden_global_offset_x
      - .offset:         96
        .size:           8
        .value_kind:     hidden_global_offset_y
      - .offset:         104
        .size:           8
        .value_kind:     hidden_global_offset_z
      - .offset:         112
        .size:           2
        .value_kind:     hidden_grid_dims
    .group_segment_fixed_size: 0
    .kernarg_segment_align: 8
    .kernarg_segment_size: 304
    .language:       OpenCL C
    .language_version:
      - 2
      - 0
    .max_flat_workgroup_size: 1024
    .name:           _ZL9moe_vec_qIN3c108BFloat16ELi256ELi8E12block_iq2_xsLi1EXadL_ZL19vec_dot_iq2_xs_q8_1PKvPK10block_q8_1RKiEEEvS4_S4_PT_PS8_iiii
    .private_segment_fixed_size: 0
    .sgpr_count:     81
    .sgpr_spill_count: 0
    .symbol:         _ZL9moe_vec_qIN3c108BFloat16ELi256ELi8E12block_iq2_xsLi1EXadL_ZL19vec_dot_iq2_xs_q8_1PKvPK10block_q8_1RKiEEEvS4_S4_PT_PS8_iiii.kd
    .uniform_work_group_size: 1
    .uses_dynamic_stack: false
    .vgpr_count:     82
    .vgpr_spill_count: 0
    .wavefront_size: 64
  - .agpr_count:     0
    .args:
      - .actual_access:  read_only
        .address_space:  global
        .offset:         0
        .size:           8
        .value_kind:     global_buffer
      - .actual_access:  read_only
        .address_space:  global
        .offset:         8
        .size:           8
        .value_kind:     global_buffer
      - .actual_access:  write_only
        .address_space:  global
        .offset:         16
        .size:           8
        .value_kind:     global_buffer
      - .address_space:  global
        .offset:         24
        .size:           8
        .value_kind:     global_buffer
      - .offset:         32
        .size:           4
        .value_kind:     by_value
      - .offset:         36
        .size:           4
        .value_kind:     by_value
      - .offset:         40
        .size:           4
        .value_kind:     by_value
      - .offset:         44
        .size:           4
        .value_kind:     by_value
      - .offset:         48
        .size:           4
        .value_kind:     hidden_block_count_x
      - .offset:         52
        .size:           4
        .value_kind:     hidden_block_count_y
      - .offset:         56
        .size:           4
        .value_kind:     hidden_block_count_z
      - .offset:         60
        .size:           2
        .value_kind:     hidden_group_size_x
      - .offset:         62
        .size:           2
        .value_kind:     hidden_group_size_y
      - .offset:         64
        .size:           2
        .value_kind:     hidden_group_size_z
      - .offset:         66
        .size:           2
        .value_kind:     hidden_remainder_x
      - .offset:         68
        .size:           2
        .value_kind:     hidden_remainder_y
      - .offset:         70
        .size:           2
        .value_kind:     hidden_remainder_z
      - .offset:         88
        .size:           8
        .value_kind:     hidden_global_offset_x
      - .offset:         96
        .size:           8
        .value_kind:     hidden_global_offset_y
      - .offset:         104
        .size:           8
        .value_kind:     hidden_global_offset_z
      - .offset:         112
        .size:           2
        .value_kind:     hidden_grid_dims
    .group_segment_fixed_size: 0
    .kernarg_segment_align: 8
    .kernarg_segment_size: 304
    .language:       OpenCL C
    .language_version:
      - 2
      - 0
    .max_flat_workgroup_size: 1024
    .name:           _ZL9moe_vec_qIN3c108BFloat16ELi256ELi8E13block_iq3_xxsLi1EXadL_ZL20vec_dot_iq3_xxs_q8_1PKvPK10block_q8_1RKiEEEvS4_S4_PT_PS8_iiii
    .private_segment_fixed_size: 0
    .sgpr_count:     26
    .sgpr_spill_count: 0
    .symbol:         _ZL9moe_vec_qIN3c108BFloat16ELi256ELi8E13block_iq3_xxsLi1EXadL_ZL20vec_dot_iq3_xxs_q8_1PKvPK10block_q8_1RKiEEEvS4_S4_PT_PS8_iiii.kd
    .uniform_work_group_size: 1
    .uses_dynamic_stack: false
    .vgpr_count:     61
    .vgpr_spill_count: 0
    .wavefront_size: 64
  - .agpr_count:     0
    .args:
      - .actual_access:  read_only
        .address_space:  global
        .offset:         0
        .size:           8
        .value_kind:     global_buffer
      - .actual_access:  read_only
        .address_space:  global
        .offset:         8
        .size:           8
        .value_kind:     global_buffer
      - .actual_access:  write_only
        .address_space:  global
        .offset:         16
        .size:           8
        .value_kind:     global_buffer
      - .address_space:  global
        .offset:         24
        .size:           8
        .value_kind:     global_buffer
      - .offset:         32
        .size:           4
        .value_kind:     by_value
      - .offset:         36
        .size:           4
        .value_kind:     by_value
      - .offset:         40
        .size:           4
        .value_kind:     by_value
      - .offset:         44
        .size:           4
        .value_kind:     by_value
      - .offset:         48
        .size:           4
        .value_kind:     hidden_block_count_x
      - .offset:         52
        .size:           4
        .value_kind:     hidden_block_count_y
      - .offset:         56
        .size:           4
        .value_kind:     hidden_block_count_z
      - .offset:         60
        .size:           2
        .value_kind:     hidden_group_size_x
      - .offset:         62
        .size:           2
        .value_kind:     hidden_group_size_y
      - .offset:         64
        .size:           2
        .value_kind:     hidden_group_size_z
      - .offset:         66
        .size:           2
        .value_kind:     hidden_remainder_x
      - .offset:         68
        .size:           2
        .value_kind:     hidden_remainder_y
      - .offset:         70
        .size:           2
        .value_kind:     hidden_remainder_z
      - .offset:         88
        .size:           8
        .value_kind:     hidden_global_offset_x
      - .offset:         96
        .size:           8
        .value_kind:     hidden_global_offset_y
      - .offset:         104
        .size:           8
        .value_kind:     hidden_global_offset_z
      - .offset:         112
        .size:           2
        .value_kind:     hidden_grid_dims
    .group_segment_fixed_size: 0
    .kernarg_segment_align: 8
    .kernarg_segment_size: 304
    .language:       OpenCL C
    .language_version:
      - 2
      - 0
    .max_flat_workgroup_size: 1024
    .name:           _ZL9moe_vec_qIN3c108BFloat16ELi256ELi8E11block_iq1_sLi1EXadL_ZL18vec_dot_iq1_s_q8_1PKvPK10block_q8_1RKiEEEvS4_S4_PT_PS8_iiii
    .private_segment_fixed_size: 0
    .sgpr_count:     26
    .sgpr_spill_count: 0
    .symbol:         _ZL9moe_vec_qIN3c108BFloat16ELi256ELi8E11block_iq1_sLi1EXadL_ZL18vec_dot_iq1_s_q8_1PKvPK10block_q8_1RKiEEEvS4_S4_PT_PS8_iiii.kd
    .uniform_work_group_size: 1
    .uses_dynamic_stack: false
    .vgpr_count:     35
    .vgpr_spill_count: 0
    .wavefront_size: 64
  - .agpr_count:     0
    .args:
      - .actual_access:  read_only
        .address_space:  global
        .offset:         0
        .size:           8
        .value_kind:     global_buffer
      - .actual_access:  read_only
        .address_space:  global
        .offset:         8
        .size:           8
        .value_kind:     global_buffer
      - .actual_access:  write_only
        .address_space:  global
        .offset:         16
        .size:           8
        .value_kind:     global_buffer
      - .address_space:  global
        .offset:         24
        .size:           8
        .value_kind:     global_buffer
      - .offset:         32
        .size:           4
        .value_kind:     by_value
      - .offset:         36
        .size:           4
        .value_kind:     by_value
      - .offset:         40
        .size:           4
        .value_kind:     by_value
      - .offset:         44
        .size:           4
        .value_kind:     by_value
      - .offset:         48
        .size:           4
        .value_kind:     hidden_block_count_x
      - .offset:         52
        .size:           4
        .value_kind:     hidden_block_count_y
      - .offset:         56
        .size:           4
        .value_kind:     hidden_block_count_z
      - .offset:         60
        .size:           2
        .value_kind:     hidden_group_size_x
      - .offset:         62
        .size:           2
        .value_kind:     hidden_group_size_y
      - .offset:         64
        .size:           2
        .value_kind:     hidden_group_size_z
      - .offset:         66
        .size:           2
        .value_kind:     hidden_remainder_x
      - .offset:         68
        .size:           2
        .value_kind:     hidden_remainder_y
      - .offset:         70
        .size:           2
        .value_kind:     hidden_remainder_z
      - .offset:         88
        .size:           8
        .value_kind:     hidden_global_offset_x
      - .offset:         96
        .size:           8
        .value_kind:     hidden_global_offset_y
      - .offset:         104
        .size:           8
        .value_kind:     hidden_global_offset_z
      - .offset:         112
        .size:           2
        .value_kind:     hidden_grid_dims
    .group_segment_fixed_size: 0
    .kernarg_segment_align: 8
    .kernarg_segment_size: 304
    .language:       OpenCL C
    .language_version:
      - 2
      - 0
    .max_flat_workgroup_size: 1024
    .name:           _ZL9moe_vec_qIN3c108BFloat16ELi32ELi4E12block_iq4_nlLi2EXadL_ZL19vec_dot_iq4_nl_q8_1PKvPK10block_q8_1RKiEEEvS4_S4_PT_PS8_iiii
    .private_segment_fixed_size: 0
    .sgpr_count:     26
    .sgpr_spill_count: 0
    .symbol:         _ZL9moe_vec_qIN3c108BFloat16ELi32ELi4E12block_iq4_nlLi2EXadL_ZL19vec_dot_iq4_nl_q8_1PKvPK10block_q8_1RKiEEEvS4_S4_PT_PS8_iiii.kd
    .uniform_work_group_size: 1
    .uses_dynamic_stack: false
    .vgpr_count:     47
    .vgpr_spill_count: 0
    .wavefront_size: 64
  - .agpr_count:     0
    .args:
      - .actual_access:  read_only
        .address_space:  global
        .offset:         0
        .size:           8
        .value_kind:     global_buffer
      - .actual_access:  read_only
        .address_space:  global
        .offset:         8
        .size:           8
        .value_kind:     global_buffer
      - .actual_access:  write_only
        .address_space:  global
        .offset:         16
        .size:           8
        .value_kind:     global_buffer
      - .address_space:  global
        .offset:         24
        .size:           8
        .value_kind:     global_buffer
      - .offset:         32
        .size:           4
        .value_kind:     by_value
      - .offset:         36
        .size:           4
        .value_kind:     by_value
      - .offset:         40
        .size:           4
        .value_kind:     by_value
      - .offset:         44
        .size:           4
        .value_kind:     by_value
      - .offset:         48
        .size:           4
        .value_kind:     hidden_block_count_x
      - .offset:         52
        .size:           4
        .value_kind:     hidden_block_count_y
      - .offset:         56
        .size:           4
        .value_kind:     hidden_block_count_z
      - .offset:         60
        .size:           2
        .value_kind:     hidden_group_size_x
      - .offset:         62
        .size:           2
        .value_kind:     hidden_group_size_y
      - .offset:         64
        .size:           2
        .value_kind:     hidden_group_size_z
      - .offset:         66
        .size:           2
        .value_kind:     hidden_remainder_x
      - .offset:         68
        .size:           2
        .value_kind:     hidden_remainder_y
      - .offset:         70
        .size:           2
        .value_kind:     hidden_remainder_z
      - .offset:         88
        .size:           8
        .value_kind:     hidden_global_offset_x
      - .offset:         96
        .size:           8
        .value_kind:     hidden_global_offset_y
      - .offset:         104
        .size:           8
        .value_kind:     hidden_global_offset_z
      - .offset:         112
        .size:           2
        .value_kind:     hidden_grid_dims
    .group_segment_fixed_size: 0
    .kernarg_segment_align: 8
    .kernarg_segment_size: 304
    .language:       OpenCL C
    .language_version:
      - 2
      - 0
    .max_flat_workgroup_size: 1024
    .name:           _ZL9moe_vec_qIN3c108BFloat16ELi256ELi8E11block_iq3_sLi1EXadL_ZL18vec_dot_iq3_s_q8_1PKvPK10block_q8_1RKiEEEvS4_S4_PT_PS8_iiii
    .private_segment_fixed_size: 0
    .sgpr_count:     27
    .sgpr_spill_count: 0
    .symbol:         _ZL9moe_vec_qIN3c108BFloat16ELi256ELi8E11block_iq3_sLi1EXadL_ZL18vec_dot_iq3_s_q8_1PKvPK10block_q8_1RKiEEEvS4_S4_PT_PS8_iiii.kd
    .uniform_work_group_size: 1
    .uses_dynamic_stack: false
    .vgpr_count:     48
    .vgpr_spill_count: 0
    .wavefront_size: 64
  - .agpr_count:     0
    .args:
      - .actual_access:  read_only
        .address_space:  global
        .offset:         0
        .size:           8
        .value_kind:     global_buffer
      - .actual_access:  read_only
        .address_space:  global
        .offset:         8
        .size:           8
        .value_kind:     global_buffer
      - .actual_access:  write_only
        .address_space:  global
        .offset:         16
        .size:           8
        .value_kind:     global_buffer
      - .address_space:  global
        .offset:         24
        .size:           8
        .value_kind:     global_buffer
      - .offset:         32
        .size:           4
        .value_kind:     by_value
      - .offset:         36
        .size:           4
        .value_kind:     by_value
      - .offset:         40
        .size:           4
        .value_kind:     by_value
      - .offset:         44
        .size:           4
        .value_kind:     by_value
      - .offset:         48
        .size:           4
        .value_kind:     hidden_block_count_x
      - .offset:         52
        .size:           4
        .value_kind:     hidden_block_count_y
      - .offset:         56
        .size:           4
        .value_kind:     hidden_block_count_z
      - .offset:         60
        .size:           2
        .value_kind:     hidden_group_size_x
      - .offset:         62
        .size:           2
        .value_kind:     hidden_group_size_y
      - .offset:         64
        .size:           2
        .value_kind:     hidden_group_size_z
      - .offset:         66
        .size:           2
        .value_kind:     hidden_remainder_x
      - .offset:         68
        .size:           2
        .value_kind:     hidden_remainder_y
      - .offset:         70
        .size:           2
        .value_kind:     hidden_remainder_z
      - .offset:         88
        .size:           8
        .value_kind:     hidden_global_offset_x
      - .offset:         96
        .size:           8
        .value_kind:     hidden_global_offset_y
      - .offset:         104
        .size:           8
        .value_kind:     hidden_global_offset_z
      - .offset:         112
        .size:           2
        .value_kind:     hidden_grid_dims
    .group_segment_fixed_size: 0
    .kernarg_segment_align: 8
    .kernarg_segment_size: 304
    .language:       OpenCL C
    .language_version:
      - 2
      - 0
    .max_flat_workgroup_size: 1024
    .name:           _ZL9moe_vec_qIN3c108BFloat16ELi256ELi8E11block_iq2_sLi1EXadL_ZL18vec_dot_iq2_s_q8_1PKvPK10block_q8_1RKiEEEvS4_S4_PT_PS8_iiii
    .private_segment_fixed_size: 0
    .sgpr_count:     28
    .sgpr_spill_count: 0
    .symbol:         _ZL9moe_vec_qIN3c108BFloat16ELi256ELi8E11block_iq2_sLi1EXadL_ZL18vec_dot_iq2_s_q8_1PKvPK10block_q8_1RKiEEEvS4_S4_PT_PS8_iiii.kd
    .uniform_work_group_size: 1
    .uses_dynamic_stack: false
    .vgpr_count:     64
    .vgpr_spill_count: 0
    .wavefront_size: 64
  - .agpr_count:     0
    .args:
      - .actual_access:  read_only
        .address_space:  global
        .offset:         0
        .size:           8
        .value_kind:     global_buffer
      - .actual_access:  read_only
        .address_space:  global
        .offset:         8
        .size:           8
        .value_kind:     global_buffer
      - .actual_access:  write_only
        .address_space:  global
        .offset:         16
        .size:           8
        .value_kind:     global_buffer
      - .address_space:  global
        .offset:         24
        .size:           8
        .value_kind:     global_buffer
      - .offset:         32
        .size:           4
        .value_kind:     by_value
      - .offset:         36
        .size:           4
        .value_kind:     by_value
      - .offset:         40
        .size:           4
        .value_kind:     by_value
      - .offset:         44
        .size:           4
        .value_kind:     by_value
      - .offset:         48
        .size:           4
        .value_kind:     hidden_block_count_x
      - .offset:         52
        .size:           4
        .value_kind:     hidden_block_count_y
      - .offset:         56
        .size:           4
        .value_kind:     hidden_block_count_z
      - .offset:         60
        .size:           2
        .value_kind:     hidden_group_size_x
      - .offset:         62
        .size:           2
        .value_kind:     hidden_group_size_y
      - .offset:         64
        .size:           2
        .value_kind:     hidden_group_size_z
      - .offset:         66
        .size:           2
        .value_kind:     hidden_remainder_x
      - .offset:         68
        .size:           2
        .value_kind:     hidden_remainder_y
      - .offset:         70
        .size:           2
        .value_kind:     hidden_remainder_z
      - .offset:         88
        .size:           8
        .value_kind:     hidden_global_offset_x
      - .offset:         96
        .size:           8
        .value_kind:     hidden_global_offset_y
      - .offset:         104
        .size:           8
        .value_kind:     hidden_global_offset_z
      - .offset:         112
        .size:           2
        .value_kind:     hidden_grid_dims
    .group_segment_fixed_size: 0
    .kernarg_segment_align: 8
    .kernarg_segment_size: 304
    .language:       OpenCL C
    .language_version:
      - 2
      - 0
    .max_flat_workgroup_size: 1024
    .name:           _ZL9moe_vec_qIN3c108BFloat16ELi256ELi8E12block_iq4_xsLi1EXadL_ZL19vec_dot_iq4_xs_q8_1PKvPK10block_q8_1RKiEEEvS4_S4_PT_PS8_iiii
    .private_segment_fixed_size: 0
    .sgpr_count:     26
    .sgpr_spill_count: 0
    .symbol:         _ZL9moe_vec_qIN3c108BFloat16ELi256ELi8E12block_iq4_xsLi1EXadL_ZL19vec_dot_iq4_xs_q8_1PKvPK10block_q8_1RKiEEEvS4_S4_PT_PS8_iiii.kd
    .uniform_work_group_size: 1
    .uses_dynamic_stack: false
    .vgpr_count:     64
    .vgpr_spill_count: 0
    .wavefront_size: 64
  - .agpr_count:     0
    .args:
      - .actual_access:  read_only
        .address_space:  global
        .offset:         0
        .size:           8
        .value_kind:     global_buffer
      - .actual_access:  read_only
        .address_space:  global
        .offset:         8
        .size:           8
        .value_kind:     global_buffer
      - .actual_access:  write_only
        .address_space:  global
        .offset:         16
        .size:           8
        .value_kind:     global_buffer
      - .address_space:  global
        .offset:         24
        .size:           8
        .value_kind:     global_buffer
      - .offset:         32
        .size:           4
        .value_kind:     by_value
      - .offset:         36
        .size:           4
        .value_kind:     by_value
      - .offset:         40
        .size:           4
        .value_kind:     by_value
      - .offset:         44
        .size:           4
        .value_kind:     by_value
      - .offset:         48
        .size:           4
        .value_kind:     hidden_block_count_x
      - .offset:         52
        .size:           4
        .value_kind:     hidden_block_count_y
      - .offset:         56
        .size:           4
        .value_kind:     hidden_block_count_z
      - .offset:         60
        .size:           2
        .value_kind:     hidden_group_size_x
      - .offset:         62
        .size:           2
        .value_kind:     hidden_group_size_y
      - .offset:         64
        .size:           2
        .value_kind:     hidden_group_size_z
      - .offset:         66
        .size:           2
        .value_kind:     hidden_remainder_x
      - .offset:         68
        .size:           2
        .value_kind:     hidden_remainder_y
      - .offset:         70
        .size:           2
        .value_kind:     hidden_remainder_z
      - .offset:         88
        .size:           8
        .value_kind:     hidden_global_offset_x
      - .offset:         96
        .size:           8
        .value_kind:     hidden_global_offset_y
      - .offset:         104
        .size:           8
        .value_kind:     hidden_global_offset_z
      - .offset:         112
        .size:           2
        .value_kind:     hidden_grid_dims
    .group_segment_fixed_size: 0
    .kernarg_segment_align: 8
    .kernarg_segment_size: 304
    .language:       OpenCL C
    .language_version:
      - 2
      - 0
    .max_flat_workgroup_size: 1024
    .name:           _ZL9moe_vec_qIN3c108BFloat16ELi256ELi8E11block_iq1_mLi1EXadL_ZL18vec_dot_iq1_m_q8_1PKvPK10block_q8_1RKiEEEvS4_S4_PT_PS8_iiii
    .private_segment_fixed_size: 0
    .sgpr_count:     26
    .sgpr_spill_count: 0
    .symbol:         _ZL9moe_vec_qIN3c108BFloat16ELi256ELi8E11block_iq1_mLi1EXadL_ZL18vec_dot_iq1_m_q8_1PKvPK10block_q8_1RKiEEEvS4_S4_PT_PS8_iiii.kd
    .uniform_work_group_size: 1
    .uses_dynamic_stack: false
    .vgpr_count:     49
    .vgpr_spill_count: 0
    .wavefront_size: 64
amdhsa.target:   amdgcn-amd-amdhsa--gfx950
amdhsa.version:
  - 1
  - 2
...

	.end_amdgpu_metadata
